;; amdgpu-corpus repo=pytorch/pytorch kind=compiled arch=gfx90a opt=O3
	.text
	.amdgcn_target "amdgcn-amd-amdhsa--gfx90a"
	.amdhsa_code_object_version 6
	.section	.text._ZN2at6native29vectorized_elementwise_kernelILi16ENS0_11FillFunctorIhEESt5arrayIPcLm1EEEEviT0_T1_,"axG",@progbits,_ZN2at6native29vectorized_elementwise_kernelILi16ENS0_11FillFunctorIhEESt5arrayIPcLm1EEEEviT0_T1_,comdat
	.protected	_ZN2at6native29vectorized_elementwise_kernelILi16ENS0_11FillFunctorIhEESt5arrayIPcLm1EEEEviT0_T1_ ; -- Begin function _ZN2at6native29vectorized_elementwise_kernelILi16ENS0_11FillFunctorIhEESt5arrayIPcLm1EEEEviT0_T1_
	.globl	_ZN2at6native29vectorized_elementwise_kernelILi16ENS0_11FillFunctorIhEESt5arrayIPcLm1EEEEviT0_T1_
	.p2align	8
	.type	_ZN2at6native29vectorized_elementwise_kernelILi16ENS0_11FillFunctorIhEESt5arrayIPcLm1EEEEviT0_T1_,@function
_ZN2at6native29vectorized_elementwise_kernelILi16ENS0_11FillFunctorIhEESt5arrayIPcLm1EEEEviT0_T1_: ; @_ZN2at6native29vectorized_elementwise_kernelILi16ENS0_11FillFunctorIhEESt5arrayIPcLm1EEEEviT0_T1_
; %bb.0:
	s_load_dwordx4 s[8:11], s[4:5], 0x0
	s_lshl_b32 s2, s6, 12
	s_mov_b64 s[0:1], -1
	s_waitcnt lgkmcnt(0)
	s_sub_i32 s3, s8, s2
	s_cmpk_gt_i32 s3, 0xfff
	v_lshlrev_b16_e64 v1, 8, s9
	s_cbranch_scc0 .LBB0_2
; %bb.1:
	v_or_b32_sdwa v2, s9, v1 dst_sel:DWORD dst_unused:UNUSED_PAD src0_sel:BYTE_0 src1_sel:DWORD
	s_ashr_i32 s1, s2, 31
	v_lshlrev_b32_e32 v3, 16, v2
	s_add_u32 s0, s10, s2
	v_or_b32_sdwa v2, v2, v3 dst_sel:DWORD dst_unused:UNUSED_PAD src0_sel:WORD_0 src1_sel:DWORD
	s_addc_u32 s1, s11, s1
	v_lshlrev_b32_e32 v6, 4, v0
	v_mov_b32_e32 v3, v2
	v_mov_b32_e32 v4, v2
	;; [unrolled: 1-line block ×3, first 2 shown]
	global_store_dwordx4 v6, v[2:5], s[0:1]
	s_mov_b64 s[0:1], 0
.LBB0_2:
	s_andn2_b64 vcc, exec, s[0:1]
	s_cbranch_vccnz .LBB0_20
; %bb.3:
	v_or_b32_e32 v5, 0x100, v0
	v_or_b32_sdwa v2, s9, v1 dst_sel:DWORD dst_unused:UNUSED_PAD src0_sel:BYTE_0 src1_sel:DWORD
	v_mov_b32_e32 v3, 0xffff
	v_and_b32_e32 v2, 0xffff, v2
	v_and_b32_sdwa v6, s9, v3 dst_sel:DWORD dst_unused:UNUSED_PAD src0_sel:BYTE_0 src1_sel:DWORD
	v_cmp_gt_i32_e64 s[0:1], s3, v5
	v_mov_b32_e32 v7, 16
	v_cndmask_b32_e64 v3, v6, v2, s[0:1]
	v_or_b32_e32 v4, 0x200, v0
	v_lshlrev_b32_sdwa v7, v7, s9 dst_sel:DWORD dst_unused:UNUSED_PAD src0_sel:DWORD src1_sel:BYTE_0
	v_or_b32_e32 v8, v3, v7
	v_cmp_gt_i32_e64 s[0:1], s3, v4
	s_movk_i32 s4, 0xff
	v_cndmask_b32_e64 v3, v3, v8, s[0:1]
	v_and_b32_sdwa v4, v3, s4 dst_sel:DWORD dst_unused:UNUSED_PAD src0_sel:WORD_1 src1_sel:DWORD
	s_mov_b32 s5, 0xffff
	v_or_b32_e32 v8, 0x300, v0
	v_or_b32_sdwa v4, v4, v1 dst_sel:WORD_1 dst_unused:UNUSED_PAD src0_sel:DWORD src1_sel:DWORD
	v_and_or_b32 v4, v3, s5, v4
	v_cmp_gt_i32_e64 s[0:1], s3, v8
	v_cndmask_b32_e64 v4, v3, v4, s[0:1]
	v_mov_b32_e32 v3, 0x3020104
	v_perm_b32 v8, s9, 0, v3
	v_or_b32_e32 v3, 0x400, v0
	v_cmp_gt_i32_e64 s[0:1], s3, v3
	v_cndmask_b32_e64 v3, 0, v8, s[0:1]
	v_mov_b32_e32 v9, 0x7060004
	v_or_b32_e32 v11, 0x500, v0
	v_perm_b32 v10, v3, s9, v9
	v_cmp_gt_i32_e64 s[0:1], s3, v11
	v_cndmask_b32_e64 v3, v3, v10, s[0:1]
	v_or_b32_e32 v10, 0x600, v0
	v_mov_b32_e32 v11, 0x7000504
	v_perm_b32 v12, v3, s9, v11
	v_cmp_gt_i32_e64 s[0:1], s3, v10
	v_cndmask_b32_e64 v3, v3, v12, s[0:1]
	v_or_b32_e32 v10, 0x700, v0
	v_mov_b32_e32 v12, 0x60504
	v_perm_b32 v13, v3, s9, v12
	v_cmp_gt_i32_e64 s[0:1], s3, v10
	v_or_b32_e32 v10, 0x900, v0
	v_cndmask_b32_e64 v3, v3, v13, s[0:1]
	v_cmp_gt_i32_e64 s[0:1], s3, v10
	v_cndmask_b32_e64 v2, v6, v2, s[0:1]
	v_or_b32_e32 v6, 0xa00, v0
	v_or_b32_e32 v7, v2, v7
	v_cmp_gt_i32_e64 s[0:1], s3, v6
	v_cndmask_b32_e64 v2, v2, v7, s[0:1]
	v_and_b32_sdwa v6, v2, s4 dst_sel:DWORD dst_unused:UNUSED_PAD src0_sel:WORD_1 src1_sel:DWORD
	v_or_b32_e32 v7, 0xb00, v0
	v_or_b32_sdwa v1, v6, v1 dst_sel:WORD_1 dst_unused:UNUSED_PAD src0_sel:DWORD src1_sel:DWORD
	v_and_or_b32 v1, v2, s5, v1
	v_cmp_gt_i32_e64 s[0:1], s3, v7
	v_cndmask_b32_e64 v2, v2, v1, s[0:1]
	v_or_b32_e32 v1, 0xc00, v0
	v_cmp_gt_i32_e64 s[0:1], s3, v1
	v_cndmask_b32_e64 v1, 0, v8, s[0:1]
	v_or_b32_e32 v7, 0xd00, v0
	v_perm_b32 v6, v1, s9, v9
	v_cmp_gt_i32_e64 s[0:1], s3, v7
	v_cndmask_b32_e64 v1, v1, v6, s[0:1]
	v_or_b32_e32 v6, 0xe00, v0
	v_perm_b32 v7, v1, s9, v11
	;; [unrolled: 4-line block ×3, first 2 shown]
	v_cmp_gt_i32_e64 s[0:1], s3, v6
	v_cmp_gt_i32_e32 vcc, s3, v0
	v_cndmask_b32_e64 v1, v1, v7, s[0:1]
	s_and_saveexec_b64 s[0:1], vcc
	s_cbranch_execnz .LBB0_21
; %bb.4:
	s_or_b64 exec, exec, s[0:1]
	v_cmp_gt_i32_e32 vcc, s3, v0
	s_and_saveexec_b64 s[0:1], vcc
	s_cbranch_execnz .LBB0_22
.LBB0_5:
	s_or_b64 exec, exec, s[0:1]
	v_cmp_gt_i32_e32 vcc, s3, v0
	s_and_saveexec_b64 s[0:1], vcc
	s_cbranch_execnz .LBB0_23
.LBB0_6:
	s_or_b64 exec, exec, s[0:1]
	v_cmp_gt_i32_e32 vcc, s3, v0
	s_and_saveexec_b64 s[0:1], vcc
	s_cbranch_execnz .LBB0_24
.LBB0_7:
	s_or_b64 exec, exec, s[0:1]
	v_cmp_gt_i32_e32 vcc, s3, v0
	s_and_saveexec_b64 s[0:1], vcc
	s_cbranch_execnz .LBB0_25
.LBB0_8:
	s_or_b64 exec, exec, s[0:1]
	v_cmp_gt_i32_e32 vcc, s3, v0
	s_and_saveexec_b64 s[0:1], vcc
	s_cbranch_execnz .LBB0_26
.LBB0_9:
	s_or_b64 exec, exec, s[0:1]
	v_cmp_gt_i32_e32 vcc, s3, v0
	s_and_saveexec_b64 s[0:1], vcc
	s_cbranch_execnz .LBB0_27
.LBB0_10:
	s_or_b64 exec, exec, s[0:1]
	v_cmp_gt_i32_e32 vcc, s3, v0
	s_and_saveexec_b64 s[0:1], vcc
	s_cbranch_execnz .LBB0_28
.LBB0_11:
	s_or_b64 exec, exec, s[0:1]
	v_cmp_gt_i32_e32 vcc, s3, v0
	s_and_saveexec_b64 s[0:1], vcc
	s_cbranch_execnz .LBB0_29
.LBB0_12:
	s_or_b64 exec, exec, s[0:1]
	v_cmp_gt_i32_e32 vcc, s3, v0
	s_and_saveexec_b64 s[0:1], vcc
	s_cbranch_execnz .LBB0_30
.LBB0_13:
	s_or_b64 exec, exec, s[0:1]
	v_cmp_gt_i32_e32 vcc, s3, v0
	s_and_saveexec_b64 s[0:1], vcc
	s_cbranch_execnz .LBB0_31
.LBB0_14:
	s_or_b64 exec, exec, s[0:1]
	v_cmp_gt_i32_e32 vcc, s3, v0
	s_and_saveexec_b64 s[0:1], vcc
	s_cbranch_execnz .LBB0_32
.LBB0_15:
	s_or_b64 exec, exec, s[0:1]
	v_cmp_gt_i32_e32 vcc, s3, v0
	s_and_saveexec_b64 s[0:1], vcc
	s_cbranch_execnz .LBB0_33
.LBB0_16:
	s_or_b64 exec, exec, s[0:1]
	v_cmp_gt_i32_e32 vcc, s3, v0
	s_and_saveexec_b64 s[0:1], vcc
	s_cbranch_execnz .LBB0_34
.LBB0_17:
	s_or_b64 exec, exec, s[0:1]
	v_cmp_gt_i32_e32 vcc, s3, v0
	s_and_saveexec_b64 s[0:1], vcc
	s_cbranch_execnz .LBB0_35
.LBB0_18:
	s_or_b64 exec, exec, s[0:1]
	v_cmp_gt_i32_e32 vcc, s3, v0
	s_and_saveexec_b64 s[0:1], vcc
	s_cbranch_execz .LBB0_20
.LBB0_19:
	v_add_u32_e32 v0, s2, v0
	v_lshrrev_b32_e32 v1, 24, v1
	global_store_byte v0, v1, s[10:11]
.LBB0_20:
	s_endpgm
.LBB0_21:
	v_or_b32_e32 v0, s2, v0
	global_store_byte v0, v4, s[10:11]
	v_mov_b32_e32 v0, v5
	s_or_b64 exec, exec, s[0:1]
	v_cmp_gt_i32_e32 vcc, s3, v0
	s_and_saveexec_b64 s[0:1], vcc
	s_cbranch_execz .LBB0_5
.LBB0_22:
	v_add_u32_e32 v5, s2, v0
	v_lshrrev_b32_e32 v6, 8, v4
	v_add_u32_e32 v0, 0x100, v0
	global_store_byte v5, v6, s[10:11]
	s_or_b64 exec, exec, s[0:1]
	v_cmp_gt_i32_e32 vcc, s3, v0
	s_and_saveexec_b64 s[0:1], vcc
	s_cbranch_execz .LBB0_6
.LBB0_23:
	v_add_u32_e32 v5, s2, v0
	v_add_u32_e32 v0, 0x100, v0
	global_store_byte_d16_hi v5, v4, s[10:11]
	s_or_b64 exec, exec, s[0:1]
	v_cmp_gt_i32_e32 vcc, s3, v0
	s_and_saveexec_b64 s[0:1], vcc
	s_cbranch_execz .LBB0_7
.LBB0_24:
	v_add_u32_e32 v5, s2, v0
	v_lshrrev_b32_e32 v4, 24, v4
	v_add_u32_e32 v0, 0x100, v0
	global_store_byte v5, v4, s[10:11]
	s_or_b64 exec, exec, s[0:1]
	v_cmp_gt_i32_e32 vcc, s3, v0
	s_and_saveexec_b64 s[0:1], vcc
	s_cbranch_execz .LBB0_8
.LBB0_25:
	v_add_u32_e32 v4, s2, v0
	v_add_u32_e32 v0, 0x100, v0
	global_store_byte v4, v3, s[10:11]
	s_or_b64 exec, exec, s[0:1]
	v_cmp_gt_i32_e32 vcc, s3, v0
	s_and_saveexec_b64 s[0:1], vcc
	s_cbranch_execz .LBB0_9
.LBB0_26:
	v_add_u32_e32 v4, s2, v0
	v_lshrrev_b32_e32 v5, 8, v3
	v_add_u32_e32 v0, 0x100, v0
	global_store_byte v4, v5, s[10:11]
	s_or_b64 exec, exec, s[0:1]
	v_cmp_gt_i32_e32 vcc, s3, v0
	s_and_saveexec_b64 s[0:1], vcc
	s_cbranch_execz .LBB0_10
.LBB0_27:
	v_add_u32_e32 v4, s2, v0
	v_add_u32_e32 v0, 0x100, v0
	global_store_byte_d16_hi v4, v3, s[10:11]
	s_or_b64 exec, exec, s[0:1]
	v_cmp_gt_i32_e32 vcc, s3, v0
	s_and_saveexec_b64 s[0:1], vcc
	s_cbranch_execz .LBB0_11
.LBB0_28:
	v_add_u32_e32 v4, s2, v0
	v_lshrrev_b32_e32 v3, 24, v3
	v_add_u32_e32 v0, 0x100, v0
	global_store_byte v4, v3, s[10:11]
	s_or_b64 exec, exec, s[0:1]
	v_cmp_gt_i32_e32 vcc, s3, v0
	s_and_saveexec_b64 s[0:1], vcc
	s_cbranch_execz .LBB0_12
.LBB0_29:
	v_add_u32_e32 v3, s2, v0
	v_add_u32_e32 v0, 0x100, v0
	global_store_byte v3, v2, s[10:11]
	s_or_b64 exec, exec, s[0:1]
	v_cmp_gt_i32_e32 vcc, s3, v0
	s_and_saveexec_b64 s[0:1], vcc
	s_cbranch_execz .LBB0_13
.LBB0_30:
	v_add_u32_e32 v3, s2, v0
	v_lshrrev_b32_e32 v4, 8, v2
	v_add_u32_e32 v0, 0x100, v0
	global_store_byte v3, v4, s[10:11]
	s_or_b64 exec, exec, s[0:1]
	v_cmp_gt_i32_e32 vcc, s3, v0
	s_and_saveexec_b64 s[0:1], vcc
	s_cbranch_execz .LBB0_14
.LBB0_31:
	v_add_u32_e32 v3, s2, v0
	v_add_u32_e32 v0, 0x100, v0
	global_store_byte_d16_hi v3, v2, s[10:11]
	s_or_b64 exec, exec, s[0:1]
	v_cmp_gt_i32_e32 vcc, s3, v0
	s_and_saveexec_b64 s[0:1], vcc
	s_cbranch_execz .LBB0_15
.LBB0_32:
	v_add_u32_e32 v3, s2, v0
	v_lshrrev_b32_e32 v2, 24, v2
	v_add_u32_e32 v0, 0x100, v0
	global_store_byte v3, v2, s[10:11]
	s_or_b64 exec, exec, s[0:1]
	v_cmp_gt_i32_e32 vcc, s3, v0
	s_and_saveexec_b64 s[0:1], vcc
	s_cbranch_execz .LBB0_16
.LBB0_33:
	v_add_u32_e32 v2, s2, v0
	v_add_u32_e32 v0, 0x100, v0
	global_store_byte v2, v1, s[10:11]
	s_or_b64 exec, exec, s[0:1]
	v_cmp_gt_i32_e32 vcc, s3, v0
	s_and_saveexec_b64 s[0:1], vcc
	s_cbranch_execz .LBB0_17
.LBB0_34:
	v_add_u32_e32 v2, s2, v0
	v_lshrrev_b32_e32 v3, 8, v1
	v_add_u32_e32 v0, 0x100, v0
	global_store_byte v2, v3, s[10:11]
	s_or_b64 exec, exec, s[0:1]
	v_cmp_gt_i32_e32 vcc, s3, v0
	s_and_saveexec_b64 s[0:1], vcc
	s_cbranch_execz .LBB0_18
.LBB0_35:
	v_add_u32_e32 v2, s2, v0
	v_add_u32_e32 v0, 0x100, v0
	global_store_byte_d16_hi v2, v1, s[10:11]
	s_or_b64 exec, exec, s[0:1]
	v_cmp_gt_i32_e32 vcc, s3, v0
	s_and_saveexec_b64 s[0:1], vcc
	s_cbranch_execnz .LBB0_19
	s_branch .LBB0_20
	.section	.rodata,"a",@progbits
	.p2align	6, 0x0
	.amdhsa_kernel _ZN2at6native29vectorized_elementwise_kernelILi16ENS0_11FillFunctorIhEESt5arrayIPcLm1EEEEviT0_T1_
		.amdhsa_group_segment_fixed_size 0
		.amdhsa_private_segment_fixed_size 0
		.amdhsa_kernarg_size 16
		.amdhsa_user_sgpr_count 6
		.amdhsa_user_sgpr_private_segment_buffer 1
		.amdhsa_user_sgpr_dispatch_ptr 0
		.amdhsa_user_sgpr_queue_ptr 0
		.amdhsa_user_sgpr_kernarg_segment_ptr 1
		.amdhsa_user_sgpr_dispatch_id 0
		.amdhsa_user_sgpr_flat_scratch_init 0
		.amdhsa_user_sgpr_kernarg_preload_length 0
		.amdhsa_user_sgpr_kernarg_preload_offset 0
		.amdhsa_user_sgpr_private_segment_size 0
		.amdhsa_uses_dynamic_stack 0
		.amdhsa_system_sgpr_private_segment_wavefront_offset 0
		.amdhsa_system_sgpr_workgroup_id_x 1
		.amdhsa_system_sgpr_workgroup_id_y 0
		.amdhsa_system_sgpr_workgroup_id_z 0
		.amdhsa_system_sgpr_workgroup_info 0
		.amdhsa_system_vgpr_workitem_id 0
		.amdhsa_next_free_vgpr 14
		.amdhsa_next_free_sgpr 12
		.amdhsa_accum_offset 16
		.amdhsa_reserve_vcc 1
		.amdhsa_reserve_flat_scratch 0
		.amdhsa_float_round_mode_32 0
		.amdhsa_float_round_mode_16_64 0
		.amdhsa_float_denorm_mode_32 3
		.amdhsa_float_denorm_mode_16_64 3
		.amdhsa_dx10_clamp 1
		.amdhsa_ieee_mode 1
		.amdhsa_fp16_overflow 0
		.amdhsa_tg_split 0
		.amdhsa_exception_fp_ieee_invalid_op 0
		.amdhsa_exception_fp_denorm_src 0
		.amdhsa_exception_fp_ieee_div_zero 0
		.amdhsa_exception_fp_ieee_overflow 0
		.amdhsa_exception_fp_ieee_underflow 0
		.amdhsa_exception_fp_ieee_inexact 0
		.amdhsa_exception_int_div_zero 0
	.end_amdhsa_kernel
	.section	.text._ZN2at6native29vectorized_elementwise_kernelILi16ENS0_11FillFunctorIhEESt5arrayIPcLm1EEEEviT0_T1_,"axG",@progbits,_ZN2at6native29vectorized_elementwise_kernelILi16ENS0_11FillFunctorIhEESt5arrayIPcLm1EEEEviT0_T1_,comdat
.Lfunc_end0:
	.size	_ZN2at6native29vectorized_elementwise_kernelILi16ENS0_11FillFunctorIhEESt5arrayIPcLm1EEEEviT0_T1_, .Lfunc_end0-_ZN2at6native29vectorized_elementwise_kernelILi16ENS0_11FillFunctorIhEESt5arrayIPcLm1EEEEviT0_T1_
                                        ; -- End function
	.section	.AMDGPU.csdata,"",@progbits
; Kernel info:
; codeLenInByte = 1484
; NumSgprs: 16
; NumVgprs: 14
; NumAgprs: 0
; TotalNumVgprs: 14
; ScratchSize: 0
; MemoryBound: 0
; FloatMode: 240
; IeeeMode: 1
; LDSByteSize: 0 bytes/workgroup (compile time only)
; SGPRBlocks: 1
; VGPRBlocks: 1
; NumSGPRsForWavesPerEU: 16
; NumVGPRsForWavesPerEU: 14
; AccumOffset: 16
; Occupancy: 8
; WaveLimiterHint : 0
; COMPUTE_PGM_RSRC2:SCRATCH_EN: 0
; COMPUTE_PGM_RSRC2:USER_SGPR: 6
; COMPUTE_PGM_RSRC2:TRAP_HANDLER: 0
; COMPUTE_PGM_RSRC2:TGID_X_EN: 1
; COMPUTE_PGM_RSRC2:TGID_Y_EN: 0
; COMPUTE_PGM_RSRC2:TGID_Z_EN: 0
; COMPUTE_PGM_RSRC2:TIDIG_COMP_CNT: 0
; COMPUTE_PGM_RSRC3_GFX90A:ACCUM_OFFSET: 3
; COMPUTE_PGM_RSRC3_GFX90A:TG_SPLIT: 0
	.section	.text._ZN2at6native29vectorized_elementwise_kernelILi8ENS0_11FillFunctorIhEESt5arrayIPcLm1EEEEviT0_T1_,"axG",@progbits,_ZN2at6native29vectorized_elementwise_kernelILi8ENS0_11FillFunctorIhEESt5arrayIPcLm1EEEEviT0_T1_,comdat
	.protected	_ZN2at6native29vectorized_elementwise_kernelILi8ENS0_11FillFunctorIhEESt5arrayIPcLm1EEEEviT0_T1_ ; -- Begin function _ZN2at6native29vectorized_elementwise_kernelILi8ENS0_11FillFunctorIhEESt5arrayIPcLm1EEEEviT0_T1_
	.globl	_ZN2at6native29vectorized_elementwise_kernelILi8ENS0_11FillFunctorIhEESt5arrayIPcLm1EEEEviT0_T1_
	.p2align	8
	.type	_ZN2at6native29vectorized_elementwise_kernelILi8ENS0_11FillFunctorIhEESt5arrayIPcLm1EEEEviT0_T1_,@function
_ZN2at6native29vectorized_elementwise_kernelILi8ENS0_11FillFunctorIhEESt5arrayIPcLm1EEEEviT0_T1_: ; @_ZN2at6native29vectorized_elementwise_kernelILi8ENS0_11FillFunctorIhEESt5arrayIPcLm1EEEEviT0_T1_
; %bb.0:
	s_load_dwordx4 s[8:11], s[4:5], 0x0
	s_lshl_b32 s2, s6, 12
	s_mov_b64 s[0:1], -1
	s_waitcnt lgkmcnt(0)
	s_sub_i32 s3, s8, s2
	s_cmpk_gt_i32 s3, 0xfff
	s_cbranch_scc0 .LBB1_2
; %bb.1:
	s_ashr_i32 s1, s2, 31
	s_add_u32 s0, s10, s2
	s_addc_u32 s1, s11, s1
	s_and_b32 s4, s9, 0xff
	s_mul_i32 s4, s4, 0x1010101
	s_mov_b32 s5, s4
	v_lshlrev_b32_e32 v1, 3, v0
	v_pk_mov_b32 v[2:3], s[4:5], s[4:5] op_sel:[0,1]
	global_store_dwordx2 v1, v[2:3], s[0:1]
	global_store_dwordx2 v1, v[2:3], s[0:1] offset:2048
	s_mov_b64 s[0:1], 0
.LBB1_2:
	s_andn2_b64 vcc, exec, s[0:1]
	s_cbranch_vccnz .LBB1_20
; %bb.3:
	v_lshlrev_b16_e64 v1, 8, s9
	v_or_b32_e32 v5, 0x100, v0
	v_or_b32_sdwa v2, s9, v1 dst_sel:DWORD dst_unused:UNUSED_PAD src0_sel:BYTE_0 src1_sel:DWORD
	v_mov_b32_e32 v3, 0xffff
	v_and_b32_e32 v2, 0xffff, v2
	v_and_b32_sdwa v6, s9, v3 dst_sel:DWORD dst_unused:UNUSED_PAD src0_sel:BYTE_0 src1_sel:DWORD
	v_cmp_gt_i32_e64 s[0:1], s3, v5
	v_mov_b32_e32 v7, 16
	v_cndmask_b32_e64 v3, v6, v2, s[0:1]
	v_or_b32_e32 v4, 0x200, v0
	v_lshlrev_b32_sdwa v7, v7, s9 dst_sel:DWORD dst_unused:UNUSED_PAD src0_sel:DWORD src1_sel:BYTE_0
	v_or_b32_e32 v8, v3, v7
	v_cmp_gt_i32_e64 s[0:1], s3, v4
	s_movk_i32 s4, 0xff
	v_cndmask_b32_e64 v3, v3, v8, s[0:1]
	v_and_b32_sdwa v4, v3, s4 dst_sel:DWORD dst_unused:UNUSED_PAD src0_sel:WORD_1 src1_sel:DWORD
	s_mov_b32 s5, 0xffff
	v_or_b32_e32 v8, 0x300, v0
	v_or_b32_sdwa v4, v4, v1 dst_sel:WORD_1 dst_unused:UNUSED_PAD src0_sel:DWORD src1_sel:DWORD
	v_and_or_b32 v4, v3, s5, v4
	v_cmp_gt_i32_e64 s[0:1], s3, v8
	v_cndmask_b32_e64 v4, v3, v4, s[0:1]
	v_mov_b32_e32 v3, 0x3020104
	v_perm_b32 v8, s9, 0, v3
	v_or_b32_e32 v3, 0x400, v0
	v_cmp_gt_i32_e64 s[0:1], s3, v3
	v_cndmask_b32_e64 v3, 0, v8, s[0:1]
	v_mov_b32_e32 v9, 0x7060004
	v_or_b32_e32 v11, 0x500, v0
	v_perm_b32 v10, v3, s9, v9
	v_cmp_gt_i32_e64 s[0:1], s3, v11
	v_cndmask_b32_e64 v3, v3, v10, s[0:1]
	v_or_b32_e32 v10, 0x600, v0
	v_mov_b32_e32 v11, 0x7000504
	v_perm_b32 v12, v3, s9, v11
	v_cmp_gt_i32_e64 s[0:1], s3, v10
	v_cndmask_b32_e64 v3, v3, v12, s[0:1]
	v_or_b32_e32 v10, 0x700, v0
	v_mov_b32_e32 v12, 0x60504
	v_perm_b32 v13, v3, s9, v12
	v_cmp_gt_i32_e64 s[0:1], s3, v10
	v_or_b32_e32 v10, 0x900, v0
	v_cndmask_b32_e64 v3, v3, v13, s[0:1]
	v_cmp_gt_i32_e64 s[0:1], s3, v10
	v_cndmask_b32_e64 v2, v6, v2, s[0:1]
	v_or_b32_e32 v6, 0xa00, v0
	v_or_b32_e32 v7, v2, v7
	v_cmp_gt_i32_e64 s[0:1], s3, v6
	v_cndmask_b32_e64 v2, v2, v7, s[0:1]
	v_and_b32_sdwa v6, v2, s4 dst_sel:DWORD dst_unused:UNUSED_PAD src0_sel:WORD_1 src1_sel:DWORD
	v_or_b32_e32 v7, 0xb00, v0
	v_or_b32_sdwa v1, v6, v1 dst_sel:WORD_1 dst_unused:UNUSED_PAD src0_sel:DWORD src1_sel:DWORD
	v_and_or_b32 v1, v2, s5, v1
	v_cmp_gt_i32_e64 s[0:1], s3, v7
	v_cndmask_b32_e64 v2, v2, v1, s[0:1]
	v_or_b32_e32 v1, 0xc00, v0
	v_cmp_gt_i32_e64 s[0:1], s3, v1
	v_cndmask_b32_e64 v1, 0, v8, s[0:1]
	v_or_b32_e32 v7, 0xd00, v0
	v_perm_b32 v6, v1, s9, v9
	v_cmp_gt_i32_e64 s[0:1], s3, v7
	v_cndmask_b32_e64 v1, v1, v6, s[0:1]
	v_or_b32_e32 v6, 0xe00, v0
	v_perm_b32 v7, v1, s9, v11
	;; [unrolled: 4-line block ×3, first 2 shown]
	v_cmp_gt_i32_e64 s[0:1], s3, v6
	v_cmp_gt_i32_e32 vcc, s3, v0
	v_cndmask_b32_e64 v1, v1, v7, s[0:1]
	s_and_saveexec_b64 s[0:1], vcc
	s_cbranch_execnz .LBB1_21
; %bb.4:
	s_or_b64 exec, exec, s[0:1]
	v_cmp_gt_i32_e32 vcc, s3, v0
	s_and_saveexec_b64 s[0:1], vcc
	s_cbranch_execnz .LBB1_22
.LBB1_5:
	s_or_b64 exec, exec, s[0:1]
	v_cmp_gt_i32_e32 vcc, s3, v0
	s_and_saveexec_b64 s[0:1], vcc
	s_cbranch_execnz .LBB1_23
.LBB1_6:
	s_or_b64 exec, exec, s[0:1]
	v_cmp_gt_i32_e32 vcc, s3, v0
	s_and_saveexec_b64 s[0:1], vcc
	s_cbranch_execnz .LBB1_24
.LBB1_7:
	s_or_b64 exec, exec, s[0:1]
	v_cmp_gt_i32_e32 vcc, s3, v0
	s_and_saveexec_b64 s[0:1], vcc
	s_cbranch_execnz .LBB1_25
.LBB1_8:
	s_or_b64 exec, exec, s[0:1]
	v_cmp_gt_i32_e32 vcc, s3, v0
	s_and_saveexec_b64 s[0:1], vcc
	s_cbranch_execnz .LBB1_26
.LBB1_9:
	s_or_b64 exec, exec, s[0:1]
	v_cmp_gt_i32_e32 vcc, s3, v0
	s_and_saveexec_b64 s[0:1], vcc
	s_cbranch_execnz .LBB1_27
.LBB1_10:
	s_or_b64 exec, exec, s[0:1]
	v_cmp_gt_i32_e32 vcc, s3, v0
	s_and_saveexec_b64 s[0:1], vcc
	s_cbranch_execnz .LBB1_28
.LBB1_11:
	s_or_b64 exec, exec, s[0:1]
	v_cmp_gt_i32_e32 vcc, s3, v0
	s_and_saveexec_b64 s[0:1], vcc
	s_cbranch_execnz .LBB1_29
.LBB1_12:
	s_or_b64 exec, exec, s[0:1]
	v_cmp_gt_i32_e32 vcc, s3, v0
	s_and_saveexec_b64 s[0:1], vcc
	s_cbranch_execnz .LBB1_30
.LBB1_13:
	s_or_b64 exec, exec, s[0:1]
	v_cmp_gt_i32_e32 vcc, s3, v0
	s_and_saveexec_b64 s[0:1], vcc
	s_cbranch_execnz .LBB1_31
.LBB1_14:
	s_or_b64 exec, exec, s[0:1]
	v_cmp_gt_i32_e32 vcc, s3, v0
	s_and_saveexec_b64 s[0:1], vcc
	s_cbranch_execnz .LBB1_32
.LBB1_15:
	s_or_b64 exec, exec, s[0:1]
	v_cmp_gt_i32_e32 vcc, s3, v0
	s_and_saveexec_b64 s[0:1], vcc
	s_cbranch_execnz .LBB1_33
.LBB1_16:
	s_or_b64 exec, exec, s[0:1]
	v_cmp_gt_i32_e32 vcc, s3, v0
	s_and_saveexec_b64 s[0:1], vcc
	s_cbranch_execnz .LBB1_34
.LBB1_17:
	s_or_b64 exec, exec, s[0:1]
	v_cmp_gt_i32_e32 vcc, s3, v0
	s_and_saveexec_b64 s[0:1], vcc
	s_cbranch_execnz .LBB1_35
.LBB1_18:
	s_or_b64 exec, exec, s[0:1]
	v_cmp_gt_i32_e32 vcc, s3, v0
	s_and_saveexec_b64 s[0:1], vcc
	s_cbranch_execz .LBB1_20
.LBB1_19:
	v_add_u32_e32 v0, s2, v0
	v_lshrrev_b32_e32 v1, 24, v1
	global_store_byte v0, v1, s[10:11]
.LBB1_20:
	s_endpgm
.LBB1_21:
	v_or_b32_e32 v0, s2, v0
	global_store_byte v0, v4, s[10:11]
	v_mov_b32_e32 v0, v5
	s_or_b64 exec, exec, s[0:1]
	v_cmp_gt_i32_e32 vcc, s3, v0
	s_and_saveexec_b64 s[0:1], vcc
	s_cbranch_execz .LBB1_5
.LBB1_22:
	v_add_u32_e32 v5, s2, v0
	v_lshrrev_b32_e32 v6, 8, v4
	v_add_u32_e32 v0, 0x100, v0
	global_store_byte v5, v6, s[10:11]
	s_or_b64 exec, exec, s[0:1]
	v_cmp_gt_i32_e32 vcc, s3, v0
	s_and_saveexec_b64 s[0:1], vcc
	s_cbranch_execz .LBB1_6
.LBB1_23:
	v_add_u32_e32 v5, s2, v0
	v_add_u32_e32 v0, 0x100, v0
	global_store_byte_d16_hi v5, v4, s[10:11]
	s_or_b64 exec, exec, s[0:1]
	v_cmp_gt_i32_e32 vcc, s3, v0
	s_and_saveexec_b64 s[0:1], vcc
	s_cbranch_execz .LBB1_7
.LBB1_24:
	v_add_u32_e32 v5, s2, v0
	v_lshrrev_b32_e32 v4, 24, v4
	v_add_u32_e32 v0, 0x100, v0
	global_store_byte v5, v4, s[10:11]
	s_or_b64 exec, exec, s[0:1]
	v_cmp_gt_i32_e32 vcc, s3, v0
	s_and_saveexec_b64 s[0:1], vcc
	s_cbranch_execz .LBB1_8
.LBB1_25:
	v_add_u32_e32 v4, s2, v0
	v_add_u32_e32 v0, 0x100, v0
	global_store_byte v4, v3, s[10:11]
	s_or_b64 exec, exec, s[0:1]
	v_cmp_gt_i32_e32 vcc, s3, v0
	s_and_saveexec_b64 s[0:1], vcc
	s_cbranch_execz .LBB1_9
.LBB1_26:
	v_add_u32_e32 v4, s2, v0
	v_lshrrev_b32_e32 v5, 8, v3
	v_add_u32_e32 v0, 0x100, v0
	global_store_byte v4, v5, s[10:11]
	s_or_b64 exec, exec, s[0:1]
	v_cmp_gt_i32_e32 vcc, s3, v0
	s_and_saveexec_b64 s[0:1], vcc
	s_cbranch_execz .LBB1_10
.LBB1_27:
	v_add_u32_e32 v4, s2, v0
	v_add_u32_e32 v0, 0x100, v0
	global_store_byte_d16_hi v4, v3, s[10:11]
	s_or_b64 exec, exec, s[0:1]
	v_cmp_gt_i32_e32 vcc, s3, v0
	s_and_saveexec_b64 s[0:1], vcc
	s_cbranch_execz .LBB1_11
.LBB1_28:
	v_add_u32_e32 v4, s2, v0
	v_lshrrev_b32_e32 v3, 24, v3
	v_add_u32_e32 v0, 0x100, v0
	global_store_byte v4, v3, s[10:11]
	s_or_b64 exec, exec, s[0:1]
	v_cmp_gt_i32_e32 vcc, s3, v0
	s_and_saveexec_b64 s[0:1], vcc
	s_cbranch_execz .LBB1_12
.LBB1_29:
	v_add_u32_e32 v3, s2, v0
	v_add_u32_e32 v0, 0x100, v0
	global_store_byte v3, v2, s[10:11]
	s_or_b64 exec, exec, s[0:1]
	v_cmp_gt_i32_e32 vcc, s3, v0
	s_and_saveexec_b64 s[0:1], vcc
	s_cbranch_execz .LBB1_13
.LBB1_30:
	v_add_u32_e32 v3, s2, v0
	v_lshrrev_b32_e32 v4, 8, v2
	v_add_u32_e32 v0, 0x100, v0
	global_store_byte v3, v4, s[10:11]
	s_or_b64 exec, exec, s[0:1]
	v_cmp_gt_i32_e32 vcc, s3, v0
	s_and_saveexec_b64 s[0:1], vcc
	s_cbranch_execz .LBB1_14
.LBB1_31:
	v_add_u32_e32 v3, s2, v0
	v_add_u32_e32 v0, 0x100, v0
	global_store_byte_d16_hi v3, v2, s[10:11]
	s_or_b64 exec, exec, s[0:1]
	v_cmp_gt_i32_e32 vcc, s3, v0
	s_and_saveexec_b64 s[0:1], vcc
	s_cbranch_execz .LBB1_15
.LBB1_32:
	v_add_u32_e32 v3, s2, v0
	v_lshrrev_b32_e32 v2, 24, v2
	v_add_u32_e32 v0, 0x100, v0
	global_store_byte v3, v2, s[10:11]
	s_or_b64 exec, exec, s[0:1]
	v_cmp_gt_i32_e32 vcc, s3, v0
	s_and_saveexec_b64 s[0:1], vcc
	s_cbranch_execz .LBB1_16
.LBB1_33:
	v_add_u32_e32 v2, s2, v0
	v_add_u32_e32 v0, 0x100, v0
	global_store_byte v2, v1, s[10:11]
	s_or_b64 exec, exec, s[0:1]
	v_cmp_gt_i32_e32 vcc, s3, v0
	s_and_saveexec_b64 s[0:1], vcc
	s_cbranch_execz .LBB1_17
.LBB1_34:
	v_add_u32_e32 v2, s2, v0
	v_lshrrev_b32_e32 v3, 8, v1
	v_add_u32_e32 v0, 0x100, v0
	global_store_byte v2, v3, s[10:11]
	s_or_b64 exec, exec, s[0:1]
	v_cmp_gt_i32_e32 vcc, s3, v0
	s_and_saveexec_b64 s[0:1], vcc
	s_cbranch_execz .LBB1_18
.LBB1_35:
	v_add_u32_e32 v2, s2, v0
	v_add_u32_e32 v0, 0x100, v0
	global_store_byte_d16_hi v2, v1, s[10:11]
	s_or_b64 exec, exec, s[0:1]
	v_cmp_gt_i32_e32 vcc, s3, v0
	s_and_saveexec_b64 s[0:1], vcc
	s_cbranch_execnz .LBB1_19
	s_branch .LBB1_20
	.section	.rodata,"a",@progbits
	.p2align	6, 0x0
	.amdhsa_kernel _ZN2at6native29vectorized_elementwise_kernelILi8ENS0_11FillFunctorIhEESt5arrayIPcLm1EEEEviT0_T1_
		.amdhsa_group_segment_fixed_size 0
		.amdhsa_private_segment_fixed_size 0
		.amdhsa_kernarg_size 16
		.amdhsa_user_sgpr_count 6
		.amdhsa_user_sgpr_private_segment_buffer 1
		.amdhsa_user_sgpr_dispatch_ptr 0
		.amdhsa_user_sgpr_queue_ptr 0
		.amdhsa_user_sgpr_kernarg_segment_ptr 1
		.amdhsa_user_sgpr_dispatch_id 0
		.amdhsa_user_sgpr_flat_scratch_init 0
		.amdhsa_user_sgpr_kernarg_preload_length 0
		.amdhsa_user_sgpr_kernarg_preload_offset 0
		.amdhsa_user_sgpr_private_segment_size 0
		.amdhsa_uses_dynamic_stack 0
		.amdhsa_system_sgpr_private_segment_wavefront_offset 0
		.amdhsa_system_sgpr_workgroup_id_x 1
		.amdhsa_system_sgpr_workgroup_id_y 0
		.amdhsa_system_sgpr_workgroup_id_z 0
		.amdhsa_system_sgpr_workgroup_info 0
		.amdhsa_system_vgpr_workitem_id 0
		.amdhsa_next_free_vgpr 14
		.amdhsa_next_free_sgpr 12
		.amdhsa_accum_offset 16
		.amdhsa_reserve_vcc 1
		.amdhsa_reserve_flat_scratch 0
		.amdhsa_float_round_mode_32 0
		.amdhsa_float_round_mode_16_64 0
		.amdhsa_float_denorm_mode_32 3
		.amdhsa_float_denorm_mode_16_64 3
		.amdhsa_dx10_clamp 1
		.amdhsa_ieee_mode 1
		.amdhsa_fp16_overflow 0
		.amdhsa_tg_split 0
		.amdhsa_exception_fp_ieee_invalid_op 0
		.amdhsa_exception_fp_denorm_src 0
		.amdhsa_exception_fp_ieee_div_zero 0
		.amdhsa_exception_fp_ieee_overflow 0
		.amdhsa_exception_fp_ieee_underflow 0
		.amdhsa_exception_fp_ieee_inexact 0
		.amdhsa_exception_int_div_zero 0
	.end_amdhsa_kernel
	.section	.text._ZN2at6native29vectorized_elementwise_kernelILi8ENS0_11FillFunctorIhEESt5arrayIPcLm1EEEEviT0_T1_,"axG",@progbits,_ZN2at6native29vectorized_elementwise_kernelILi8ENS0_11FillFunctorIhEESt5arrayIPcLm1EEEEviT0_T1_,comdat
.Lfunc_end1:
	.size	_ZN2at6native29vectorized_elementwise_kernelILi8ENS0_11FillFunctorIhEESt5arrayIPcLm1EEEEviT0_T1_, .Lfunc_end1-_ZN2at6native29vectorized_elementwise_kernelILi8ENS0_11FillFunctorIhEESt5arrayIPcLm1EEEEviT0_T1_
                                        ; -- End function
	.section	.AMDGPU.csdata,"",@progbits
; Kernel info:
; codeLenInByte = 1488
; NumSgprs: 16
; NumVgprs: 14
; NumAgprs: 0
; TotalNumVgprs: 14
; ScratchSize: 0
; MemoryBound: 0
; FloatMode: 240
; IeeeMode: 1
; LDSByteSize: 0 bytes/workgroup (compile time only)
; SGPRBlocks: 1
; VGPRBlocks: 1
; NumSGPRsForWavesPerEU: 16
; NumVGPRsForWavesPerEU: 14
; AccumOffset: 16
; Occupancy: 8
; WaveLimiterHint : 1
; COMPUTE_PGM_RSRC2:SCRATCH_EN: 0
; COMPUTE_PGM_RSRC2:USER_SGPR: 6
; COMPUTE_PGM_RSRC2:TRAP_HANDLER: 0
; COMPUTE_PGM_RSRC2:TGID_X_EN: 1
; COMPUTE_PGM_RSRC2:TGID_Y_EN: 0
; COMPUTE_PGM_RSRC2:TGID_Z_EN: 0
; COMPUTE_PGM_RSRC2:TIDIG_COMP_CNT: 0
; COMPUTE_PGM_RSRC3_GFX90A:ACCUM_OFFSET: 3
; COMPUTE_PGM_RSRC3_GFX90A:TG_SPLIT: 0
	.section	.text._ZN2at6native29vectorized_elementwise_kernelILi4ENS0_11FillFunctorIhEESt5arrayIPcLm1EEEEviT0_T1_,"axG",@progbits,_ZN2at6native29vectorized_elementwise_kernelILi4ENS0_11FillFunctorIhEESt5arrayIPcLm1EEEEviT0_T1_,comdat
	.protected	_ZN2at6native29vectorized_elementwise_kernelILi4ENS0_11FillFunctorIhEESt5arrayIPcLm1EEEEviT0_T1_ ; -- Begin function _ZN2at6native29vectorized_elementwise_kernelILi4ENS0_11FillFunctorIhEESt5arrayIPcLm1EEEEviT0_T1_
	.globl	_ZN2at6native29vectorized_elementwise_kernelILi4ENS0_11FillFunctorIhEESt5arrayIPcLm1EEEEviT0_T1_
	.p2align	8
	.type	_ZN2at6native29vectorized_elementwise_kernelILi4ENS0_11FillFunctorIhEESt5arrayIPcLm1EEEEviT0_T1_,@function
_ZN2at6native29vectorized_elementwise_kernelILi4ENS0_11FillFunctorIhEESt5arrayIPcLm1EEEEviT0_T1_: ; @_ZN2at6native29vectorized_elementwise_kernelILi4ENS0_11FillFunctorIhEESt5arrayIPcLm1EEEEviT0_T1_
; %bb.0:
	s_load_dwordx4 s[8:11], s[4:5], 0x0
	s_lshl_b32 s2, s6, 12
	s_mov_b64 s[0:1], -1
	s_waitcnt lgkmcnt(0)
	s_sub_i32 s3, s8, s2
	s_cmpk_gt_i32 s3, 0xfff
	s_cbranch_scc0 .LBB2_2
; %bb.1:
	s_ashr_i32 s1, s2, 31
	s_add_u32 s0, s10, s2
	s_addc_u32 s1, s11, s1
	s_and_b32 s4, s9, 0xff
	s_mul_i32 s4, s4, 0x1010101
	v_lshlrev_b32_e32 v1, 2, v0
	v_mov_b32_e32 v2, s4
	global_store_dword v1, v2, s[0:1]
	global_store_dword v1, v2, s[0:1] offset:1024
	global_store_dword v1, v2, s[0:1] offset:2048
	;; [unrolled: 1-line block ×3, first 2 shown]
	s_mov_b64 s[0:1], 0
.LBB2_2:
	s_andn2_b64 vcc, exec, s[0:1]
	s_cbranch_vccnz .LBB2_20
; %bb.3:
	v_lshlrev_b16_e64 v1, 8, s9
	v_or_b32_e32 v5, 0x100, v0
	v_or_b32_sdwa v2, s9, v1 dst_sel:DWORD dst_unused:UNUSED_PAD src0_sel:BYTE_0 src1_sel:DWORD
	v_mov_b32_e32 v3, 0xffff
	v_and_b32_e32 v2, 0xffff, v2
	v_and_b32_sdwa v6, s9, v3 dst_sel:DWORD dst_unused:UNUSED_PAD src0_sel:BYTE_0 src1_sel:DWORD
	v_cmp_gt_i32_e64 s[0:1], s3, v5
	v_mov_b32_e32 v7, 16
	v_cndmask_b32_e64 v3, v6, v2, s[0:1]
	v_or_b32_e32 v4, 0x200, v0
	v_lshlrev_b32_sdwa v7, v7, s9 dst_sel:DWORD dst_unused:UNUSED_PAD src0_sel:DWORD src1_sel:BYTE_0
	v_or_b32_e32 v8, v3, v7
	v_cmp_gt_i32_e64 s[0:1], s3, v4
	s_movk_i32 s4, 0xff
	v_cndmask_b32_e64 v3, v3, v8, s[0:1]
	v_and_b32_sdwa v4, v3, s4 dst_sel:DWORD dst_unused:UNUSED_PAD src0_sel:WORD_1 src1_sel:DWORD
	s_mov_b32 s5, 0xffff
	v_or_b32_e32 v8, 0x300, v0
	v_or_b32_sdwa v4, v4, v1 dst_sel:WORD_1 dst_unused:UNUSED_PAD src0_sel:DWORD src1_sel:DWORD
	v_and_or_b32 v4, v3, s5, v4
	v_cmp_gt_i32_e64 s[0:1], s3, v8
	v_cndmask_b32_e64 v4, v3, v4, s[0:1]
	v_mov_b32_e32 v3, 0x3020104
	v_perm_b32 v8, s9, 0, v3
	v_or_b32_e32 v3, 0x400, v0
	v_cmp_gt_i32_e64 s[0:1], s3, v3
	v_cndmask_b32_e64 v3, 0, v8, s[0:1]
	v_mov_b32_e32 v9, 0x7060004
	v_or_b32_e32 v11, 0x500, v0
	v_perm_b32 v10, v3, s9, v9
	v_cmp_gt_i32_e64 s[0:1], s3, v11
	v_cndmask_b32_e64 v3, v3, v10, s[0:1]
	v_or_b32_e32 v10, 0x600, v0
	v_mov_b32_e32 v11, 0x7000504
	v_perm_b32 v12, v3, s9, v11
	v_cmp_gt_i32_e64 s[0:1], s3, v10
	v_cndmask_b32_e64 v3, v3, v12, s[0:1]
	v_or_b32_e32 v10, 0x700, v0
	v_mov_b32_e32 v12, 0x60504
	v_perm_b32 v13, v3, s9, v12
	v_cmp_gt_i32_e64 s[0:1], s3, v10
	v_or_b32_e32 v10, 0x900, v0
	v_cndmask_b32_e64 v3, v3, v13, s[0:1]
	v_cmp_gt_i32_e64 s[0:1], s3, v10
	v_cndmask_b32_e64 v2, v6, v2, s[0:1]
	v_or_b32_e32 v6, 0xa00, v0
	v_or_b32_e32 v7, v2, v7
	v_cmp_gt_i32_e64 s[0:1], s3, v6
	v_cndmask_b32_e64 v2, v2, v7, s[0:1]
	v_and_b32_sdwa v6, v2, s4 dst_sel:DWORD dst_unused:UNUSED_PAD src0_sel:WORD_1 src1_sel:DWORD
	v_or_b32_e32 v7, 0xb00, v0
	v_or_b32_sdwa v1, v6, v1 dst_sel:WORD_1 dst_unused:UNUSED_PAD src0_sel:DWORD src1_sel:DWORD
	v_and_or_b32 v1, v2, s5, v1
	v_cmp_gt_i32_e64 s[0:1], s3, v7
	v_cndmask_b32_e64 v2, v2, v1, s[0:1]
	v_or_b32_e32 v1, 0xc00, v0
	v_cmp_gt_i32_e64 s[0:1], s3, v1
	v_cndmask_b32_e64 v1, 0, v8, s[0:1]
	v_or_b32_e32 v7, 0xd00, v0
	v_perm_b32 v6, v1, s9, v9
	v_cmp_gt_i32_e64 s[0:1], s3, v7
	v_cndmask_b32_e64 v1, v1, v6, s[0:1]
	v_or_b32_e32 v6, 0xe00, v0
	v_perm_b32 v7, v1, s9, v11
	;; [unrolled: 4-line block ×3, first 2 shown]
	v_cmp_gt_i32_e64 s[0:1], s3, v6
	v_cmp_gt_i32_e32 vcc, s3, v0
	v_cndmask_b32_e64 v1, v1, v7, s[0:1]
	s_and_saveexec_b64 s[0:1], vcc
	s_cbranch_execnz .LBB2_21
; %bb.4:
	s_or_b64 exec, exec, s[0:1]
	v_cmp_gt_i32_e32 vcc, s3, v0
	s_and_saveexec_b64 s[0:1], vcc
	s_cbranch_execnz .LBB2_22
.LBB2_5:
	s_or_b64 exec, exec, s[0:1]
	v_cmp_gt_i32_e32 vcc, s3, v0
	s_and_saveexec_b64 s[0:1], vcc
	s_cbranch_execnz .LBB2_23
.LBB2_6:
	s_or_b64 exec, exec, s[0:1]
	v_cmp_gt_i32_e32 vcc, s3, v0
	s_and_saveexec_b64 s[0:1], vcc
	s_cbranch_execnz .LBB2_24
.LBB2_7:
	s_or_b64 exec, exec, s[0:1]
	v_cmp_gt_i32_e32 vcc, s3, v0
	s_and_saveexec_b64 s[0:1], vcc
	s_cbranch_execnz .LBB2_25
.LBB2_8:
	s_or_b64 exec, exec, s[0:1]
	v_cmp_gt_i32_e32 vcc, s3, v0
	s_and_saveexec_b64 s[0:1], vcc
	s_cbranch_execnz .LBB2_26
.LBB2_9:
	s_or_b64 exec, exec, s[0:1]
	v_cmp_gt_i32_e32 vcc, s3, v0
	s_and_saveexec_b64 s[0:1], vcc
	s_cbranch_execnz .LBB2_27
.LBB2_10:
	s_or_b64 exec, exec, s[0:1]
	v_cmp_gt_i32_e32 vcc, s3, v0
	s_and_saveexec_b64 s[0:1], vcc
	s_cbranch_execnz .LBB2_28
.LBB2_11:
	s_or_b64 exec, exec, s[0:1]
	v_cmp_gt_i32_e32 vcc, s3, v0
	s_and_saveexec_b64 s[0:1], vcc
	s_cbranch_execnz .LBB2_29
.LBB2_12:
	s_or_b64 exec, exec, s[0:1]
	v_cmp_gt_i32_e32 vcc, s3, v0
	s_and_saveexec_b64 s[0:1], vcc
	s_cbranch_execnz .LBB2_30
.LBB2_13:
	s_or_b64 exec, exec, s[0:1]
	v_cmp_gt_i32_e32 vcc, s3, v0
	s_and_saveexec_b64 s[0:1], vcc
	s_cbranch_execnz .LBB2_31
.LBB2_14:
	s_or_b64 exec, exec, s[0:1]
	v_cmp_gt_i32_e32 vcc, s3, v0
	s_and_saveexec_b64 s[0:1], vcc
	s_cbranch_execnz .LBB2_32
.LBB2_15:
	s_or_b64 exec, exec, s[0:1]
	v_cmp_gt_i32_e32 vcc, s3, v0
	s_and_saveexec_b64 s[0:1], vcc
	s_cbranch_execnz .LBB2_33
.LBB2_16:
	s_or_b64 exec, exec, s[0:1]
	v_cmp_gt_i32_e32 vcc, s3, v0
	s_and_saveexec_b64 s[0:1], vcc
	s_cbranch_execnz .LBB2_34
.LBB2_17:
	s_or_b64 exec, exec, s[0:1]
	v_cmp_gt_i32_e32 vcc, s3, v0
	s_and_saveexec_b64 s[0:1], vcc
	s_cbranch_execnz .LBB2_35
.LBB2_18:
	s_or_b64 exec, exec, s[0:1]
	v_cmp_gt_i32_e32 vcc, s3, v0
	s_and_saveexec_b64 s[0:1], vcc
	s_cbranch_execz .LBB2_20
.LBB2_19:
	v_add_u32_e32 v0, s2, v0
	v_lshrrev_b32_e32 v1, 24, v1
	global_store_byte v0, v1, s[10:11]
.LBB2_20:
	s_endpgm
.LBB2_21:
	v_or_b32_e32 v0, s2, v0
	global_store_byte v0, v4, s[10:11]
	v_mov_b32_e32 v0, v5
	s_or_b64 exec, exec, s[0:1]
	v_cmp_gt_i32_e32 vcc, s3, v0
	s_and_saveexec_b64 s[0:1], vcc
	s_cbranch_execz .LBB2_5
.LBB2_22:
	v_add_u32_e32 v5, s2, v0
	v_lshrrev_b32_e32 v6, 8, v4
	v_add_u32_e32 v0, 0x100, v0
	global_store_byte v5, v6, s[10:11]
	s_or_b64 exec, exec, s[0:1]
	v_cmp_gt_i32_e32 vcc, s3, v0
	s_and_saveexec_b64 s[0:1], vcc
	s_cbranch_execz .LBB2_6
.LBB2_23:
	v_add_u32_e32 v5, s2, v0
	v_add_u32_e32 v0, 0x100, v0
	global_store_byte_d16_hi v5, v4, s[10:11]
	s_or_b64 exec, exec, s[0:1]
	v_cmp_gt_i32_e32 vcc, s3, v0
	s_and_saveexec_b64 s[0:1], vcc
	s_cbranch_execz .LBB2_7
.LBB2_24:
	v_add_u32_e32 v5, s2, v0
	v_lshrrev_b32_e32 v4, 24, v4
	v_add_u32_e32 v0, 0x100, v0
	global_store_byte v5, v4, s[10:11]
	s_or_b64 exec, exec, s[0:1]
	v_cmp_gt_i32_e32 vcc, s3, v0
	s_and_saveexec_b64 s[0:1], vcc
	s_cbranch_execz .LBB2_8
.LBB2_25:
	v_add_u32_e32 v4, s2, v0
	v_add_u32_e32 v0, 0x100, v0
	global_store_byte v4, v3, s[10:11]
	s_or_b64 exec, exec, s[0:1]
	v_cmp_gt_i32_e32 vcc, s3, v0
	s_and_saveexec_b64 s[0:1], vcc
	s_cbranch_execz .LBB2_9
.LBB2_26:
	v_add_u32_e32 v4, s2, v0
	v_lshrrev_b32_e32 v5, 8, v3
	v_add_u32_e32 v0, 0x100, v0
	global_store_byte v4, v5, s[10:11]
	s_or_b64 exec, exec, s[0:1]
	v_cmp_gt_i32_e32 vcc, s3, v0
	s_and_saveexec_b64 s[0:1], vcc
	s_cbranch_execz .LBB2_10
.LBB2_27:
	v_add_u32_e32 v4, s2, v0
	v_add_u32_e32 v0, 0x100, v0
	global_store_byte_d16_hi v4, v3, s[10:11]
	s_or_b64 exec, exec, s[0:1]
	v_cmp_gt_i32_e32 vcc, s3, v0
	s_and_saveexec_b64 s[0:1], vcc
	s_cbranch_execz .LBB2_11
.LBB2_28:
	v_add_u32_e32 v4, s2, v0
	v_lshrrev_b32_e32 v3, 24, v3
	v_add_u32_e32 v0, 0x100, v0
	global_store_byte v4, v3, s[10:11]
	s_or_b64 exec, exec, s[0:1]
	v_cmp_gt_i32_e32 vcc, s3, v0
	s_and_saveexec_b64 s[0:1], vcc
	s_cbranch_execz .LBB2_12
.LBB2_29:
	v_add_u32_e32 v3, s2, v0
	v_add_u32_e32 v0, 0x100, v0
	global_store_byte v3, v2, s[10:11]
	s_or_b64 exec, exec, s[0:1]
	v_cmp_gt_i32_e32 vcc, s3, v0
	s_and_saveexec_b64 s[0:1], vcc
	s_cbranch_execz .LBB2_13
.LBB2_30:
	v_add_u32_e32 v3, s2, v0
	v_lshrrev_b32_e32 v4, 8, v2
	v_add_u32_e32 v0, 0x100, v0
	global_store_byte v3, v4, s[10:11]
	s_or_b64 exec, exec, s[0:1]
	v_cmp_gt_i32_e32 vcc, s3, v0
	s_and_saveexec_b64 s[0:1], vcc
	s_cbranch_execz .LBB2_14
.LBB2_31:
	v_add_u32_e32 v3, s2, v0
	v_add_u32_e32 v0, 0x100, v0
	global_store_byte_d16_hi v3, v2, s[10:11]
	s_or_b64 exec, exec, s[0:1]
	v_cmp_gt_i32_e32 vcc, s3, v0
	s_and_saveexec_b64 s[0:1], vcc
	s_cbranch_execz .LBB2_15
.LBB2_32:
	v_add_u32_e32 v3, s2, v0
	v_lshrrev_b32_e32 v2, 24, v2
	v_add_u32_e32 v0, 0x100, v0
	global_store_byte v3, v2, s[10:11]
	s_or_b64 exec, exec, s[0:1]
	v_cmp_gt_i32_e32 vcc, s3, v0
	s_and_saveexec_b64 s[0:1], vcc
	s_cbranch_execz .LBB2_16
.LBB2_33:
	v_add_u32_e32 v2, s2, v0
	v_add_u32_e32 v0, 0x100, v0
	global_store_byte v2, v1, s[10:11]
	s_or_b64 exec, exec, s[0:1]
	v_cmp_gt_i32_e32 vcc, s3, v0
	s_and_saveexec_b64 s[0:1], vcc
	s_cbranch_execz .LBB2_17
.LBB2_34:
	v_add_u32_e32 v2, s2, v0
	v_lshrrev_b32_e32 v3, 8, v1
	v_add_u32_e32 v0, 0x100, v0
	global_store_byte v2, v3, s[10:11]
	s_or_b64 exec, exec, s[0:1]
	v_cmp_gt_i32_e32 vcc, s3, v0
	s_and_saveexec_b64 s[0:1], vcc
	s_cbranch_execz .LBB2_18
.LBB2_35:
	v_add_u32_e32 v2, s2, v0
	v_add_u32_e32 v0, 0x100, v0
	global_store_byte_d16_hi v2, v1, s[10:11]
	s_or_b64 exec, exec, s[0:1]
	v_cmp_gt_i32_e32 vcc, s3, v0
	s_and_saveexec_b64 s[0:1], vcc
	s_cbranch_execnz .LBB2_19
	s_branch .LBB2_20
	.section	.rodata,"a",@progbits
	.p2align	6, 0x0
	.amdhsa_kernel _ZN2at6native29vectorized_elementwise_kernelILi4ENS0_11FillFunctorIhEESt5arrayIPcLm1EEEEviT0_T1_
		.amdhsa_group_segment_fixed_size 0
		.amdhsa_private_segment_fixed_size 0
		.amdhsa_kernarg_size 16
		.amdhsa_user_sgpr_count 6
		.amdhsa_user_sgpr_private_segment_buffer 1
		.amdhsa_user_sgpr_dispatch_ptr 0
		.amdhsa_user_sgpr_queue_ptr 0
		.amdhsa_user_sgpr_kernarg_segment_ptr 1
		.amdhsa_user_sgpr_dispatch_id 0
		.amdhsa_user_sgpr_flat_scratch_init 0
		.amdhsa_user_sgpr_kernarg_preload_length 0
		.amdhsa_user_sgpr_kernarg_preload_offset 0
		.amdhsa_user_sgpr_private_segment_size 0
		.amdhsa_uses_dynamic_stack 0
		.amdhsa_system_sgpr_private_segment_wavefront_offset 0
		.amdhsa_system_sgpr_workgroup_id_x 1
		.amdhsa_system_sgpr_workgroup_id_y 0
		.amdhsa_system_sgpr_workgroup_id_z 0
		.amdhsa_system_sgpr_workgroup_info 0
		.amdhsa_system_vgpr_workitem_id 0
		.amdhsa_next_free_vgpr 14
		.amdhsa_next_free_sgpr 12
		.amdhsa_accum_offset 16
		.amdhsa_reserve_vcc 1
		.amdhsa_reserve_flat_scratch 0
		.amdhsa_float_round_mode_32 0
		.amdhsa_float_round_mode_16_64 0
		.amdhsa_float_denorm_mode_32 3
		.amdhsa_float_denorm_mode_16_64 3
		.amdhsa_dx10_clamp 1
		.amdhsa_ieee_mode 1
		.amdhsa_fp16_overflow 0
		.amdhsa_tg_split 0
		.amdhsa_exception_fp_ieee_invalid_op 0
		.amdhsa_exception_fp_denorm_src 0
		.amdhsa_exception_fp_ieee_div_zero 0
		.amdhsa_exception_fp_ieee_overflow 0
		.amdhsa_exception_fp_ieee_underflow 0
		.amdhsa_exception_fp_ieee_inexact 0
		.amdhsa_exception_int_div_zero 0
	.end_amdhsa_kernel
	.section	.text._ZN2at6native29vectorized_elementwise_kernelILi4ENS0_11FillFunctorIhEESt5arrayIPcLm1EEEEviT0_T1_,"axG",@progbits,_ZN2at6native29vectorized_elementwise_kernelILi4ENS0_11FillFunctorIhEESt5arrayIPcLm1EEEEviT0_T1_,comdat
.Lfunc_end2:
	.size	_ZN2at6native29vectorized_elementwise_kernelILi4ENS0_11FillFunctorIhEESt5arrayIPcLm1EEEEviT0_T1_, .Lfunc_end2-_ZN2at6native29vectorized_elementwise_kernelILi4ENS0_11FillFunctorIhEESt5arrayIPcLm1EEEEviT0_T1_
                                        ; -- End function
	.section	.AMDGPU.csdata,"",@progbits
; Kernel info:
; codeLenInByte = 1496
; NumSgprs: 16
; NumVgprs: 14
; NumAgprs: 0
; TotalNumVgprs: 14
; ScratchSize: 0
; MemoryBound: 0
; FloatMode: 240
; IeeeMode: 1
; LDSByteSize: 0 bytes/workgroup (compile time only)
; SGPRBlocks: 1
; VGPRBlocks: 1
; NumSGPRsForWavesPerEU: 16
; NumVGPRsForWavesPerEU: 14
; AccumOffset: 16
; Occupancy: 8
; WaveLimiterHint : 1
; COMPUTE_PGM_RSRC2:SCRATCH_EN: 0
; COMPUTE_PGM_RSRC2:USER_SGPR: 6
; COMPUTE_PGM_RSRC2:TRAP_HANDLER: 0
; COMPUTE_PGM_RSRC2:TGID_X_EN: 1
; COMPUTE_PGM_RSRC2:TGID_Y_EN: 0
; COMPUTE_PGM_RSRC2:TGID_Z_EN: 0
; COMPUTE_PGM_RSRC2:TIDIG_COMP_CNT: 0
; COMPUTE_PGM_RSRC3_GFX90A:ACCUM_OFFSET: 3
; COMPUTE_PGM_RSRC3_GFX90A:TG_SPLIT: 0
	.section	.text._ZN2at6native29vectorized_elementwise_kernelILi2ENS0_11FillFunctorIhEESt5arrayIPcLm1EEEEviT0_T1_,"axG",@progbits,_ZN2at6native29vectorized_elementwise_kernelILi2ENS0_11FillFunctorIhEESt5arrayIPcLm1EEEEviT0_T1_,comdat
	.protected	_ZN2at6native29vectorized_elementwise_kernelILi2ENS0_11FillFunctorIhEESt5arrayIPcLm1EEEEviT0_T1_ ; -- Begin function _ZN2at6native29vectorized_elementwise_kernelILi2ENS0_11FillFunctorIhEESt5arrayIPcLm1EEEEviT0_T1_
	.globl	_ZN2at6native29vectorized_elementwise_kernelILi2ENS0_11FillFunctorIhEESt5arrayIPcLm1EEEEviT0_T1_
	.p2align	8
	.type	_ZN2at6native29vectorized_elementwise_kernelILi2ENS0_11FillFunctorIhEESt5arrayIPcLm1EEEEviT0_T1_,@function
_ZN2at6native29vectorized_elementwise_kernelILi2ENS0_11FillFunctorIhEESt5arrayIPcLm1EEEEviT0_T1_: ; @_ZN2at6native29vectorized_elementwise_kernelILi2ENS0_11FillFunctorIhEESt5arrayIPcLm1EEEEviT0_T1_
; %bb.0:
	s_load_dwordx4 s[8:11], s[4:5], 0x0
	s_lshl_b32 s2, s6, 12
	s_mov_b64 s[0:1], -1
	s_waitcnt lgkmcnt(0)
	s_sub_i32 s3, s8, s2
	s_cmpk_gt_i32 s3, 0xfff
	s_cbranch_scc0 .LBB3_2
; %bb.1:
	s_ashr_i32 s1, s2, 31
	s_add_u32 s0, s10, s2
	v_mov_b32_e32 v2, 0x101
	s_addc_u32 s1, s11, s1
	v_lshlrev_b32_e32 v1, 1, v0
	v_mul_lo_u16_sdwa v2, s9, v2 dst_sel:DWORD dst_unused:UNUSED_PAD src0_sel:BYTE_0 src1_sel:DWORD
	global_store_short v1, v2, s[0:1]
	global_store_short v1, v2, s[0:1] offset:512
	global_store_short v1, v2, s[0:1] offset:1024
	;; [unrolled: 1-line block ×7, first 2 shown]
	s_mov_b64 s[0:1], 0
.LBB3_2:
	s_andn2_b64 vcc, exec, s[0:1]
	s_cbranch_vccnz .LBB3_20
; %bb.3:
	v_lshlrev_b16_e64 v1, 8, s9
	v_or_b32_e32 v5, 0x100, v0
	v_or_b32_sdwa v2, s9, v1 dst_sel:DWORD dst_unused:UNUSED_PAD src0_sel:BYTE_0 src1_sel:DWORD
	v_mov_b32_e32 v3, 0xffff
	v_and_b32_e32 v2, 0xffff, v2
	v_and_b32_sdwa v6, s9, v3 dst_sel:DWORD dst_unused:UNUSED_PAD src0_sel:BYTE_0 src1_sel:DWORD
	v_cmp_gt_i32_e64 s[0:1], s3, v5
	v_mov_b32_e32 v7, 16
	v_cndmask_b32_e64 v3, v6, v2, s[0:1]
	v_or_b32_e32 v4, 0x200, v0
	v_lshlrev_b32_sdwa v7, v7, s9 dst_sel:DWORD dst_unused:UNUSED_PAD src0_sel:DWORD src1_sel:BYTE_0
	v_or_b32_e32 v8, v3, v7
	v_cmp_gt_i32_e64 s[0:1], s3, v4
	s_movk_i32 s4, 0xff
	v_cndmask_b32_e64 v3, v3, v8, s[0:1]
	v_and_b32_sdwa v4, v3, s4 dst_sel:DWORD dst_unused:UNUSED_PAD src0_sel:WORD_1 src1_sel:DWORD
	s_mov_b32 s5, 0xffff
	v_or_b32_e32 v8, 0x300, v0
	v_or_b32_sdwa v4, v4, v1 dst_sel:WORD_1 dst_unused:UNUSED_PAD src0_sel:DWORD src1_sel:DWORD
	v_and_or_b32 v4, v3, s5, v4
	v_cmp_gt_i32_e64 s[0:1], s3, v8
	v_cndmask_b32_e64 v4, v3, v4, s[0:1]
	v_mov_b32_e32 v3, 0x3020104
	v_perm_b32 v8, s9, 0, v3
	v_or_b32_e32 v3, 0x400, v0
	v_cmp_gt_i32_e64 s[0:1], s3, v3
	v_cndmask_b32_e64 v3, 0, v8, s[0:1]
	v_mov_b32_e32 v9, 0x7060004
	v_or_b32_e32 v11, 0x500, v0
	v_perm_b32 v10, v3, s9, v9
	v_cmp_gt_i32_e64 s[0:1], s3, v11
	v_cndmask_b32_e64 v3, v3, v10, s[0:1]
	v_or_b32_e32 v10, 0x600, v0
	v_mov_b32_e32 v11, 0x7000504
	v_perm_b32 v12, v3, s9, v11
	v_cmp_gt_i32_e64 s[0:1], s3, v10
	v_cndmask_b32_e64 v3, v3, v12, s[0:1]
	v_or_b32_e32 v10, 0x700, v0
	v_mov_b32_e32 v12, 0x60504
	v_perm_b32 v13, v3, s9, v12
	v_cmp_gt_i32_e64 s[0:1], s3, v10
	v_or_b32_e32 v10, 0x900, v0
	v_cndmask_b32_e64 v3, v3, v13, s[0:1]
	v_cmp_gt_i32_e64 s[0:1], s3, v10
	v_cndmask_b32_e64 v2, v6, v2, s[0:1]
	v_or_b32_e32 v6, 0xa00, v0
	v_or_b32_e32 v7, v2, v7
	v_cmp_gt_i32_e64 s[0:1], s3, v6
	v_cndmask_b32_e64 v2, v2, v7, s[0:1]
	v_and_b32_sdwa v6, v2, s4 dst_sel:DWORD dst_unused:UNUSED_PAD src0_sel:WORD_1 src1_sel:DWORD
	v_or_b32_e32 v7, 0xb00, v0
	v_or_b32_sdwa v1, v6, v1 dst_sel:WORD_1 dst_unused:UNUSED_PAD src0_sel:DWORD src1_sel:DWORD
	v_and_or_b32 v1, v2, s5, v1
	v_cmp_gt_i32_e64 s[0:1], s3, v7
	v_cndmask_b32_e64 v2, v2, v1, s[0:1]
	v_or_b32_e32 v1, 0xc00, v0
	v_cmp_gt_i32_e64 s[0:1], s3, v1
	v_cndmask_b32_e64 v1, 0, v8, s[0:1]
	v_or_b32_e32 v7, 0xd00, v0
	v_perm_b32 v6, v1, s9, v9
	v_cmp_gt_i32_e64 s[0:1], s3, v7
	v_cndmask_b32_e64 v1, v1, v6, s[0:1]
	v_or_b32_e32 v6, 0xe00, v0
	v_perm_b32 v7, v1, s9, v11
	;; [unrolled: 4-line block ×3, first 2 shown]
	v_cmp_gt_i32_e64 s[0:1], s3, v6
	v_cmp_gt_i32_e32 vcc, s3, v0
	v_cndmask_b32_e64 v1, v1, v7, s[0:1]
	s_and_saveexec_b64 s[0:1], vcc
	s_cbranch_execnz .LBB3_21
; %bb.4:
	s_or_b64 exec, exec, s[0:1]
	v_cmp_gt_i32_e32 vcc, s3, v0
	s_and_saveexec_b64 s[0:1], vcc
	s_cbranch_execnz .LBB3_22
.LBB3_5:
	s_or_b64 exec, exec, s[0:1]
	v_cmp_gt_i32_e32 vcc, s3, v0
	s_and_saveexec_b64 s[0:1], vcc
	s_cbranch_execnz .LBB3_23
.LBB3_6:
	s_or_b64 exec, exec, s[0:1]
	v_cmp_gt_i32_e32 vcc, s3, v0
	s_and_saveexec_b64 s[0:1], vcc
	s_cbranch_execnz .LBB3_24
.LBB3_7:
	s_or_b64 exec, exec, s[0:1]
	v_cmp_gt_i32_e32 vcc, s3, v0
	s_and_saveexec_b64 s[0:1], vcc
	s_cbranch_execnz .LBB3_25
.LBB3_8:
	s_or_b64 exec, exec, s[0:1]
	v_cmp_gt_i32_e32 vcc, s3, v0
	s_and_saveexec_b64 s[0:1], vcc
	s_cbranch_execnz .LBB3_26
.LBB3_9:
	s_or_b64 exec, exec, s[0:1]
	v_cmp_gt_i32_e32 vcc, s3, v0
	s_and_saveexec_b64 s[0:1], vcc
	s_cbranch_execnz .LBB3_27
.LBB3_10:
	s_or_b64 exec, exec, s[0:1]
	v_cmp_gt_i32_e32 vcc, s3, v0
	s_and_saveexec_b64 s[0:1], vcc
	s_cbranch_execnz .LBB3_28
.LBB3_11:
	s_or_b64 exec, exec, s[0:1]
	v_cmp_gt_i32_e32 vcc, s3, v0
	s_and_saveexec_b64 s[0:1], vcc
	s_cbranch_execnz .LBB3_29
.LBB3_12:
	s_or_b64 exec, exec, s[0:1]
	v_cmp_gt_i32_e32 vcc, s3, v0
	s_and_saveexec_b64 s[0:1], vcc
	s_cbranch_execnz .LBB3_30
.LBB3_13:
	s_or_b64 exec, exec, s[0:1]
	v_cmp_gt_i32_e32 vcc, s3, v0
	s_and_saveexec_b64 s[0:1], vcc
	s_cbranch_execnz .LBB3_31
.LBB3_14:
	s_or_b64 exec, exec, s[0:1]
	v_cmp_gt_i32_e32 vcc, s3, v0
	s_and_saveexec_b64 s[0:1], vcc
	s_cbranch_execnz .LBB3_32
.LBB3_15:
	s_or_b64 exec, exec, s[0:1]
	v_cmp_gt_i32_e32 vcc, s3, v0
	s_and_saveexec_b64 s[0:1], vcc
	s_cbranch_execnz .LBB3_33
.LBB3_16:
	s_or_b64 exec, exec, s[0:1]
	v_cmp_gt_i32_e32 vcc, s3, v0
	s_and_saveexec_b64 s[0:1], vcc
	s_cbranch_execnz .LBB3_34
.LBB3_17:
	s_or_b64 exec, exec, s[0:1]
	v_cmp_gt_i32_e32 vcc, s3, v0
	s_and_saveexec_b64 s[0:1], vcc
	s_cbranch_execnz .LBB3_35
.LBB3_18:
	s_or_b64 exec, exec, s[0:1]
	v_cmp_gt_i32_e32 vcc, s3, v0
	s_and_saveexec_b64 s[0:1], vcc
	s_cbranch_execz .LBB3_20
.LBB3_19:
	v_add_u32_e32 v0, s2, v0
	v_lshrrev_b32_e32 v1, 24, v1
	global_store_byte v0, v1, s[10:11]
.LBB3_20:
	s_endpgm
.LBB3_21:
	v_or_b32_e32 v0, s2, v0
	global_store_byte v0, v4, s[10:11]
	v_mov_b32_e32 v0, v5
	s_or_b64 exec, exec, s[0:1]
	v_cmp_gt_i32_e32 vcc, s3, v0
	s_and_saveexec_b64 s[0:1], vcc
	s_cbranch_execz .LBB3_5
.LBB3_22:
	v_add_u32_e32 v5, s2, v0
	v_lshrrev_b32_e32 v6, 8, v4
	v_add_u32_e32 v0, 0x100, v0
	global_store_byte v5, v6, s[10:11]
	s_or_b64 exec, exec, s[0:1]
	v_cmp_gt_i32_e32 vcc, s3, v0
	s_and_saveexec_b64 s[0:1], vcc
	s_cbranch_execz .LBB3_6
.LBB3_23:
	v_add_u32_e32 v5, s2, v0
	v_add_u32_e32 v0, 0x100, v0
	global_store_byte_d16_hi v5, v4, s[10:11]
	s_or_b64 exec, exec, s[0:1]
	v_cmp_gt_i32_e32 vcc, s3, v0
	s_and_saveexec_b64 s[0:1], vcc
	s_cbranch_execz .LBB3_7
.LBB3_24:
	v_add_u32_e32 v5, s2, v0
	v_lshrrev_b32_e32 v4, 24, v4
	v_add_u32_e32 v0, 0x100, v0
	global_store_byte v5, v4, s[10:11]
	s_or_b64 exec, exec, s[0:1]
	v_cmp_gt_i32_e32 vcc, s3, v0
	s_and_saveexec_b64 s[0:1], vcc
	s_cbranch_execz .LBB3_8
.LBB3_25:
	v_add_u32_e32 v4, s2, v0
	v_add_u32_e32 v0, 0x100, v0
	global_store_byte v4, v3, s[10:11]
	s_or_b64 exec, exec, s[0:1]
	v_cmp_gt_i32_e32 vcc, s3, v0
	s_and_saveexec_b64 s[0:1], vcc
	s_cbranch_execz .LBB3_9
.LBB3_26:
	v_add_u32_e32 v4, s2, v0
	v_lshrrev_b32_e32 v5, 8, v3
	v_add_u32_e32 v0, 0x100, v0
	global_store_byte v4, v5, s[10:11]
	s_or_b64 exec, exec, s[0:1]
	v_cmp_gt_i32_e32 vcc, s3, v0
	s_and_saveexec_b64 s[0:1], vcc
	s_cbranch_execz .LBB3_10
.LBB3_27:
	v_add_u32_e32 v4, s2, v0
	v_add_u32_e32 v0, 0x100, v0
	global_store_byte_d16_hi v4, v3, s[10:11]
	s_or_b64 exec, exec, s[0:1]
	v_cmp_gt_i32_e32 vcc, s3, v0
	s_and_saveexec_b64 s[0:1], vcc
	s_cbranch_execz .LBB3_11
.LBB3_28:
	v_add_u32_e32 v4, s2, v0
	v_lshrrev_b32_e32 v3, 24, v3
	v_add_u32_e32 v0, 0x100, v0
	global_store_byte v4, v3, s[10:11]
	s_or_b64 exec, exec, s[0:1]
	v_cmp_gt_i32_e32 vcc, s3, v0
	s_and_saveexec_b64 s[0:1], vcc
	s_cbranch_execz .LBB3_12
.LBB3_29:
	v_add_u32_e32 v3, s2, v0
	v_add_u32_e32 v0, 0x100, v0
	global_store_byte v3, v2, s[10:11]
	s_or_b64 exec, exec, s[0:1]
	v_cmp_gt_i32_e32 vcc, s3, v0
	s_and_saveexec_b64 s[0:1], vcc
	s_cbranch_execz .LBB3_13
.LBB3_30:
	v_add_u32_e32 v3, s2, v0
	v_lshrrev_b32_e32 v4, 8, v2
	v_add_u32_e32 v0, 0x100, v0
	global_store_byte v3, v4, s[10:11]
	s_or_b64 exec, exec, s[0:1]
	v_cmp_gt_i32_e32 vcc, s3, v0
	s_and_saveexec_b64 s[0:1], vcc
	s_cbranch_execz .LBB3_14
.LBB3_31:
	v_add_u32_e32 v3, s2, v0
	v_add_u32_e32 v0, 0x100, v0
	global_store_byte_d16_hi v3, v2, s[10:11]
	s_or_b64 exec, exec, s[0:1]
	v_cmp_gt_i32_e32 vcc, s3, v0
	s_and_saveexec_b64 s[0:1], vcc
	s_cbranch_execz .LBB3_15
.LBB3_32:
	v_add_u32_e32 v3, s2, v0
	v_lshrrev_b32_e32 v2, 24, v2
	v_add_u32_e32 v0, 0x100, v0
	global_store_byte v3, v2, s[10:11]
	s_or_b64 exec, exec, s[0:1]
	v_cmp_gt_i32_e32 vcc, s3, v0
	s_and_saveexec_b64 s[0:1], vcc
	s_cbranch_execz .LBB3_16
.LBB3_33:
	v_add_u32_e32 v2, s2, v0
	v_add_u32_e32 v0, 0x100, v0
	global_store_byte v2, v1, s[10:11]
	s_or_b64 exec, exec, s[0:1]
	v_cmp_gt_i32_e32 vcc, s3, v0
	s_and_saveexec_b64 s[0:1], vcc
	s_cbranch_execz .LBB3_17
.LBB3_34:
	v_add_u32_e32 v2, s2, v0
	v_lshrrev_b32_e32 v3, 8, v1
	v_add_u32_e32 v0, 0x100, v0
	global_store_byte v2, v3, s[10:11]
	s_or_b64 exec, exec, s[0:1]
	v_cmp_gt_i32_e32 vcc, s3, v0
	s_and_saveexec_b64 s[0:1], vcc
	s_cbranch_execz .LBB3_18
.LBB3_35:
	v_add_u32_e32 v2, s2, v0
	v_add_u32_e32 v0, 0x100, v0
	global_store_byte_d16_hi v2, v1, s[10:11]
	s_or_b64 exec, exec, s[0:1]
	v_cmp_gt_i32_e32 vcc, s3, v0
	s_and_saveexec_b64 s[0:1], vcc
	s_cbranch_execnz .LBB3_19
	s_branch .LBB3_20
	.section	.rodata,"a",@progbits
	.p2align	6, 0x0
	.amdhsa_kernel _ZN2at6native29vectorized_elementwise_kernelILi2ENS0_11FillFunctorIhEESt5arrayIPcLm1EEEEviT0_T1_
		.amdhsa_group_segment_fixed_size 0
		.amdhsa_private_segment_fixed_size 0
		.amdhsa_kernarg_size 16
		.amdhsa_user_sgpr_count 6
		.amdhsa_user_sgpr_private_segment_buffer 1
		.amdhsa_user_sgpr_dispatch_ptr 0
		.amdhsa_user_sgpr_queue_ptr 0
		.amdhsa_user_sgpr_kernarg_segment_ptr 1
		.amdhsa_user_sgpr_dispatch_id 0
		.amdhsa_user_sgpr_flat_scratch_init 0
		.amdhsa_user_sgpr_kernarg_preload_length 0
		.amdhsa_user_sgpr_kernarg_preload_offset 0
		.amdhsa_user_sgpr_private_segment_size 0
		.amdhsa_uses_dynamic_stack 0
		.amdhsa_system_sgpr_private_segment_wavefront_offset 0
		.amdhsa_system_sgpr_workgroup_id_x 1
		.amdhsa_system_sgpr_workgroup_id_y 0
		.amdhsa_system_sgpr_workgroup_id_z 0
		.amdhsa_system_sgpr_workgroup_info 0
		.amdhsa_system_vgpr_workitem_id 0
		.amdhsa_next_free_vgpr 14
		.amdhsa_next_free_sgpr 12
		.amdhsa_accum_offset 16
		.amdhsa_reserve_vcc 1
		.amdhsa_reserve_flat_scratch 0
		.amdhsa_float_round_mode_32 0
		.amdhsa_float_round_mode_16_64 0
		.amdhsa_float_denorm_mode_32 3
		.amdhsa_float_denorm_mode_16_64 3
		.amdhsa_dx10_clamp 1
		.amdhsa_ieee_mode 1
		.amdhsa_fp16_overflow 0
		.amdhsa_tg_split 0
		.amdhsa_exception_fp_ieee_invalid_op 0
		.amdhsa_exception_fp_denorm_src 0
		.amdhsa_exception_fp_ieee_div_zero 0
		.amdhsa_exception_fp_ieee_overflow 0
		.amdhsa_exception_fp_ieee_underflow 0
		.amdhsa_exception_fp_ieee_inexact 0
		.amdhsa_exception_int_div_zero 0
	.end_amdhsa_kernel
	.section	.text._ZN2at6native29vectorized_elementwise_kernelILi2ENS0_11FillFunctorIhEESt5arrayIPcLm1EEEEviT0_T1_,"axG",@progbits,_ZN2at6native29vectorized_elementwise_kernelILi2ENS0_11FillFunctorIhEESt5arrayIPcLm1EEEEviT0_T1_,comdat
.Lfunc_end3:
	.size	_ZN2at6native29vectorized_elementwise_kernelILi2ENS0_11FillFunctorIhEESt5arrayIPcLm1EEEEviT0_T1_, .Lfunc_end3-_ZN2at6native29vectorized_elementwise_kernelILi2ENS0_11FillFunctorIhEESt5arrayIPcLm1EEEEviT0_T1_
                                        ; -- End function
	.section	.AMDGPU.csdata,"",@progbits
; Kernel info:
; codeLenInByte = 1524
; NumSgprs: 16
; NumVgprs: 14
; NumAgprs: 0
; TotalNumVgprs: 14
; ScratchSize: 0
; MemoryBound: 0
; FloatMode: 240
; IeeeMode: 1
; LDSByteSize: 0 bytes/workgroup (compile time only)
; SGPRBlocks: 1
; VGPRBlocks: 1
; NumSGPRsForWavesPerEU: 16
; NumVGPRsForWavesPerEU: 14
; AccumOffset: 16
; Occupancy: 8
; WaveLimiterHint : 1
; COMPUTE_PGM_RSRC2:SCRATCH_EN: 0
; COMPUTE_PGM_RSRC2:USER_SGPR: 6
; COMPUTE_PGM_RSRC2:TRAP_HANDLER: 0
; COMPUTE_PGM_RSRC2:TGID_X_EN: 1
; COMPUTE_PGM_RSRC2:TGID_Y_EN: 0
; COMPUTE_PGM_RSRC2:TGID_Z_EN: 0
; COMPUTE_PGM_RSRC2:TIDIG_COMP_CNT: 0
; COMPUTE_PGM_RSRC3_GFX90A:ACCUM_OFFSET: 3
; COMPUTE_PGM_RSRC3_GFX90A:TG_SPLIT: 0
	.section	.text._ZN2at6native27unrolled_elementwise_kernelINS0_11FillFunctorIhEESt5arrayIPcLm1EELi4E23TrivialOffsetCalculatorILi0EjES7_ILi1EjENS0_6memory15LoadWithoutCastENSA_16StoreWithoutCastEEEviT_T0_T2_T3_T4_T5_,"axG",@progbits,_ZN2at6native27unrolled_elementwise_kernelINS0_11FillFunctorIhEESt5arrayIPcLm1EELi4E23TrivialOffsetCalculatorILi0EjES7_ILi1EjENS0_6memory15LoadWithoutCastENSA_16StoreWithoutCastEEEviT_T0_T2_T3_T4_T5_,comdat
	.protected	_ZN2at6native27unrolled_elementwise_kernelINS0_11FillFunctorIhEESt5arrayIPcLm1EELi4E23TrivialOffsetCalculatorILi0EjES7_ILi1EjENS0_6memory15LoadWithoutCastENSA_16StoreWithoutCastEEEviT_T0_T2_T3_T4_T5_ ; -- Begin function _ZN2at6native27unrolled_elementwise_kernelINS0_11FillFunctorIhEESt5arrayIPcLm1EELi4E23TrivialOffsetCalculatorILi0EjES7_ILi1EjENS0_6memory15LoadWithoutCastENSA_16StoreWithoutCastEEEviT_T0_T2_T3_T4_T5_
	.globl	_ZN2at6native27unrolled_elementwise_kernelINS0_11FillFunctorIhEESt5arrayIPcLm1EELi4E23TrivialOffsetCalculatorILi0EjES7_ILi1EjENS0_6memory15LoadWithoutCastENSA_16StoreWithoutCastEEEviT_T0_T2_T3_T4_T5_
	.p2align	8
	.type	_ZN2at6native27unrolled_elementwise_kernelINS0_11FillFunctorIhEESt5arrayIPcLm1EELi4E23TrivialOffsetCalculatorILi0EjES7_ILi1EjENS0_6memory15LoadWithoutCastENSA_16StoreWithoutCastEEEviT_T0_T2_T3_T4_T5_,@function
_ZN2at6native27unrolled_elementwise_kernelINS0_11FillFunctorIhEESt5arrayIPcLm1EELi4E23TrivialOffsetCalculatorILi0EjES7_ILi1EjENS0_6memory15LoadWithoutCastENSA_16StoreWithoutCastEEEviT_T0_T2_T3_T4_T5_: ; @_ZN2at6native27unrolled_elementwise_kernelINS0_11FillFunctorIhEESt5arrayIPcLm1EELi4E23TrivialOffsetCalculatorILi0EjES7_ILi1EjENS0_6memory15LoadWithoutCastENSA_16StoreWithoutCastEEEviT_T0_T2_T3_T4_T5_
; %bb.0:
	s_load_dwordx4 s[8:11], s[4:5], 0x0
	s_lshl_b32 s2, s6, 10
	s_mov_b32 s5, 0xffff
	v_or_b32_e32 v5, 0x200, v0
	s_movk_i32 s4, 0xff
	s_waitcnt lgkmcnt(0)
	v_lshlrev_b16_e64 v1, 8, s9
	s_and_b32 s0, s9, 0xffff0000
	v_or_b32_sdwa v2, s9, v1 dst_sel:DWORD dst_unused:UNUSED_PAD src0_sel:BYTE_0 src1_sel:DWORD
	v_or_b32_sdwa v3, v2, s0 dst_sel:DWORD dst_unused:UNUSED_PAD src0_sel:WORD_0 src1_sel:DWORD
	s_sub_i32 s3, s8, s2
	v_or_b32_e32 v2, 0x100, v0
	v_mov_b32_e32 v4, s9
	v_cmp_gt_i32_e64 s[0:1], s3, v2
	v_cndmask_b32_e64 v3, v4, v3, s[0:1]
	s_movk_i32 s0, 0xff00
	v_and_b32_sdwa v4, v3, s0 dst_sel:DWORD dst_unused:UNUSED_PAD src0_sel:WORD_1 src1_sel:DWORD
	v_or_b32_sdwa v4, s9, v4 dst_sel:WORD_1 dst_unused:UNUSED_PAD src0_sel:BYTE_0 src1_sel:DWORD
	v_and_or_b32 v4, v3, s5, v4
	v_cmp_gt_i32_e64 s[0:1], s3, v5
	v_cndmask_b32_e64 v3, v3, v4, s[0:1]
	v_and_b32_sdwa v4, v3, s4 dst_sel:DWORD dst_unused:UNUSED_PAD src0_sel:WORD_1 src1_sel:DWORD
	v_or_b32_e32 v5, 0x300, v0
	v_or_b32_sdwa v1, v4, v1 dst_sel:WORD_1 dst_unused:UNUSED_PAD src0_sel:DWORD src1_sel:DWORD
	v_and_or_b32 v1, v3, s5, v1
	v_cmp_gt_i32_e64 s[0:1], s3, v5
	v_cmp_gt_i32_e32 vcc, s3, v0
	v_cndmask_b32_e64 v1, v3, v1, s[0:1]
	s_and_saveexec_b64 s[0:1], vcc
	s_cbranch_execnz .LBB4_5
; %bb.1:
	s_or_b64 exec, exec, s[0:1]
	v_cmp_gt_i32_e32 vcc, s3, v0
	s_and_saveexec_b64 s[0:1], vcc
	s_cbranch_execnz .LBB4_6
.LBB4_2:
	s_or_b64 exec, exec, s[0:1]
	v_cmp_gt_i32_e32 vcc, s3, v0
	s_and_saveexec_b64 s[0:1], vcc
	s_cbranch_execnz .LBB4_7
.LBB4_3:
	s_or_b64 exec, exec, s[0:1]
	v_cmp_gt_i32_e32 vcc, s3, v0
	s_and_saveexec_b64 s[0:1], vcc
	s_cbranch_execnz .LBB4_8
.LBB4_4:
	s_endpgm
.LBB4_5:
	v_or_b32_e32 v0, s2, v0
	global_store_byte v0, v1, s[10:11]
	v_mov_b32_e32 v0, v2
	s_or_b64 exec, exec, s[0:1]
	v_cmp_gt_i32_e32 vcc, s3, v0
	s_and_saveexec_b64 s[0:1], vcc
	s_cbranch_execz .LBB4_2
.LBB4_6:
	v_add_u32_e32 v2, 0x100, v0
	v_lshrrev_b32_e32 v3, 8, v1
	v_add_u32_e32 v0, s2, v0
	global_store_byte v0, v3, s[10:11]
	v_mov_b32_e32 v0, v2
	s_or_b64 exec, exec, s[0:1]
	v_cmp_gt_i32_e32 vcc, s3, v0
	s_and_saveexec_b64 s[0:1], vcc
	s_cbranch_execz .LBB4_3
.LBB4_7:
	v_add_u32_e32 v2, 0x100, v0
	v_add_u32_e32 v0, s2, v0
	global_store_byte_d16_hi v0, v1, s[10:11]
	v_mov_b32_e32 v0, v2
	s_or_b64 exec, exec, s[0:1]
	v_cmp_gt_i32_e32 vcc, s3, v0
	s_and_saveexec_b64 s[0:1], vcc
	s_cbranch_execz .LBB4_4
.LBB4_8:
	v_lshrrev_b32_e32 v1, 24, v1
	v_add_u32_e32 v0, s2, v0
	global_store_byte v0, v1, s[10:11]
	s_endpgm
	.section	.rodata,"a",@progbits
	.p2align	6, 0x0
	.amdhsa_kernel _ZN2at6native27unrolled_elementwise_kernelINS0_11FillFunctorIhEESt5arrayIPcLm1EELi4E23TrivialOffsetCalculatorILi0EjES7_ILi1EjENS0_6memory15LoadWithoutCastENSA_16StoreWithoutCastEEEviT_T0_T2_T3_T4_T5_
		.amdhsa_group_segment_fixed_size 0
		.amdhsa_private_segment_fixed_size 0
		.amdhsa_kernarg_size 20
		.amdhsa_user_sgpr_count 6
		.amdhsa_user_sgpr_private_segment_buffer 1
		.amdhsa_user_sgpr_dispatch_ptr 0
		.amdhsa_user_sgpr_queue_ptr 0
		.amdhsa_user_sgpr_kernarg_segment_ptr 1
		.amdhsa_user_sgpr_dispatch_id 0
		.amdhsa_user_sgpr_flat_scratch_init 0
		.amdhsa_user_sgpr_kernarg_preload_length 0
		.amdhsa_user_sgpr_kernarg_preload_offset 0
		.amdhsa_user_sgpr_private_segment_size 0
		.amdhsa_uses_dynamic_stack 0
		.amdhsa_system_sgpr_private_segment_wavefront_offset 0
		.amdhsa_system_sgpr_workgroup_id_x 1
		.amdhsa_system_sgpr_workgroup_id_y 0
		.amdhsa_system_sgpr_workgroup_id_z 0
		.amdhsa_system_sgpr_workgroup_info 0
		.amdhsa_system_vgpr_workitem_id 0
		.amdhsa_next_free_vgpr 6
		.amdhsa_next_free_sgpr 12
		.amdhsa_accum_offset 8
		.amdhsa_reserve_vcc 1
		.amdhsa_reserve_flat_scratch 0
		.amdhsa_float_round_mode_32 0
		.amdhsa_float_round_mode_16_64 0
		.amdhsa_float_denorm_mode_32 3
		.amdhsa_float_denorm_mode_16_64 3
		.amdhsa_dx10_clamp 1
		.amdhsa_ieee_mode 1
		.amdhsa_fp16_overflow 0
		.amdhsa_tg_split 0
		.amdhsa_exception_fp_ieee_invalid_op 0
		.amdhsa_exception_fp_denorm_src 0
		.amdhsa_exception_fp_ieee_div_zero 0
		.amdhsa_exception_fp_ieee_overflow 0
		.amdhsa_exception_fp_ieee_underflow 0
		.amdhsa_exception_fp_ieee_inexact 0
		.amdhsa_exception_int_div_zero 0
	.end_amdhsa_kernel
	.section	.text._ZN2at6native27unrolled_elementwise_kernelINS0_11FillFunctorIhEESt5arrayIPcLm1EELi4E23TrivialOffsetCalculatorILi0EjES7_ILi1EjENS0_6memory15LoadWithoutCastENSA_16StoreWithoutCastEEEviT_T0_T2_T3_T4_T5_,"axG",@progbits,_ZN2at6native27unrolled_elementwise_kernelINS0_11FillFunctorIhEESt5arrayIPcLm1EELi4E23TrivialOffsetCalculatorILi0EjES7_ILi1EjENS0_6memory15LoadWithoutCastENSA_16StoreWithoutCastEEEviT_T0_T2_T3_T4_T5_,comdat
.Lfunc_end4:
	.size	_ZN2at6native27unrolled_elementwise_kernelINS0_11FillFunctorIhEESt5arrayIPcLm1EELi4E23TrivialOffsetCalculatorILi0EjES7_ILi1EjENS0_6memory15LoadWithoutCastENSA_16StoreWithoutCastEEEviT_T0_T2_T3_T4_T5_, .Lfunc_end4-_ZN2at6native27unrolled_elementwise_kernelINS0_11FillFunctorIhEESt5arrayIPcLm1EELi4E23TrivialOffsetCalculatorILi0EjES7_ILi1EjENS0_6memory15LoadWithoutCastENSA_16StoreWithoutCastEEEviT_T0_T2_T3_T4_T5_
                                        ; -- End function
	.section	.AMDGPU.csdata,"",@progbits
; Kernel info:
; codeLenInByte = 392
; NumSgprs: 16
; NumVgprs: 6
; NumAgprs: 0
; TotalNumVgprs: 6
; ScratchSize: 0
; MemoryBound: 0
; FloatMode: 240
; IeeeMode: 1
; LDSByteSize: 0 bytes/workgroup (compile time only)
; SGPRBlocks: 1
; VGPRBlocks: 0
; NumSGPRsForWavesPerEU: 16
; NumVGPRsForWavesPerEU: 6
; AccumOffset: 8
; Occupancy: 8
; WaveLimiterHint : 0
; COMPUTE_PGM_RSRC2:SCRATCH_EN: 0
; COMPUTE_PGM_RSRC2:USER_SGPR: 6
; COMPUTE_PGM_RSRC2:TRAP_HANDLER: 0
; COMPUTE_PGM_RSRC2:TGID_X_EN: 1
; COMPUTE_PGM_RSRC2:TGID_Y_EN: 0
; COMPUTE_PGM_RSRC2:TGID_Z_EN: 0
; COMPUTE_PGM_RSRC2:TIDIG_COMP_CNT: 0
; COMPUTE_PGM_RSRC3_GFX90A:ACCUM_OFFSET: 1
; COMPUTE_PGM_RSRC3_GFX90A:TG_SPLIT: 0
	.section	.text._ZN2at6native32elementwise_kernel_manual_unrollILi128ELi8EZNS0_22gpu_kernel_impl_nocastINS0_11FillFunctorIhEEEEvRNS_18TensorIteratorBaseERKT_EUlibE_EEviT1_,"axG",@progbits,_ZN2at6native32elementwise_kernel_manual_unrollILi128ELi8EZNS0_22gpu_kernel_impl_nocastINS0_11FillFunctorIhEEEEvRNS_18TensorIteratorBaseERKT_EUlibE_EEviT1_,comdat
	.protected	_ZN2at6native32elementwise_kernel_manual_unrollILi128ELi8EZNS0_22gpu_kernel_impl_nocastINS0_11FillFunctorIhEEEEvRNS_18TensorIteratorBaseERKT_EUlibE_EEviT1_ ; -- Begin function _ZN2at6native32elementwise_kernel_manual_unrollILi128ELi8EZNS0_22gpu_kernel_impl_nocastINS0_11FillFunctorIhEEEEvRNS_18TensorIteratorBaseERKT_EUlibE_EEviT1_
	.globl	_ZN2at6native32elementwise_kernel_manual_unrollILi128ELi8EZNS0_22gpu_kernel_impl_nocastINS0_11FillFunctorIhEEEEvRNS_18TensorIteratorBaseERKT_EUlibE_EEviT1_
	.p2align	8
	.type	_ZN2at6native32elementwise_kernel_manual_unrollILi128ELi8EZNS0_22gpu_kernel_impl_nocastINS0_11FillFunctorIhEEEEvRNS_18TensorIteratorBaseERKT_EUlibE_EEviT1_,@function
_ZN2at6native32elementwise_kernel_manual_unrollILi128ELi8EZNS0_22gpu_kernel_impl_nocastINS0_11FillFunctorIhEEEEvRNS_18TensorIteratorBaseERKT_EUlibE_EEviT1_: ; @_ZN2at6native32elementwise_kernel_manual_unrollILi128ELi8EZNS0_22gpu_kernel_impl_nocastINS0_11FillFunctorIhEEEEvRNS_18TensorIteratorBaseERKT_EUlibE_EEviT1_
; %bb.0:
	s_load_dword s48, s[4:5], 0x0
	s_load_dword s33, s[4:5], 0x8
	s_or_b32 s4, s4, 8
	v_lshl_or_b32 v12, s6, 10, v0
	v_or_b32_e32 v16, 0x380, v12
	s_waitcnt lgkmcnt(0)
	v_cmp_le_i32_e32 vcc, s48, v16
	s_add_i32 s46, s33, -1
	s_cmp_gt_u32 s46, 1
	s_cselect_b64 s[6:7], -1, 0
	s_and_saveexec_b64 s[0:1], vcc
	s_xor_b64 s[24:25], exec, s[0:1]
	s_cbranch_execz .LBB5_7
; %bb.1:
	s_load_dwordx4 s[0:3], s[4:5], 0x4
	s_load_dwordx2 s[30:31], s[4:5], 0x14
	s_load_dwordx2 s[28:29], s[4:5], 0xc4
	;; [unrolled: 1-line block ×3, first 2 shown]
	s_load_dword s47, s[4:5], 0x110
	s_cmp_lg_u32 s33, 0
	s_cselect_b64 s[38:39], -1, 0
	s_add_u32 s36, s4, 0xc4
	s_addc_u32 s37, s5, 0
	s_min_u32 s49, s46, 15
	s_cmp_gt_u32 s33, 1
	s_cselect_b64 s[34:35], -1, 0
	v_cmp_gt_i32_e32 vcc, s48, v12
	s_and_saveexec_b64 s[40:41], vcc
	s_cbranch_execz .LBB5_14
; %bb.2:
	s_andn2_b64 vcc, exec, s[6:7]
	s_cbranch_vccnz .LBB5_21
; %bb.3:
	s_andn2_b64 vcc, exec, s[38:39]
	s_cbranch_vccnz .LBB5_121
; %bb.4:
	s_add_i32 s51, s49, 1
	s_mov_b32 s50, 0
	s_cmp_eq_u32 s46, 2
	v_mov_b32_e32 v0, 0
	s_cbranch_scc1 .LBB5_123
; %bb.5:
	s_and_b32 s50, s51, 28
	s_mov_b32 s52, 0
	v_mov_b32_e32 v0, 0
	s_mov_b64 s[42:43], s[4:5]
	s_mov_b64 s[44:45], s[36:37]
	v_mov_b32_e32 v2, v12
.LBB5_6:                                ; =>This Inner Loop Header: Depth=1
	s_load_dwordx8 s[8:15], s[42:43], 0x4
	s_load_dwordx4 s[16:19], s[42:43], 0x24
	s_load_dwordx4 s[20:23], s[44:45], 0x0
	s_add_u32 s42, s42, 48
	s_addc_u32 s43, s43, 0
	s_waitcnt lgkmcnt(0)
	v_mul_hi_u32 v1, s9, v2
	v_add_u32_e32 v1, v2, v1
	v_lshrrev_b32_e32 v1, s10, v1
	v_mul_lo_u32 v3, v1, s8
	v_mul_hi_u32 v4, s12, v1
	v_sub_u32_e32 v2, v2, v3
	v_add_u32_e32 v3, v1, v4
	v_lshrrev_b32_e32 v3, s13, v3
	v_mul_lo_u32 v4, v3, s11
	v_mul_hi_u32 v5, s15, v3
	v_sub_u32_e32 v1, v1, v4
	v_add_u32_e32 v4, v3, v5
	v_mul_lo_u32 v2, v2, s20
	v_mul_lo_u32 v1, v1, s21
	v_lshrrev_b32_e32 v4, s16, v4
	v_add3_u32 v0, v2, v0, v1
	v_mul_hi_u32 v2, s18, v4
	v_add_u32_e32 v2, v4, v2
	v_mul_lo_u32 v1, v4, s14
	v_lshrrev_b32_e32 v2, s19, v2
	s_add_i32 s52, s52, 4
	v_sub_u32_e32 v1, v3, v1
	v_mul_lo_u32 v3, v2, s17
	s_add_u32 s44, s44, 16
	v_sub_u32_e32 v3, v4, v3
	s_addc_u32 s45, s45, 0
	v_mul_lo_u32 v1, v1, s22
	v_mul_lo_u32 v3, v3, s23
	s_cmp_lg_u32 s50, s52
	v_add3_u32 v0, v1, v0, v3
	s_cbranch_scc1 .LBB5_6
	s_branch .LBB5_124
.LBB5_7:
	s_andn2_saveexec_b64 s[0:1], s[24:25]
	s_cbranch_execz .LBB5_213
.LBB5_8:
	v_cndmask_b32_e64 v0, 0, 1, s[6:7]
	v_cmp_ne_u32_e64 s[0:1], 1, v0
	s_andn2_b64 vcc, exec, s[6:7]
	s_cbranch_vccnz .LBB5_20
; %bb.9:
	s_mov_b32 s24, 0
	s_cmp_eq_u32 s33, 0
	v_mov_b32_e32 v0, 0
	s_cbranch_scc1 .LBB5_26
; %bb.10:
	s_min_u32 s25, s46, 15
	s_add_i32 s25, s25, 1
	s_cmp_eq_u32 s46, 2
	v_mov_b32_e32 v0, 0
	s_cbranch_scc1 .LBB5_23
; %bb.11:
	s_add_u32 s2, s4, 0xc4
	s_addc_u32 s3, s5, 0
	s_and_b32 s24, s25, 28
	s_mov_b32 s26, 0
	v_mov_b32_e32 v0, 0
	s_mov_b64 s[6:7], s[4:5]
	v_mov_b32_e32 v2, v12
.LBB5_12:                               ; =>This Inner Loop Header: Depth=1
	s_load_dwordx8 s[8:15], s[6:7], 0x4
	s_load_dwordx4 s[16:19], s[6:7], 0x24
	s_load_dwordx4 s[20:23], s[2:3], 0x0
	s_add_u32 s6, s6, 48
	s_addc_u32 s7, s7, 0
	s_waitcnt lgkmcnt(0)
	v_mul_hi_u32 v1, s9, v2
	v_add_u32_e32 v1, v2, v1
	v_lshrrev_b32_e32 v1, s10, v1
	v_mul_lo_u32 v3, v1, s8
	v_mul_hi_u32 v4, s12, v1
	v_sub_u32_e32 v2, v2, v3
	v_add_u32_e32 v3, v1, v4
	v_lshrrev_b32_e32 v3, s13, v3
	v_mul_lo_u32 v4, v3, s11
	v_mul_hi_u32 v5, s15, v3
	v_sub_u32_e32 v1, v1, v4
	v_add_u32_e32 v4, v3, v5
	v_mul_lo_u32 v2, v2, s20
	v_mul_lo_u32 v1, v1, s21
	v_lshrrev_b32_e32 v4, s16, v4
	v_add3_u32 v0, v2, v0, v1
	v_mul_hi_u32 v2, s18, v4
	v_add_u32_e32 v2, v4, v2
	v_mul_lo_u32 v1, v4, s14
	v_lshrrev_b32_e32 v2, s19, v2
	s_add_i32 s26, s26, 4
	v_sub_u32_e32 v1, v3, v1
	v_mul_lo_u32 v3, v2, s17
	s_add_u32 s2, s2, 16
	v_sub_u32_e32 v3, v4, v3
	s_addc_u32 s3, s3, 0
	v_mul_lo_u32 v1, v1, s22
	v_mul_lo_u32 v3, v3, s23
	s_cmp_lg_u32 s24, s26
	v_add3_u32 v0, v1, v0, v3
	s_cbranch_scc1 .LBB5_12
; %bb.13:
	s_and_b32 s8, s25, 3
	s_cmp_eq_u32 s8, 0
	s_cbranch_scc0 .LBB5_24
	s_branch .LBB5_26
.LBB5_14:
	s_or_b64 exec, exec, s[40:41]
	v_cmp_gt_i32_e32 vcc, s48, v12
	s_and_saveexec_b64 s[40:41], vcc
	s_cbranch_execz .LBB5_131
.LBB5_15:
	s_andn2_b64 vcc, exec, s[6:7]
	s_cbranch_vccnz .LBB5_22
; %bb.16:
	s_andn2_b64 vcc, exec, s[38:39]
	s_cbranch_vccnz .LBB5_122
; %bb.17:
	s_add_i32 s51, s49, 1
	s_mov_b32 s50, 0
	s_cmp_eq_u32 s46, 2
	v_mov_b32_e32 v0, 0
	s_cbranch_scc1 .LBB5_139
; %bb.18:
	s_and_b32 s50, s51, 28
	s_mov_b32 s52, 0
	v_mov_b32_e32 v0, 0
	s_mov_b64 s[42:43], s[4:5]
	s_mov_b64 s[44:45], s[36:37]
	v_mov_b32_e32 v2, v12
.LBB5_19:                               ; =>This Inner Loop Header: Depth=1
	s_load_dwordx8 s[8:15], s[42:43], 0x4
	s_load_dwordx4 s[16:19], s[42:43], 0x24
	s_load_dwordx4 s[20:23], s[44:45], 0x0
	s_add_u32 s42, s42, 48
	s_addc_u32 s43, s43, 0
	s_waitcnt lgkmcnt(0)
	v_mul_hi_u32 v1, s9, v2
	v_add_u32_e32 v1, v2, v1
	v_lshrrev_b32_e32 v1, s10, v1
	v_mul_lo_u32 v3, v1, s8
	v_mul_hi_u32 v4, s12, v1
	v_sub_u32_e32 v2, v2, v3
	v_add_u32_e32 v3, v1, v4
	v_lshrrev_b32_e32 v3, s13, v3
	v_mul_lo_u32 v4, v3, s11
	v_mul_hi_u32 v5, s15, v3
	v_sub_u32_e32 v1, v1, v4
	v_add_u32_e32 v4, v3, v5
	v_mul_lo_u32 v2, v2, s20
	v_mul_lo_u32 v1, v1, s21
	v_lshrrev_b32_e32 v4, s16, v4
	v_add3_u32 v0, v2, v0, v1
	v_mul_hi_u32 v2, s18, v4
	v_add_u32_e32 v2, v4, v2
	v_mul_lo_u32 v1, v4, s14
	v_lshrrev_b32_e32 v2, s19, v2
	s_add_i32 s52, s52, 4
	v_sub_u32_e32 v1, v3, v1
	v_mul_lo_u32 v3, v2, s17
	s_add_u32 s44, s44, 16
	v_sub_u32_e32 v3, v4, v3
	s_addc_u32 s45, s45, 0
	v_mul_lo_u32 v1, v1, s22
	v_mul_lo_u32 v3, v3, s23
	s_cmp_eq_u32 s50, s52
	v_add3_u32 v0, v1, v0, v3
	s_cbranch_scc0 .LBB5_19
	s_branch .LBB5_140
.LBB5_20:
                                        ; implicit-def: $vgpr0
	s_branch .LBB5_27
.LBB5_21:
                                        ; implicit-def: $vgpr0
	s_branch .LBB5_128
.LBB5_22:
                                        ; implicit-def: $vgpr0
	s_branch .LBB5_144
.LBB5_23:
	v_mov_b32_e32 v2, v12
	s_and_b32 s8, s25, 3
	s_cmp_eq_u32 s8, 0
	s_cbranch_scc1 .LBB5_26
.LBB5_24:
	s_lshl_b32 s2, s24, 2
	s_add_u32 s2, s2, s4
	s_addc_u32 s3, 0, s5
	s_add_u32 s2, s2, 0xc4
	s_addc_u32 s3, s3, 0
	s_mul_i32 s6, s24, 12
	s_add_u32 s6, s4, s6
	s_addc_u32 s7, 0, s5
.LBB5_25:                               ; =>This Inner Loop Header: Depth=1
	s_load_dwordx2 s[10:11], s[6:7], 0x4
	s_load_dword s9, s[6:7], 0xc
	s_load_dword s12, s[2:3], 0x0
	s_add_u32 s6, s6, 12
	s_addc_u32 s7, s7, 0
	s_waitcnt lgkmcnt(0)
	v_mul_hi_u32 v1, s11, v2
	v_add_u32_e32 v1, v2, v1
	v_lshrrev_b32_e32 v1, s9, v1
	s_add_u32 s2, s2, 4
	v_mul_lo_u32 v3, v1, s10
	s_addc_u32 s3, s3, 0
	s_add_i32 s8, s8, -1
	v_sub_u32_e32 v3, v2, v3
	s_cmp_lg_u32 s8, 0
	v_mov_b32_e32 v2, v1
	v_mad_u64_u32 v[0:1], s[10:11], v3, s12, v[0:1]
	s_cbranch_scc1 .LBB5_25
.LBB5_26:
	s_cbranch_execnz .LBB5_29
.LBB5_27:
	s_load_dwordx4 s[8:11], s[4:5], 0x4
	s_load_dword s2, s[4:5], 0xc4
	s_cmp_lt_u32 s33, 2
	s_waitcnt lgkmcnt(0)
	v_mul_hi_u32 v0, s9, v12
	v_add_u32_e32 v0, v12, v0
	v_lshrrev_b32_e32 v1, s10, v0
	v_mul_lo_u32 v0, v1, s8
	v_sub_u32_e32 v0, v12, v0
	v_mul_lo_u32 v0, v0, s2
	s_cbranch_scc1 .LBB5_29
; %bb.28:
	s_load_dwordx4 s[8:11], s[4:5], 0x10
	s_load_dword s2, s[4:5], 0xc8
	s_waitcnt lgkmcnt(0)
	v_mul_hi_u32 v2, s9, v1
	v_add_u32_e32 v2, v1, v2
	v_lshrrev_b32_e32 v2, s10, v2
	v_mul_lo_u32 v2, v2, s8
	v_sub_u32_e32 v1, v1, v2
	v_mad_u64_u32 v[0:1], s[2:3], v1, s2, v[0:1]
.LBB5_29:
	s_and_b64 vcc, exec, s[0:1]
	v_add_u32_e32 v1, 0x80, v12
	s_cbranch_vccnz .LBB5_35
; %bb.30:
	s_mov_b32 s24, 0
	s_cmp_eq_u32 s33, 0
	v_mov_b32_e32 v2, 0
	s_cbranch_scc1 .LBB5_39
; %bb.31:
	s_min_u32 s25, s46, 15
	s_add_i32 s25, s25, 1
	s_cmp_eq_u32 s46, 2
	v_mov_b32_e32 v2, 0
	s_cbranch_scc1 .LBB5_36
; %bb.32:
	s_add_u32 s2, s4, 0xc4
	s_addc_u32 s3, s5, 0
	s_and_b32 s24, s25, 28
	s_mov_b32 s26, 0
	v_mov_b32_e32 v2, 0
	s_mov_b64 s[6:7], s[4:5]
	v_mov_b32_e32 v4, v1
.LBB5_33:                               ; =>This Inner Loop Header: Depth=1
	s_load_dwordx8 s[8:15], s[6:7], 0x4
	s_load_dwordx4 s[16:19], s[6:7], 0x24
	s_load_dwordx4 s[20:23], s[2:3], 0x0
	s_add_u32 s6, s6, 48
	s_addc_u32 s7, s7, 0
	s_waitcnt lgkmcnt(0)
	v_mul_hi_u32 v3, s9, v4
	v_add_u32_e32 v3, v4, v3
	v_lshrrev_b32_e32 v3, s10, v3
	v_mul_lo_u32 v5, v3, s8
	v_mul_hi_u32 v6, s12, v3
	v_sub_u32_e32 v4, v4, v5
	v_add_u32_e32 v5, v3, v6
	v_lshrrev_b32_e32 v5, s13, v5
	v_mul_lo_u32 v6, v5, s11
	v_mul_hi_u32 v7, s15, v5
	v_sub_u32_e32 v3, v3, v6
	v_add_u32_e32 v6, v5, v7
	v_mul_lo_u32 v4, v4, s20
	v_mul_lo_u32 v3, v3, s21
	v_lshrrev_b32_e32 v6, s16, v6
	v_add3_u32 v2, v4, v2, v3
	v_mul_hi_u32 v4, s18, v6
	v_add_u32_e32 v4, v6, v4
	v_mul_lo_u32 v3, v6, s14
	v_lshrrev_b32_e32 v4, s19, v4
	s_add_i32 s26, s26, 4
	v_sub_u32_e32 v3, v5, v3
	v_mul_lo_u32 v5, v4, s17
	s_add_u32 s2, s2, 16
	v_sub_u32_e32 v5, v6, v5
	s_addc_u32 s3, s3, 0
	v_mul_lo_u32 v3, v3, s22
	v_mul_lo_u32 v5, v5, s23
	s_cmp_lg_u32 s24, s26
	v_add3_u32 v2, v3, v2, v5
	s_cbranch_scc1 .LBB5_33
; %bb.34:
	s_and_b32 s8, s25, 3
	s_cmp_eq_u32 s8, 0
	s_cbranch_scc0 .LBB5_37
	s_branch .LBB5_39
.LBB5_35:
                                        ; implicit-def: $vgpr2
	s_branch .LBB5_40
.LBB5_36:
	v_mov_b32_e32 v4, v1
	s_and_b32 s8, s25, 3
	s_cmp_eq_u32 s8, 0
	s_cbranch_scc1 .LBB5_39
.LBB5_37:
	s_lshl_b32 s2, s24, 2
	s_add_u32 s2, s2, s4
	s_addc_u32 s3, 0, s5
	s_add_u32 s2, s2, 0xc4
	s_addc_u32 s3, s3, 0
	s_mul_i32 s6, s24, 12
	s_add_u32 s6, s4, s6
	s_addc_u32 s7, 0, s5
.LBB5_38:                               ; =>This Inner Loop Header: Depth=1
	s_load_dwordx2 s[10:11], s[6:7], 0x4
	s_load_dword s9, s[6:7], 0xc
	s_load_dword s12, s[2:3], 0x0
	s_add_u32 s6, s6, 12
	s_addc_u32 s7, s7, 0
	s_waitcnt lgkmcnt(0)
	v_mul_hi_u32 v3, s11, v4
	v_add_u32_e32 v3, v4, v3
	v_lshrrev_b32_e32 v3, s9, v3
	s_add_u32 s2, s2, 4
	v_mul_lo_u32 v5, v3, s10
	s_addc_u32 s3, s3, 0
	s_add_i32 s8, s8, -1
	v_sub_u32_e32 v5, v4, v5
	s_cmp_lg_u32 s8, 0
	v_mov_b32_e32 v4, v3
	v_mad_u64_u32 v[2:3], s[10:11], v5, s12, v[2:3]
	s_cbranch_scc1 .LBB5_38
.LBB5_39:
	s_cbranch_execnz .LBB5_42
.LBB5_40:
	s_load_dwordx4 s[8:11], s[4:5], 0x4
	s_load_dword s2, s[4:5], 0xc4
	s_cmp_lt_u32 s33, 2
	s_waitcnt lgkmcnt(0)
	v_mul_hi_u32 v2, s9, v1
	v_add_u32_e32 v2, v1, v2
	v_lshrrev_b32_e32 v3, s10, v2
	v_mul_lo_u32 v2, v3, s8
	v_sub_u32_e32 v1, v1, v2
	v_mul_lo_u32 v2, v1, s2
	s_cbranch_scc1 .LBB5_42
; %bb.41:
	s_load_dwordx4 s[8:11], s[4:5], 0x10
	s_load_dword s2, s[4:5], 0xc8
	s_waitcnt lgkmcnt(0)
	v_mul_hi_u32 v1, s9, v3
	v_add_u32_e32 v1, v3, v1
	v_lshrrev_b32_e32 v1, s10, v1
	v_mul_lo_u32 v1, v1, s8
	v_sub_u32_e32 v1, v3, v1
	v_mad_u64_u32 v[2:3], s[2:3], v1, s2, v[2:3]
.LBB5_42:
	s_and_b64 vcc, exec, s[0:1]
	v_add_u32_e32 v1, 0x100, v12
	s_cbranch_vccnz .LBB5_48
; %bb.43:
	s_mov_b32 s24, 0
	s_cmp_eq_u32 s33, 0
	v_mov_b32_e32 v4, 0
	s_cbranch_scc1 .LBB5_52
; %bb.44:
	s_min_u32 s25, s46, 15
	s_add_i32 s25, s25, 1
	s_cmp_eq_u32 s46, 2
	v_mov_b32_e32 v4, 0
	s_cbranch_scc1 .LBB5_49
; %bb.45:
	s_add_u32 s2, s4, 0xc4
	s_addc_u32 s3, s5, 0
	s_and_b32 s24, s25, 28
	s_mov_b32 s26, 0
	v_mov_b32_e32 v4, 0
	s_mov_b64 s[6:7], s[4:5]
	v_mov_b32_e32 v3, v1
.LBB5_46:                               ; =>This Inner Loop Header: Depth=1
	s_load_dwordx8 s[8:15], s[6:7], 0x4
	s_load_dwordx4 s[16:19], s[6:7], 0x24
	s_load_dwordx4 s[20:23], s[2:3], 0x0
	s_add_u32 s6, s6, 48
	s_addc_u32 s7, s7, 0
	s_waitcnt lgkmcnt(0)
	v_mul_hi_u32 v5, s9, v3
	v_add_u32_e32 v5, v3, v5
	v_lshrrev_b32_e32 v5, s10, v5
	v_mul_lo_u32 v6, v5, s8
	v_mul_hi_u32 v7, s12, v5
	v_sub_u32_e32 v3, v3, v6
	v_add_u32_e32 v6, v5, v7
	v_lshrrev_b32_e32 v6, s13, v6
	v_mul_lo_u32 v7, v6, s11
	v_mul_hi_u32 v8, s15, v6
	v_sub_u32_e32 v5, v5, v7
	v_add_u32_e32 v7, v6, v8
	v_mul_lo_u32 v3, v3, s20
	v_mul_lo_u32 v5, v5, s21
	v_lshrrev_b32_e32 v7, s16, v7
	v_add3_u32 v4, v3, v4, v5
	v_mul_lo_u32 v3, v7, s14
	v_mul_hi_u32 v5, s18, v7
	v_sub_u32_e32 v3, v6, v3
	v_add_u32_e32 v5, v7, v5
	v_mul_lo_u32 v6, v3, s22
	v_lshrrev_b32_e32 v3, s19, v5
	s_add_i32 s26, s26, 4
	v_mul_lo_u32 v5, v3, s17
	s_add_u32 s2, s2, 16
	v_sub_u32_e32 v5, v7, v5
	s_addc_u32 s3, s3, 0
	v_mul_lo_u32 v5, v5, s23
	s_cmp_lg_u32 s24, s26
	v_add3_u32 v4, v6, v4, v5
	s_cbranch_scc1 .LBB5_46
; %bb.47:
	s_and_b32 s8, s25, 3
	s_cmp_eq_u32 s8, 0
	s_cbranch_scc0 .LBB5_50
	s_branch .LBB5_52
.LBB5_48:
                                        ; implicit-def: $vgpr4
	s_branch .LBB5_53
.LBB5_49:
	v_mov_b32_e32 v3, v1
	s_and_b32 s8, s25, 3
	s_cmp_eq_u32 s8, 0
	s_cbranch_scc1 .LBB5_52
.LBB5_50:
	s_lshl_b32 s2, s24, 2
	s_add_u32 s2, s2, s4
	s_addc_u32 s3, 0, s5
	s_add_u32 s2, s2, 0xc4
	s_addc_u32 s3, s3, 0
	s_mul_i32 s6, s24, 12
	s_add_u32 s6, s4, s6
	s_addc_u32 s7, 0, s5
.LBB5_51:                               ; =>This Inner Loop Header: Depth=1
	s_load_dwordx2 s[10:11], s[6:7], 0x4
	s_load_dword s9, s[6:7], 0xc
	s_load_dword s12, s[2:3], 0x0
	s_add_u32 s6, s6, 12
	s_addc_u32 s7, s7, 0
	s_waitcnt lgkmcnt(0)
	v_mul_hi_u32 v5, s11, v3
	v_add_u32_e32 v5, v3, v5
	v_lshrrev_b32_e32 v5, s9, v5
	s_add_u32 s2, s2, 4
	v_mul_lo_u32 v6, v5, s10
	s_addc_u32 s3, s3, 0
	s_add_i32 s8, s8, -1
	v_sub_u32_e32 v6, v3, v6
	s_cmp_lg_u32 s8, 0
	v_mov_b32_e32 v3, v5
	v_mad_u64_u32 v[4:5], s[10:11], v6, s12, v[4:5]
	s_cbranch_scc1 .LBB5_51
.LBB5_52:
	s_cbranch_execnz .LBB5_55
.LBB5_53:
	s_load_dwordx4 s[8:11], s[4:5], 0x4
	s_load_dword s2, s[4:5], 0xc4
	s_cmp_lt_u32 s33, 2
	s_waitcnt lgkmcnt(0)
	v_mul_hi_u32 v3, s9, v1
	v_add_u32_e32 v3, v1, v3
	v_lshrrev_b32_e32 v3, s10, v3
	v_mul_lo_u32 v4, v3, s8
	v_sub_u32_e32 v1, v1, v4
	v_mul_lo_u32 v4, v1, s2
	s_cbranch_scc1 .LBB5_55
; %bb.54:
	s_load_dwordx4 s[8:11], s[4:5], 0x10
	s_load_dword s2, s[4:5], 0xc8
	s_waitcnt lgkmcnt(0)
	v_mul_hi_u32 v1, s9, v3
	v_add_u32_e32 v1, v3, v1
	v_lshrrev_b32_e32 v1, s10, v1
	v_mul_lo_u32 v1, v1, s8
	v_sub_u32_e32 v1, v3, v1
	v_mad_u64_u32 v[4:5], s[2:3], v1, s2, v[4:5]
.LBB5_55:
	s_and_b64 vcc, exec, s[0:1]
	v_add_u32_e32 v1, 0x180, v12
	s_cbranch_vccnz .LBB5_61
; %bb.56:
	s_mov_b32 s24, 0
	s_cmp_eq_u32 s33, 0
	v_mov_b32_e32 v6, 0
	s_cbranch_scc1 .LBB5_65
; %bb.57:
	s_min_u32 s25, s46, 15
	s_add_i32 s25, s25, 1
	s_cmp_eq_u32 s46, 2
	v_mov_b32_e32 v6, 0
	s_cbranch_scc1 .LBB5_62
; %bb.58:
	s_add_u32 s2, s4, 0xc4
	s_addc_u32 s3, s5, 0
	s_and_b32 s24, s25, 28
	s_mov_b32 s26, 0
	v_mov_b32_e32 v6, 0
	s_mov_b64 s[6:7], s[4:5]
	v_mov_b32_e32 v3, v1
.LBB5_59:                               ; =>This Inner Loop Header: Depth=1
	s_load_dwordx8 s[8:15], s[6:7], 0x4
	s_load_dwordx4 s[16:19], s[6:7], 0x24
	s_load_dwordx4 s[20:23], s[2:3], 0x0
	s_add_u32 s6, s6, 48
	s_addc_u32 s7, s7, 0
	s_waitcnt lgkmcnt(0)
	v_mul_hi_u32 v5, s9, v3
	v_add_u32_e32 v5, v3, v5
	v_lshrrev_b32_e32 v5, s10, v5
	v_mul_lo_u32 v7, v5, s8
	v_mul_hi_u32 v8, s12, v5
	v_sub_u32_e32 v3, v3, v7
	v_add_u32_e32 v7, v5, v8
	v_lshrrev_b32_e32 v7, s13, v7
	v_mul_lo_u32 v8, v7, s11
	v_mul_hi_u32 v9, s15, v7
	v_sub_u32_e32 v5, v5, v8
	v_add_u32_e32 v8, v7, v9
	v_mul_lo_u32 v3, v3, s20
	v_mul_lo_u32 v5, v5, s21
	v_lshrrev_b32_e32 v8, s16, v8
	v_add3_u32 v5, v3, v6, v5
	v_mul_lo_u32 v3, v8, s14
	v_mul_hi_u32 v6, s18, v8
	v_sub_u32_e32 v3, v7, v3
	v_add_u32_e32 v6, v8, v6
	v_mul_lo_u32 v7, v3, s22
	v_lshrrev_b32_e32 v3, s19, v6
	s_add_i32 s26, s26, 4
	v_mul_lo_u32 v6, v3, s17
	s_add_u32 s2, s2, 16
	v_sub_u32_e32 v6, v8, v6
	s_addc_u32 s3, s3, 0
	v_mul_lo_u32 v6, v6, s23
	s_cmp_lg_u32 s24, s26
	v_add3_u32 v6, v7, v5, v6
	s_cbranch_scc1 .LBB5_59
; %bb.60:
	s_and_b32 s8, s25, 3
	s_cmp_eq_u32 s8, 0
	s_cbranch_scc0 .LBB5_63
	s_branch .LBB5_65
.LBB5_61:
                                        ; implicit-def: $vgpr6
	s_branch .LBB5_66
.LBB5_62:
	v_mov_b32_e32 v3, v1
	s_and_b32 s8, s25, 3
	s_cmp_eq_u32 s8, 0
	s_cbranch_scc1 .LBB5_65
.LBB5_63:
	s_lshl_b32 s2, s24, 2
	s_add_u32 s2, s2, s4
	s_addc_u32 s3, 0, s5
	s_add_u32 s2, s2, 0xc4
	s_addc_u32 s3, s3, 0
	s_mul_i32 s6, s24, 12
	s_add_u32 s6, s4, s6
	s_addc_u32 s7, 0, s5
.LBB5_64:                               ; =>This Inner Loop Header: Depth=1
	s_load_dwordx2 s[10:11], s[6:7], 0x4
	s_load_dword s9, s[6:7], 0xc
	s_load_dword s12, s[2:3], 0x0
	s_add_u32 s6, s6, 12
	s_addc_u32 s7, s7, 0
	s_waitcnt lgkmcnt(0)
	v_mul_hi_u32 v5, s11, v3
	v_add_u32_e32 v5, v3, v5
	v_lshrrev_b32_e32 v5, s9, v5
	s_add_u32 s2, s2, 4
	v_mul_lo_u32 v7, v5, s10
	s_addc_u32 s3, s3, 0
	s_add_i32 s8, s8, -1
	v_sub_u32_e32 v7, v3, v7
	s_cmp_lg_u32 s8, 0
	v_mov_b32_e32 v3, v5
	v_mad_u64_u32 v[6:7], s[10:11], v7, s12, v[6:7]
	s_cbranch_scc1 .LBB5_64
.LBB5_65:
	s_cbranch_execnz .LBB5_68
.LBB5_66:
	s_load_dwordx4 s[8:11], s[4:5], 0x4
	s_load_dword s2, s[4:5], 0xc4
	s_cmp_lt_u32 s33, 2
	s_waitcnt lgkmcnt(0)
	v_mul_hi_u32 v3, s9, v1
	v_add_u32_e32 v3, v1, v3
	v_lshrrev_b32_e32 v3, s10, v3
	v_mul_lo_u32 v5, v3, s8
	v_sub_u32_e32 v1, v1, v5
	v_mul_lo_u32 v6, v1, s2
	s_cbranch_scc1 .LBB5_68
; %bb.67:
	s_load_dwordx4 s[8:11], s[4:5], 0x10
	s_load_dword s2, s[4:5], 0xc8
	s_waitcnt lgkmcnt(0)
	v_mul_hi_u32 v1, s9, v3
	v_add_u32_e32 v1, v3, v1
	v_lshrrev_b32_e32 v1, s10, v1
	v_mul_lo_u32 v1, v1, s8
	v_sub_u32_e32 v1, v3, v1
	v_mad_u64_u32 v[6:7], s[2:3], v1, s2, v[6:7]
.LBB5_68:
	s_and_b64 vcc, exec, s[0:1]
	v_add_u32_e32 v1, 0x200, v12
	s_cbranch_vccnz .LBB5_74
; %bb.69:
	s_mov_b32 s24, 0
	s_cmp_eq_u32 s33, 0
	v_mov_b32_e32 v8, 0
	s_cbranch_scc1 .LBB5_78
; %bb.70:
	s_min_u32 s25, s46, 15
	s_add_i32 s25, s25, 1
	s_cmp_eq_u32 s46, 2
	v_mov_b32_e32 v8, 0
	s_cbranch_scc1 .LBB5_75
; %bb.71:
	s_add_u32 s2, s4, 0xc4
	s_addc_u32 s3, s5, 0
	s_and_b32 s24, s25, 28
	s_mov_b32 s26, 0
	v_mov_b32_e32 v8, 0
	s_mov_b64 s[6:7], s[4:5]
	v_mov_b32_e32 v3, v1
.LBB5_72:                               ; =>This Inner Loop Header: Depth=1
	s_load_dwordx8 s[8:15], s[6:7], 0x4
	s_load_dwordx4 s[16:19], s[6:7], 0x24
	s_load_dwordx4 s[20:23], s[2:3], 0x0
	s_add_u32 s6, s6, 48
	s_addc_u32 s7, s7, 0
	s_waitcnt lgkmcnt(0)
	v_mul_hi_u32 v5, s9, v3
	v_add_u32_e32 v5, v3, v5
	v_lshrrev_b32_e32 v5, s10, v5
	v_mul_lo_u32 v7, v5, s8
	v_mul_hi_u32 v9, s12, v5
	v_sub_u32_e32 v3, v3, v7
	v_add_u32_e32 v7, v5, v9
	v_lshrrev_b32_e32 v7, s13, v7
	v_mul_lo_u32 v9, v7, s11
	v_mul_hi_u32 v10, s15, v7
	v_sub_u32_e32 v5, v5, v9
	v_add_u32_e32 v9, v7, v10
	v_mul_lo_u32 v3, v3, s20
	v_mul_lo_u32 v5, v5, s21
	v_lshrrev_b32_e32 v9, s16, v9
	v_add3_u32 v5, v3, v8, v5
	v_mul_lo_u32 v3, v9, s14
	v_mul_hi_u32 v8, s18, v9
	v_sub_u32_e32 v3, v7, v3
	v_add_u32_e32 v7, v9, v8
	v_mul_lo_u32 v8, v3, s22
	v_lshrrev_b32_e32 v3, s19, v7
	s_add_i32 s26, s26, 4
	v_mul_lo_u32 v7, v3, s17
	s_add_u32 s2, s2, 16
	v_sub_u32_e32 v7, v9, v7
	s_addc_u32 s3, s3, 0
	v_mul_lo_u32 v7, v7, s23
	s_cmp_lg_u32 s24, s26
	v_add3_u32 v8, v8, v5, v7
	s_cbranch_scc1 .LBB5_72
; %bb.73:
	s_and_b32 s8, s25, 3
	s_cmp_eq_u32 s8, 0
	s_cbranch_scc0 .LBB5_76
	s_branch .LBB5_78
.LBB5_74:
                                        ; implicit-def: $vgpr8
	s_branch .LBB5_79
.LBB5_75:
	v_mov_b32_e32 v3, v1
	s_and_b32 s8, s25, 3
	s_cmp_eq_u32 s8, 0
	s_cbranch_scc1 .LBB5_78
.LBB5_76:
	s_lshl_b32 s2, s24, 2
	s_add_u32 s2, s2, s4
	s_addc_u32 s3, 0, s5
	s_add_u32 s2, s2, 0xc4
	s_addc_u32 s3, s3, 0
	s_mul_i32 s6, s24, 12
	s_add_u32 s6, s4, s6
	s_addc_u32 s7, 0, s5
.LBB5_77:                               ; =>This Inner Loop Header: Depth=1
	s_load_dwordx2 s[10:11], s[6:7], 0x4
	s_load_dword s9, s[6:7], 0xc
	s_load_dword s12, s[2:3], 0x0
	s_add_u32 s6, s6, 12
	s_addc_u32 s7, s7, 0
	s_waitcnt lgkmcnt(0)
	v_mul_hi_u32 v5, s11, v3
	v_add_u32_e32 v5, v3, v5
	v_lshrrev_b32_e32 v5, s9, v5
	s_add_u32 s2, s2, 4
	v_mul_lo_u32 v7, v5, s10
	s_addc_u32 s3, s3, 0
	s_add_i32 s8, s8, -1
	v_sub_u32_e32 v7, v3, v7
	s_cmp_lg_u32 s8, 0
	v_mov_b32_e32 v3, v5
	v_mad_u64_u32 v[8:9], s[10:11], v7, s12, v[8:9]
	s_cbranch_scc1 .LBB5_77
.LBB5_78:
	s_cbranch_execnz .LBB5_81
.LBB5_79:
	s_load_dwordx4 s[8:11], s[4:5], 0x4
	s_load_dword s2, s[4:5], 0xc4
	s_cmp_lt_u32 s33, 2
	s_waitcnt lgkmcnt(0)
	v_mul_hi_u32 v3, s9, v1
	v_add_u32_e32 v3, v1, v3
	v_lshrrev_b32_e32 v3, s10, v3
	v_mul_lo_u32 v5, v3, s8
	v_sub_u32_e32 v1, v1, v5
	v_mul_lo_u32 v8, v1, s2
	s_cbranch_scc1 .LBB5_81
; %bb.80:
	s_load_dwordx4 s[8:11], s[4:5], 0x10
	s_load_dword s2, s[4:5], 0xc8
	s_waitcnt lgkmcnt(0)
	v_mul_hi_u32 v1, s9, v3
	v_add_u32_e32 v1, v3, v1
	v_lshrrev_b32_e32 v1, s10, v1
	v_mul_lo_u32 v1, v1, s8
	v_sub_u32_e32 v1, v3, v1
	v_mad_u64_u32 v[8:9], s[2:3], v1, s2, v[8:9]
.LBB5_81:
	s_and_b64 vcc, exec, s[0:1]
	v_add_u32_e32 v1, 0x280, v12
	s_cbranch_vccnz .LBB5_87
; %bb.82:
	s_mov_b32 s24, 0
	s_cmp_eq_u32 s33, 0
	v_mov_b32_e32 v10, 0
	s_cbranch_scc1 .LBB5_91
; %bb.83:
	s_min_u32 s25, s46, 15
	s_add_i32 s25, s25, 1
	s_cmp_eq_u32 s46, 2
	v_mov_b32_e32 v10, 0
	s_cbranch_scc1 .LBB5_88
; %bb.84:
	s_add_u32 s2, s4, 0xc4
	s_addc_u32 s3, s5, 0
	s_and_b32 s24, s25, 28
	s_mov_b32 s26, 0
	v_mov_b32_e32 v10, 0
	s_mov_b64 s[6:7], s[4:5]
	v_mov_b32_e32 v3, v1
.LBB5_85:                               ; =>This Inner Loop Header: Depth=1
	s_load_dwordx8 s[8:15], s[6:7], 0x4
	s_load_dwordx4 s[16:19], s[6:7], 0x24
	s_load_dwordx4 s[20:23], s[2:3], 0x0
	s_add_u32 s6, s6, 48
	s_addc_u32 s7, s7, 0
	s_waitcnt lgkmcnt(0)
	v_mul_hi_u32 v5, s9, v3
	v_add_u32_e32 v5, v3, v5
	v_lshrrev_b32_e32 v5, s10, v5
	v_mul_lo_u32 v7, v5, s8
	v_mul_hi_u32 v9, s12, v5
	v_sub_u32_e32 v3, v3, v7
	v_add_u32_e32 v7, v5, v9
	v_lshrrev_b32_e32 v7, s13, v7
	v_mul_lo_u32 v9, v7, s11
	v_mul_hi_u32 v11, s15, v7
	v_sub_u32_e32 v5, v5, v9
	v_add_u32_e32 v9, v7, v11
	v_mul_lo_u32 v3, v3, s20
	v_mul_lo_u32 v5, v5, s21
	v_lshrrev_b32_e32 v9, s16, v9
	v_add3_u32 v5, v3, v10, v5
	v_mul_lo_u32 v3, v9, s14
	v_mul_hi_u32 v10, s18, v9
	v_sub_u32_e32 v3, v7, v3
	v_add_u32_e32 v7, v9, v10
	v_mul_lo_u32 v10, v3, s22
	v_lshrrev_b32_e32 v3, s19, v7
	s_add_i32 s26, s26, 4
	v_mul_lo_u32 v7, v3, s17
	s_add_u32 s2, s2, 16
	v_sub_u32_e32 v7, v9, v7
	s_addc_u32 s3, s3, 0
	v_mul_lo_u32 v7, v7, s23
	s_cmp_lg_u32 s24, s26
	v_add3_u32 v10, v10, v5, v7
	s_cbranch_scc1 .LBB5_85
; %bb.86:
	s_and_b32 s8, s25, 3
	s_cmp_eq_u32 s8, 0
	s_cbranch_scc0 .LBB5_89
	s_branch .LBB5_91
.LBB5_87:
                                        ; implicit-def: $vgpr10
	s_branch .LBB5_92
.LBB5_88:
	v_mov_b32_e32 v3, v1
	s_and_b32 s8, s25, 3
	s_cmp_eq_u32 s8, 0
	s_cbranch_scc1 .LBB5_91
.LBB5_89:
	s_lshl_b32 s2, s24, 2
	s_add_u32 s2, s2, s4
	s_addc_u32 s3, 0, s5
	s_add_u32 s2, s2, 0xc4
	s_addc_u32 s3, s3, 0
	s_mul_i32 s6, s24, 12
	s_add_u32 s6, s4, s6
	s_addc_u32 s7, 0, s5
.LBB5_90:                               ; =>This Inner Loop Header: Depth=1
	s_load_dwordx2 s[10:11], s[6:7], 0x4
	s_load_dword s9, s[6:7], 0xc
	s_load_dword s12, s[2:3], 0x0
	s_add_u32 s6, s6, 12
	s_addc_u32 s7, s7, 0
	s_waitcnt lgkmcnt(0)
	v_mul_hi_u32 v5, s11, v3
	v_add_u32_e32 v5, v3, v5
	v_lshrrev_b32_e32 v5, s9, v5
	s_add_u32 s2, s2, 4
	v_mul_lo_u32 v7, v5, s10
	s_addc_u32 s3, s3, 0
	s_add_i32 s8, s8, -1
	v_sub_u32_e32 v7, v3, v7
	s_cmp_lg_u32 s8, 0
	v_mov_b32_e32 v3, v5
	v_mad_u64_u32 v[10:11], s[10:11], v7, s12, v[10:11]
	s_cbranch_scc1 .LBB5_90
.LBB5_91:
	s_cbranch_execnz .LBB5_94
.LBB5_92:
	s_load_dwordx4 s[8:11], s[4:5], 0x4
	s_load_dword s2, s[4:5], 0xc4
	s_cmp_lt_u32 s33, 2
	s_waitcnt lgkmcnt(0)
	v_mul_hi_u32 v3, s9, v1
	v_add_u32_e32 v3, v1, v3
	v_lshrrev_b32_e32 v3, s10, v3
	v_mul_lo_u32 v5, v3, s8
	v_sub_u32_e32 v1, v1, v5
	v_mul_lo_u32 v10, v1, s2
	s_cbranch_scc1 .LBB5_94
; %bb.93:
	s_load_dwordx4 s[8:11], s[4:5], 0x10
	s_load_dword s2, s[4:5], 0xc8
	s_waitcnt lgkmcnt(0)
	v_mul_hi_u32 v1, s9, v3
	v_add_u32_e32 v1, v3, v1
	v_lshrrev_b32_e32 v1, s10, v1
	v_mul_lo_u32 v1, v1, s8
	v_sub_u32_e32 v1, v3, v1
	v_mad_u64_u32 v[10:11], s[2:3], v1, s2, v[10:11]
.LBB5_94:
	s_and_b64 vcc, exec, s[0:1]
	v_add_u32_e32 v1, 0x300, v12
	s_cbranch_vccnz .LBB5_100
; %bb.95:
	s_mov_b32 s24, 0
	s_cmp_eq_u32 s33, 0
	v_mov_b32_e32 v12, 0
	s_cbranch_scc1 .LBB5_104
; %bb.96:
	s_min_u32 s25, s46, 15
	s_add_i32 s25, s25, 1
	s_cmp_eq_u32 s46, 2
	v_mov_b32_e32 v12, 0
	s_cbranch_scc1 .LBB5_101
; %bb.97:
	s_add_u32 s2, s4, 0xc4
	s_addc_u32 s3, s5, 0
	s_and_b32 s24, s25, 28
	s_mov_b32 s26, 0
	v_mov_b32_e32 v12, 0
	s_mov_b64 s[6:7], s[4:5]
	v_mov_b32_e32 v3, v1
.LBB5_98:                               ; =>This Inner Loop Header: Depth=1
	s_load_dwordx8 s[8:15], s[6:7], 0x4
	s_load_dwordx4 s[16:19], s[6:7], 0x24
	s_load_dwordx4 s[20:23], s[2:3], 0x0
	s_add_u32 s6, s6, 48
	s_addc_u32 s7, s7, 0
	s_waitcnt lgkmcnt(0)
	v_mul_hi_u32 v5, s9, v3
	v_add_u32_e32 v5, v3, v5
	v_lshrrev_b32_e32 v5, s10, v5
	v_mul_lo_u32 v7, v5, s8
	v_mul_hi_u32 v9, s12, v5
	v_sub_u32_e32 v3, v3, v7
	v_add_u32_e32 v7, v5, v9
	v_lshrrev_b32_e32 v7, s13, v7
	v_mul_lo_u32 v9, v7, s11
	v_mul_hi_u32 v11, s15, v7
	v_sub_u32_e32 v5, v5, v9
	v_add_u32_e32 v9, v7, v11
	v_mul_lo_u32 v3, v3, s20
	v_mul_lo_u32 v5, v5, s21
	v_lshrrev_b32_e32 v9, s16, v9
	v_add3_u32 v5, v3, v12, v5
	v_mul_lo_u32 v3, v9, s14
	v_mul_hi_u32 v11, s18, v9
	v_sub_u32_e32 v3, v7, v3
	v_add_u32_e32 v7, v9, v11
	v_mul_lo_u32 v11, v3, s22
	v_lshrrev_b32_e32 v3, s19, v7
	s_add_i32 s26, s26, 4
	v_mul_lo_u32 v7, v3, s17
	s_add_u32 s2, s2, 16
	v_sub_u32_e32 v7, v9, v7
	s_addc_u32 s3, s3, 0
	v_mul_lo_u32 v7, v7, s23
	s_cmp_lg_u32 s24, s26
	v_add3_u32 v12, v11, v5, v7
	s_cbranch_scc1 .LBB5_98
; %bb.99:
	s_and_b32 s8, s25, 3
	s_cmp_eq_u32 s8, 0
	s_cbranch_scc0 .LBB5_102
	s_branch .LBB5_104
.LBB5_100:
                                        ; implicit-def: $vgpr12
	s_branch .LBB5_105
.LBB5_101:
	v_mov_b32_e32 v3, v1
	s_and_b32 s8, s25, 3
	s_cmp_eq_u32 s8, 0
	s_cbranch_scc1 .LBB5_104
.LBB5_102:
	s_lshl_b32 s2, s24, 2
	s_add_u32 s2, s2, s4
	s_addc_u32 s3, 0, s5
	s_add_u32 s2, s2, 0xc4
	s_addc_u32 s3, s3, 0
	s_mul_i32 s6, s24, 12
	s_add_u32 s6, s4, s6
	s_addc_u32 s7, 0, s5
.LBB5_103:                              ; =>This Inner Loop Header: Depth=1
	s_load_dwordx2 s[10:11], s[6:7], 0x4
	s_load_dword s9, s[6:7], 0xc
	s_load_dword s12, s[2:3], 0x0
	s_add_u32 s6, s6, 12
	s_addc_u32 s7, s7, 0
	s_waitcnt lgkmcnt(0)
	v_mul_hi_u32 v5, s11, v3
	v_add_u32_e32 v5, v3, v5
	v_lshrrev_b32_e32 v5, s9, v5
	s_add_u32 s2, s2, 4
	v_mul_lo_u32 v7, v5, s10
	s_addc_u32 s3, s3, 0
	s_add_i32 s8, s8, -1
	v_sub_u32_e32 v7, v3, v7
	s_cmp_lg_u32 s8, 0
	v_mov_b32_e32 v3, v5
	v_mad_u64_u32 v[12:13], s[10:11], v7, s12, v[12:13]
	s_cbranch_scc1 .LBB5_103
.LBB5_104:
	s_cbranch_execnz .LBB5_107
.LBB5_105:
	s_load_dwordx4 s[8:11], s[4:5], 0x4
	s_load_dword s2, s[4:5], 0xc4
	s_cmp_lt_u32 s33, 2
	s_waitcnt lgkmcnt(0)
	v_mul_hi_u32 v3, s9, v1
	v_add_u32_e32 v3, v1, v3
	v_lshrrev_b32_e32 v3, s10, v3
	v_mul_lo_u32 v5, v3, s8
	v_sub_u32_e32 v1, v1, v5
	v_mul_lo_u32 v12, v1, s2
	s_cbranch_scc1 .LBB5_107
; %bb.106:
	s_load_dwordx4 s[8:11], s[4:5], 0x10
	s_load_dword s2, s[4:5], 0xc8
	s_waitcnt lgkmcnt(0)
	v_mul_hi_u32 v1, s9, v3
	v_add_u32_e32 v1, v3, v1
	v_lshrrev_b32_e32 v1, s10, v1
	v_mul_lo_u32 v1, v1, s8
	v_sub_u32_e32 v1, v3, v1
	v_mad_u64_u32 v[12:13], s[2:3], v1, s2, v[12:13]
.LBB5_107:
	s_and_b64 vcc, exec, s[0:1]
	s_cbranch_vccnz .LBB5_113
; %bb.108:
	s_mov_b32 s22, 0
	s_cmp_eq_u32 s33, 0
	v_mov_b32_e32 v14, 0
	s_cbranch_scc1 .LBB5_117
; %bb.109:
	s_min_u32 s23, s46, 15
	s_add_i32 s23, s23, 1
	s_cmp_eq_u32 s46, 2
	v_mov_b32_e32 v14, 0
	s_cbranch_scc1 .LBB5_114
; %bb.110:
	s_add_u32 s6, s4, 0xc4
	s_addc_u32 s7, s5, 0
	s_and_b32 s22, s23, 28
	s_mov_b32 s24, 0
	v_mov_b32_e32 v14, 0
	s_mov_b64 s[20:21], s[4:5]
	v_mov_b32_e32 v1, v16
.LBB5_111:                              ; =>This Inner Loop Header: Depth=1
	s_load_dwordx8 s[8:15], s[20:21], 0x4
	s_load_dwordx4 s[0:3], s[20:21], 0x24
	s_load_dwordx4 s[16:19], s[6:7], 0x0
	s_add_u32 s20, s20, 48
	s_addc_u32 s21, s21, 0
	s_waitcnt lgkmcnt(0)
	v_mul_hi_u32 v3, s9, v1
	v_add_u32_e32 v3, v1, v3
	v_lshrrev_b32_e32 v3, s10, v3
	v_mul_lo_u32 v5, v3, s8
	v_mul_hi_u32 v7, s12, v3
	v_sub_u32_e32 v1, v1, v5
	v_add_u32_e32 v5, v3, v7
	v_lshrrev_b32_e32 v5, s13, v5
	v_mul_lo_u32 v7, v5, s11
	v_mul_hi_u32 v9, s15, v5
	v_sub_u32_e32 v3, v3, v7
	v_add_u32_e32 v7, v5, v9
	v_mul_lo_u32 v1, v1, s16
	v_mul_lo_u32 v3, v3, s17
	v_lshrrev_b32_e32 v7, s0, v7
	v_add3_u32 v3, v1, v14, v3
	v_mul_lo_u32 v1, v7, s14
	v_mul_hi_u32 v9, s2, v7
	v_sub_u32_e32 v1, v5, v1
	v_add_u32_e32 v5, v7, v9
	v_mul_lo_u32 v9, v1, s18
	v_lshrrev_b32_e32 v1, s3, v5
	s_add_i32 s24, s24, 4
	v_mul_lo_u32 v5, v1, s1
	s_add_u32 s6, s6, 16
	v_sub_u32_e32 v5, v7, v5
	s_addc_u32 s7, s7, 0
	v_mul_lo_u32 v5, v5, s19
	s_cmp_lg_u32 s22, s24
	v_add3_u32 v14, v9, v3, v5
	s_cbranch_scc1 .LBB5_111
; %bb.112:
	s_and_b32 s6, s23, 3
	s_cmp_eq_u32 s6, 0
	s_cbranch_scc0 .LBB5_115
	s_branch .LBB5_117
.LBB5_113:
                                        ; implicit-def: $vgpr14
	s_branch .LBB5_118
.LBB5_114:
	v_mov_b32_e32 v1, v16
	s_and_b32 s6, s23, 3
	s_cmp_eq_u32 s6, 0
	s_cbranch_scc1 .LBB5_117
.LBB5_115:
	s_lshl_b32 s0, s22, 2
	s_add_u32 s0, s0, s4
	s_addc_u32 s1, 0, s5
	s_add_u32 s0, s0, 0xc4
	s_addc_u32 s1, s1, 0
	s_mul_i32 s2, s22, 12
	s_add_u32 s2, s4, s2
	s_addc_u32 s3, 0, s5
.LBB5_116:                              ; =>This Inner Loop Header: Depth=1
	s_load_dwordx2 s[8:9], s[2:3], 0x4
	s_load_dword s7, s[2:3], 0xc
	s_load_dword s10, s[0:1], 0x0
	s_add_u32 s2, s2, 12
	s_addc_u32 s3, s3, 0
	s_waitcnt lgkmcnt(0)
	v_mul_hi_u32 v3, s9, v1
	v_add_u32_e32 v3, v1, v3
	v_lshrrev_b32_e32 v3, s7, v3
	s_add_u32 s0, s0, 4
	v_mul_lo_u32 v5, v3, s8
	s_addc_u32 s1, s1, 0
	s_add_i32 s6, s6, -1
	v_sub_u32_e32 v5, v1, v5
	s_cmp_lg_u32 s6, 0
	v_mov_b32_e32 v1, v3
	v_mad_u64_u32 v[14:15], s[8:9], v5, s10, v[14:15]
	s_cbranch_scc1 .LBB5_116
.LBB5_117:
	s_cbranch_execnz .LBB5_120
.LBB5_118:
	s_load_dwordx4 s[0:3], s[4:5], 0x4
	s_waitcnt lgkmcnt(0)
	s_load_dword s3, s[4:5], 0xc4
	s_cmp_lt_u32 s33, 2
	v_mul_hi_u32 v1, s1, v16
	v_add_u32_e32 v1, v16, v1
	v_lshrrev_b32_e32 v1, s2, v1
	v_mul_lo_u32 v3, v1, s0
	v_sub_u32_e32 v3, v16, v3
	s_waitcnt lgkmcnt(0)
	v_mul_lo_u32 v14, v3, s3
	s_cbranch_scc1 .LBB5_120
; %bb.119:
	s_load_dwordx4 s[0:3], s[4:5], 0x10
	s_waitcnt lgkmcnt(0)
	s_load_dword s3, s[4:5], 0xc8
	v_mul_hi_u32 v3, s1, v1
	v_add_u32_e32 v3, v1, v3
	v_lshrrev_b32_e32 v3, s2, v3
	v_mul_lo_u32 v3, v3, s0
	v_sub_u32_e32 v1, v1, v3
	s_waitcnt lgkmcnt(0)
	v_mad_u64_u32 v[14:15], s[0:1], v1, s3, v[14:15]
.LBB5_120:
	s_load_dword s2, s[4:5], 0x110
	s_load_dwordx2 s[0:1], s[4:5], 0x108
	s_waitcnt lgkmcnt(0)
	v_mov_b32_e32 v1, s2
	s_nop 0
	global_store_byte v0, v1, s[0:1]
	global_store_byte v2, v1, s[0:1]
	;; [unrolled: 1-line block ×8, first 2 shown]
	s_endpgm
.LBB5_121:
	v_mov_b32_e32 v0, 0
	s_branch .LBB5_127
.LBB5_122:
	v_mov_b32_e32 v0, 0
	s_branch .LBB5_143
.LBB5_123:
	v_mov_b32_e32 v2, v12
.LBB5_124:
	s_and_b32 s12, s51, 3
	s_cmp_eq_u32 s12, 0
	s_cbranch_scc1 .LBB5_127
; %bb.125:
	s_lshl_b32 s8, s50, 2
	s_add_u32 s8, s8, s4
	s_addc_u32 s9, s5, 0
	s_add_u32 s8, s8, 0xc4
	s_addc_u32 s9, s9, 0
	s_mul_i32 s10, s50, 12
	s_add_u32 s10, s4, s10
	s_addc_u32 s11, s5, 0
.LBB5_126:                              ; =>This Inner Loop Header: Depth=1
	s_load_dwordx2 s[14:15], s[10:11], 0x4
	s_load_dword s13, s[10:11], 0xc
	s_load_dword s16, s[8:9], 0x0
	s_add_u32 s10, s10, 12
	s_addc_u32 s11, s11, 0
	s_waitcnt lgkmcnt(0)
	v_mul_hi_u32 v1, s15, v2
	v_add_u32_e32 v1, v2, v1
	v_lshrrev_b32_e32 v1, s13, v1
	s_add_u32 s8, s8, 4
	v_mul_lo_u32 v3, v1, s14
	s_addc_u32 s9, s9, 0
	s_add_i32 s12, s12, -1
	v_sub_u32_e32 v3, v2, v3
	s_cmp_lg_u32 s12, 0
	v_mov_b32_e32 v2, v1
	v_mad_u64_u32 v[0:1], s[14:15], v3, s16, v[0:1]
	s_cbranch_scc1 .LBB5_126
.LBB5_127:
	s_cbranch_execnz .LBB5_130
.LBB5_128:
	s_waitcnt lgkmcnt(0)
	v_mul_hi_u32 v0, s1, v12
	v_add_u32_e32 v0, v12, v0
	v_lshrrev_b32_e32 v1, s2, v0
	v_mul_lo_u32 v0, v1, s0
	v_sub_u32_e32 v0, v12, v0
	s_andn2_b64 vcc, exec, s[34:35]
	v_mul_lo_u32 v0, v0, s28
	s_cbranch_vccnz .LBB5_130
; %bb.129:
	v_mul_hi_u32 v2, s30, v1
	v_add_u32_e32 v2, v1, v2
	v_lshrrev_b32_e32 v2, s31, v2
	v_mul_lo_u32 v2, v2, s3
	v_sub_u32_e32 v1, v1, v2
	v_mad_u64_u32 v[0:1], s[8:9], v1, s29, v[0:1]
.LBB5_130:
	s_waitcnt lgkmcnt(0)
	v_mov_b32_e32 v1, s47
	v_add_u32_e32 v12, 0x80, v12
	global_store_byte v0, v1, s[26:27]
	s_or_b64 exec, exec, s[40:41]
	v_cmp_gt_i32_e32 vcc, s48, v12
	s_and_saveexec_b64 s[40:41], vcc
	s_cbranch_execnz .LBB5_15
.LBB5_131:
	s_or_b64 exec, exec, s[40:41]
	v_cmp_gt_i32_e32 vcc, s48, v12
	s_and_saveexec_b64 s[40:41], vcc
	s_cbranch_execz .LBB5_147
.LBB5_132:
	s_andn2_b64 vcc, exec, s[6:7]
	s_cbranch_vccnz .LBB5_137
; %bb.133:
	s_andn2_b64 vcc, exec, s[38:39]
	s_cbranch_vccnz .LBB5_138
; %bb.134:
	s_add_i32 s51, s49, 1
	s_mov_b32 s50, 0
	s_cmp_eq_u32 s46, 2
	v_mov_b32_e32 v0, 0
	s_cbranch_scc1 .LBB5_155
; %bb.135:
	s_and_b32 s50, s51, 28
	s_mov_b32 s52, 0
	v_mov_b32_e32 v0, 0
	s_mov_b64 s[42:43], s[4:5]
	s_mov_b64 s[44:45], s[36:37]
	v_mov_b32_e32 v2, v12
.LBB5_136:                              ; =>This Inner Loop Header: Depth=1
	s_load_dwordx8 s[8:15], s[42:43], 0x4
	s_load_dwordx4 s[16:19], s[42:43], 0x24
	s_load_dwordx4 s[20:23], s[44:45], 0x0
	s_add_u32 s42, s42, 48
	s_addc_u32 s43, s43, 0
	s_waitcnt lgkmcnt(0)
	v_mul_hi_u32 v1, s9, v2
	v_add_u32_e32 v1, v2, v1
	v_lshrrev_b32_e32 v1, s10, v1
	v_mul_lo_u32 v3, v1, s8
	v_mul_hi_u32 v4, s12, v1
	v_sub_u32_e32 v2, v2, v3
	v_add_u32_e32 v3, v1, v4
	v_lshrrev_b32_e32 v3, s13, v3
	v_mul_lo_u32 v4, v3, s11
	v_mul_hi_u32 v5, s15, v3
	v_sub_u32_e32 v1, v1, v4
	v_add_u32_e32 v4, v3, v5
	v_mul_lo_u32 v2, v2, s20
	v_mul_lo_u32 v1, v1, s21
	v_lshrrev_b32_e32 v4, s16, v4
	v_add3_u32 v0, v2, v0, v1
	v_mul_hi_u32 v2, s18, v4
	v_add_u32_e32 v2, v4, v2
	v_mul_lo_u32 v1, v4, s14
	v_lshrrev_b32_e32 v2, s19, v2
	s_add_i32 s52, s52, 4
	v_sub_u32_e32 v1, v3, v1
	v_mul_lo_u32 v3, v2, s17
	s_add_u32 s44, s44, 16
	v_sub_u32_e32 v3, v4, v3
	s_addc_u32 s45, s45, 0
	v_mul_lo_u32 v1, v1, s22
	v_mul_lo_u32 v3, v3, s23
	s_cmp_eq_u32 s50, s52
	v_add3_u32 v0, v1, v0, v3
	s_cbranch_scc0 .LBB5_136
	s_branch .LBB5_156
.LBB5_137:
                                        ; implicit-def: $vgpr0
	s_branch .LBB5_160
.LBB5_138:
	v_mov_b32_e32 v0, 0
	s_branch .LBB5_159
.LBB5_139:
	v_mov_b32_e32 v2, v12
.LBB5_140:
	s_and_b32 s12, s51, 3
	s_cmp_eq_u32 s12, 0
	s_cbranch_scc1 .LBB5_143
; %bb.141:
	s_lshl_b32 s8, s50, 2
	s_add_u32 s8, s8, s4
	s_addc_u32 s9, s5, 0
	s_add_u32 s8, s8, 0xc4
	s_addc_u32 s9, s9, 0
	s_mul_i32 s10, s50, 12
	s_add_u32 s10, s4, s10
	s_addc_u32 s11, s5, 0
.LBB5_142:                              ; =>This Inner Loop Header: Depth=1
	s_load_dwordx2 s[14:15], s[10:11], 0x4
	s_load_dword s13, s[10:11], 0xc
	s_load_dword s16, s[8:9], 0x0
	s_add_u32 s10, s10, 12
	s_addc_u32 s11, s11, 0
	s_waitcnt lgkmcnt(0)
	v_mul_hi_u32 v1, s15, v2
	v_add_u32_e32 v1, v2, v1
	v_lshrrev_b32_e32 v1, s13, v1
	s_add_u32 s8, s8, 4
	v_mul_lo_u32 v3, v1, s14
	s_addc_u32 s9, s9, 0
	s_add_i32 s12, s12, -1
	v_sub_u32_e32 v3, v2, v3
	s_cmp_lg_u32 s12, 0
	v_mov_b32_e32 v2, v1
	v_mad_u64_u32 v[0:1], s[14:15], v3, s16, v[0:1]
	s_cbranch_scc1 .LBB5_142
.LBB5_143:
	s_cbranch_execnz .LBB5_146
.LBB5_144:
	s_waitcnt lgkmcnt(0)
	v_mul_hi_u32 v0, s1, v12
	v_add_u32_e32 v0, v12, v0
	v_lshrrev_b32_e32 v1, s2, v0
	v_mul_lo_u32 v0, v1, s0
	v_sub_u32_e32 v0, v12, v0
	s_andn2_b64 vcc, exec, s[34:35]
	v_mul_lo_u32 v0, v0, s28
	s_cbranch_vccnz .LBB5_146
; %bb.145:
	v_mul_hi_u32 v2, s30, v1
	v_add_u32_e32 v2, v1, v2
	v_lshrrev_b32_e32 v2, s31, v2
	v_mul_lo_u32 v2, v2, s3
	v_sub_u32_e32 v1, v1, v2
	v_mad_u64_u32 v[0:1], s[8:9], v1, s29, v[0:1]
.LBB5_146:
	s_waitcnt lgkmcnt(0)
	v_mov_b32_e32 v1, s47
	v_add_u32_e32 v12, 0x80, v12
	global_store_byte v0, v1, s[26:27]
	s_or_b64 exec, exec, s[40:41]
	v_cmp_gt_i32_e32 vcc, s48, v12
	s_and_saveexec_b64 s[40:41], vcc
	s_cbranch_execnz .LBB5_132
.LBB5_147:
	s_or_b64 exec, exec, s[40:41]
	v_cmp_gt_i32_e32 vcc, s48, v12
	s_and_saveexec_b64 s[40:41], vcc
	s_cbranch_execz .LBB5_163
.LBB5_148:
	s_andn2_b64 vcc, exec, s[6:7]
	s_cbranch_vccnz .LBB5_153
; %bb.149:
	s_andn2_b64 vcc, exec, s[38:39]
	s_cbranch_vccnz .LBB5_154
; %bb.150:
	s_add_i32 s51, s49, 1
	s_mov_b32 s50, 0
	s_cmp_eq_u32 s46, 2
	v_mov_b32_e32 v0, 0
	s_cbranch_scc1 .LBB5_171
; %bb.151:
	s_and_b32 s50, s51, 28
	s_mov_b32 s52, 0
	v_mov_b32_e32 v0, 0
	s_mov_b64 s[42:43], s[4:5]
	s_mov_b64 s[44:45], s[36:37]
	v_mov_b32_e32 v2, v12
.LBB5_152:                              ; =>This Inner Loop Header: Depth=1
	s_load_dwordx8 s[8:15], s[42:43], 0x4
	s_load_dwordx4 s[16:19], s[42:43], 0x24
	s_load_dwordx4 s[20:23], s[44:45], 0x0
	s_add_u32 s42, s42, 48
	s_addc_u32 s43, s43, 0
	s_waitcnt lgkmcnt(0)
	v_mul_hi_u32 v1, s9, v2
	v_add_u32_e32 v1, v2, v1
	v_lshrrev_b32_e32 v1, s10, v1
	v_mul_lo_u32 v3, v1, s8
	v_mul_hi_u32 v4, s12, v1
	v_sub_u32_e32 v2, v2, v3
	v_add_u32_e32 v3, v1, v4
	v_lshrrev_b32_e32 v3, s13, v3
	v_mul_lo_u32 v4, v3, s11
	v_mul_hi_u32 v5, s15, v3
	v_sub_u32_e32 v1, v1, v4
	v_add_u32_e32 v4, v3, v5
	v_mul_lo_u32 v2, v2, s20
	v_mul_lo_u32 v1, v1, s21
	v_lshrrev_b32_e32 v4, s16, v4
	v_add3_u32 v0, v2, v0, v1
	v_mul_hi_u32 v2, s18, v4
	v_add_u32_e32 v2, v4, v2
	v_mul_lo_u32 v1, v4, s14
	v_lshrrev_b32_e32 v2, s19, v2
	s_add_i32 s52, s52, 4
	v_sub_u32_e32 v1, v3, v1
	v_mul_lo_u32 v3, v2, s17
	s_add_u32 s44, s44, 16
	v_sub_u32_e32 v3, v4, v3
	s_addc_u32 s45, s45, 0
	v_mul_lo_u32 v1, v1, s22
	v_mul_lo_u32 v3, v3, s23
	s_cmp_eq_u32 s50, s52
	v_add3_u32 v0, v1, v0, v3
	s_cbranch_scc0 .LBB5_152
	s_branch .LBB5_172
.LBB5_153:
                                        ; implicit-def: $vgpr0
	s_branch .LBB5_176
.LBB5_154:
	v_mov_b32_e32 v0, 0
	s_branch .LBB5_175
.LBB5_155:
	v_mov_b32_e32 v2, v12
.LBB5_156:
	s_and_b32 s12, s51, 3
	s_cmp_eq_u32 s12, 0
	s_cbranch_scc1 .LBB5_159
; %bb.157:
	s_lshl_b32 s8, s50, 2
	s_add_u32 s8, s8, s4
	s_addc_u32 s9, s5, 0
	s_add_u32 s8, s8, 0xc4
	s_addc_u32 s9, s9, 0
	s_mul_i32 s10, s50, 12
	s_add_u32 s10, s4, s10
	s_addc_u32 s11, s5, 0
.LBB5_158:                              ; =>This Inner Loop Header: Depth=1
	s_load_dwordx2 s[14:15], s[10:11], 0x4
	s_load_dword s13, s[10:11], 0xc
	s_load_dword s16, s[8:9], 0x0
	s_add_u32 s10, s10, 12
	s_addc_u32 s11, s11, 0
	s_waitcnt lgkmcnt(0)
	v_mul_hi_u32 v1, s15, v2
	v_add_u32_e32 v1, v2, v1
	v_lshrrev_b32_e32 v1, s13, v1
	s_add_u32 s8, s8, 4
	v_mul_lo_u32 v3, v1, s14
	s_addc_u32 s9, s9, 0
	s_add_i32 s12, s12, -1
	v_sub_u32_e32 v3, v2, v3
	s_cmp_lg_u32 s12, 0
	v_mov_b32_e32 v2, v1
	v_mad_u64_u32 v[0:1], s[14:15], v3, s16, v[0:1]
	s_cbranch_scc1 .LBB5_158
.LBB5_159:
	s_cbranch_execnz .LBB5_162
.LBB5_160:
	s_waitcnt lgkmcnt(0)
	v_mul_hi_u32 v0, s1, v12
	v_add_u32_e32 v0, v12, v0
	v_lshrrev_b32_e32 v1, s2, v0
	v_mul_lo_u32 v0, v1, s0
	v_sub_u32_e32 v0, v12, v0
	s_andn2_b64 vcc, exec, s[34:35]
	v_mul_lo_u32 v0, v0, s28
	s_cbranch_vccnz .LBB5_162
; %bb.161:
	v_mul_hi_u32 v2, s30, v1
	v_add_u32_e32 v2, v1, v2
	v_lshrrev_b32_e32 v2, s31, v2
	v_mul_lo_u32 v2, v2, s3
	v_sub_u32_e32 v1, v1, v2
	v_mad_u64_u32 v[0:1], s[8:9], v1, s29, v[0:1]
.LBB5_162:
	s_waitcnt lgkmcnt(0)
	v_mov_b32_e32 v1, s47
	v_add_u32_e32 v12, 0x80, v12
	global_store_byte v0, v1, s[26:27]
	s_or_b64 exec, exec, s[40:41]
	v_cmp_gt_i32_e32 vcc, s48, v12
	s_and_saveexec_b64 s[40:41], vcc
	s_cbranch_execnz .LBB5_148
.LBB5_163:
	s_or_b64 exec, exec, s[40:41]
	v_cmp_gt_i32_e32 vcc, s48, v12
	s_and_saveexec_b64 s[40:41], vcc
	s_cbranch_execz .LBB5_179
.LBB5_164:
	s_andn2_b64 vcc, exec, s[6:7]
	s_cbranch_vccnz .LBB5_169
; %bb.165:
	s_andn2_b64 vcc, exec, s[38:39]
	s_cbranch_vccnz .LBB5_170
; %bb.166:
	s_add_i32 s51, s49, 1
	s_mov_b32 s50, 0
	s_cmp_eq_u32 s46, 2
	v_mov_b32_e32 v0, 0
	s_cbranch_scc1 .LBB5_187
; %bb.167:
	s_and_b32 s50, s51, 28
	s_mov_b32 s52, 0
	v_mov_b32_e32 v0, 0
	s_mov_b64 s[42:43], s[4:5]
	s_mov_b64 s[44:45], s[36:37]
	v_mov_b32_e32 v2, v12
.LBB5_168:                              ; =>This Inner Loop Header: Depth=1
	s_load_dwordx8 s[8:15], s[42:43], 0x4
	s_load_dwordx4 s[16:19], s[42:43], 0x24
	s_load_dwordx4 s[20:23], s[44:45], 0x0
	s_add_u32 s42, s42, 48
	s_addc_u32 s43, s43, 0
	s_waitcnt lgkmcnt(0)
	v_mul_hi_u32 v1, s9, v2
	v_add_u32_e32 v1, v2, v1
	v_lshrrev_b32_e32 v1, s10, v1
	v_mul_lo_u32 v3, v1, s8
	v_mul_hi_u32 v4, s12, v1
	v_sub_u32_e32 v2, v2, v3
	v_add_u32_e32 v3, v1, v4
	v_lshrrev_b32_e32 v3, s13, v3
	v_mul_lo_u32 v4, v3, s11
	v_mul_hi_u32 v5, s15, v3
	v_sub_u32_e32 v1, v1, v4
	v_add_u32_e32 v4, v3, v5
	v_mul_lo_u32 v2, v2, s20
	v_mul_lo_u32 v1, v1, s21
	v_lshrrev_b32_e32 v4, s16, v4
	v_add3_u32 v0, v2, v0, v1
	v_mul_hi_u32 v2, s18, v4
	v_add_u32_e32 v2, v4, v2
	v_mul_lo_u32 v1, v4, s14
	v_lshrrev_b32_e32 v2, s19, v2
	s_add_i32 s52, s52, 4
	v_sub_u32_e32 v1, v3, v1
	v_mul_lo_u32 v3, v2, s17
	s_add_u32 s44, s44, 16
	v_sub_u32_e32 v3, v4, v3
	s_addc_u32 s45, s45, 0
	v_mul_lo_u32 v1, v1, s22
	v_mul_lo_u32 v3, v3, s23
	s_cmp_eq_u32 s50, s52
	v_add3_u32 v0, v1, v0, v3
	s_cbranch_scc0 .LBB5_168
	s_branch .LBB5_188
.LBB5_169:
                                        ; implicit-def: $vgpr0
	s_branch .LBB5_192
.LBB5_170:
	v_mov_b32_e32 v0, 0
	s_branch .LBB5_191
.LBB5_171:
	v_mov_b32_e32 v2, v12
.LBB5_172:
	s_and_b32 s12, s51, 3
	s_cmp_eq_u32 s12, 0
	s_cbranch_scc1 .LBB5_175
; %bb.173:
	s_lshl_b32 s8, s50, 2
	s_add_u32 s8, s8, s4
	s_addc_u32 s9, s5, 0
	s_add_u32 s8, s8, 0xc4
	s_addc_u32 s9, s9, 0
	s_mul_i32 s10, s50, 12
	s_add_u32 s10, s4, s10
	s_addc_u32 s11, s5, 0
.LBB5_174:                              ; =>This Inner Loop Header: Depth=1
	s_load_dwordx2 s[14:15], s[10:11], 0x4
	s_load_dword s13, s[10:11], 0xc
	s_load_dword s16, s[8:9], 0x0
	s_add_u32 s10, s10, 12
	s_addc_u32 s11, s11, 0
	s_waitcnt lgkmcnt(0)
	v_mul_hi_u32 v1, s15, v2
	v_add_u32_e32 v1, v2, v1
	v_lshrrev_b32_e32 v1, s13, v1
	s_add_u32 s8, s8, 4
	v_mul_lo_u32 v3, v1, s14
	s_addc_u32 s9, s9, 0
	s_add_i32 s12, s12, -1
	v_sub_u32_e32 v3, v2, v3
	s_cmp_lg_u32 s12, 0
	v_mov_b32_e32 v2, v1
	v_mad_u64_u32 v[0:1], s[14:15], v3, s16, v[0:1]
	s_cbranch_scc1 .LBB5_174
.LBB5_175:
	s_cbranch_execnz .LBB5_178
.LBB5_176:
	s_waitcnt lgkmcnt(0)
	v_mul_hi_u32 v0, s1, v12
	v_add_u32_e32 v0, v12, v0
	v_lshrrev_b32_e32 v1, s2, v0
	v_mul_lo_u32 v0, v1, s0
	v_sub_u32_e32 v0, v12, v0
	s_andn2_b64 vcc, exec, s[34:35]
	v_mul_lo_u32 v0, v0, s28
	s_cbranch_vccnz .LBB5_178
; %bb.177:
	v_mul_hi_u32 v2, s30, v1
	v_add_u32_e32 v2, v1, v2
	v_lshrrev_b32_e32 v2, s31, v2
	v_mul_lo_u32 v2, v2, s3
	v_sub_u32_e32 v1, v1, v2
	v_mad_u64_u32 v[0:1], s[8:9], v1, s29, v[0:1]
.LBB5_178:
	s_waitcnt lgkmcnt(0)
	v_mov_b32_e32 v1, s47
	v_add_u32_e32 v12, 0x80, v12
	global_store_byte v0, v1, s[26:27]
	s_or_b64 exec, exec, s[40:41]
	v_cmp_gt_i32_e32 vcc, s48, v12
	s_and_saveexec_b64 s[40:41], vcc
	s_cbranch_execnz .LBB5_164
.LBB5_179:
	s_or_b64 exec, exec, s[40:41]
	v_cmp_gt_i32_e32 vcc, s48, v12
	s_and_saveexec_b64 s[40:41], vcc
	s_cbranch_execz .LBB5_195
.LBB5_180:
	s_andn2_b64 vcc, exec, s[6:7]
	s_cbranch_vccnz .LBB5_185
; %bb.181:
	s_andn2_b64 vcc, exec, s[38:39]
	s_cbranch_vccnz .LBB5_186
; %bb.182:
	s_add_i32 s51, s49, 1
	s_mov_b32 s50, 0
	s_cmp_eq_u32 s46, 2
	v_mov_b32_e32 v0, 0
	s_cbranch_scc1 .LBB5_203
; %bb.183:
	s_and_b32 s50, s51, 28
	s_mov_b32 s52, 0
	v_mov_b32_e32 v0, 0
	s_mov_b64 s[42:43], s[4:5]
	s_mov_b64 s[44:45], s[36:37]
	v_mov_b32_e32 v2, v12
.LBB5_184:                              ; =>This Inner Loop Header: Depth=1
	s_load_dwordx8 s[8:15], s[42:43], 0x4
	s_load_dwordx4 s[16:19], s[42:43], 0x24
	s_load_dwordx4 s[20:23], s[44:45], 0x0
	s_add_u32 s42, s42, 48
	s_addc_u32 s43, s43, 0
	s_waitcnt lgkmcnt(0)
	v_mul_hi_u32 v1, s9, v2
	v_add_u32_e32 v1, v2, v1
	v_lshrrev_b32_e32 v1, s10, v1
	v_mul_lo_u32 v3, v1, s8
	v_mul_hi_u32 v4, s12, v1
	v_sub_u32_e32 v2, v2, v3
	v_add_u32_e32 v3, v1, v4
	v_lshrrev_b32_e32 v3, s13, v3
	v_mul_lo_u32 v4, v3, s11
	v_mul_hi_u32 v5, s15, v3
	v_sub_u32_e32 v1, v1, v4
	v_add_u32_e32 v4, v3, v5
	v_mul_lo_u32 v2, v2, s20
	v_mul_lo_u32 v1, v1, s21
	v_lshrrev_b32_e32 v4, s16, v4
	v_add3_u32 v0, v2, v0, v1
	v_mul_hi_u32 v2, s18, v4
	v_add_u32_e32 v2, v4, v2
	v_mul_lo_u32 v1, v4, s14
	v_lshrrev_b32_e32 v2, s19, v2
	s_add_i32 s52, s52, 4
	v_sub_u32_e32 v1, v3, v1
	v_mul_lo_u32 v3, v2, s17
	s_add_u32 s44, s44, 16
	v_sub_u32_e32 v3, v4, v3
	s_addc_u32 s45, s45, 0
	v_mul_lo_u32 v1, v1, s22
	v_mul_lo_u32 v3, v3, s23
	s_cmp_eq_u32 s50, s52
	v_add3_u32 v0, v1, v0, v3
	s_cbranch_scc0 .LBB5_184
	s_branch .LBB5_204
.LBB5_185:
                                        ; implicit-def: $vgpr0
	s_branch .LBB5_208
.LBB5_186:
	v_mov_b32_e32 v0, 0
	s_branch .LBB5_207
.LBB5_187:
	v_mov_b32_e32 v2, v12
.LBB5_188:
	s_and_b32 s12, s51, 3
	s_cmp_eq_u32 s12, 0
	s_cbranch_scc1 .LBB5_191
; %bb.189:
	s_lshl_b32 s8, s50, 2
	s_add_u32 s8, s8, s4
	s_addc_u32 s9, s5, 0
	s_add_u32 s8, s8, 0xc4
	s_addc_u32 s9, s9, 0
	s_mul_i32 s10, s50, 12
	s_add_u32 s10, s4, s10
	s_addc_u32 s11, s5, 0
.LBB5_190:                              ; =>This Inner Loop Header: Depth=1
	s_load_dwordx2 s[14:15], s[10:11], 0x4
	s_load_dword s13, s[10:11], 0xc
	s_load_dword s16, s[8:9], 0x0
	s_add_u32 s10, s10, 12
	s_addc_u32 s11, s11, 0
	s_waitcnt lgkmcnt(0)
	v_mul_hi_u32 v1, s15, v2
	v_add_u32_e32 v1, v2, v1
	v_lshrrev_b32_e32 v1, s13, v1
	s_add_u32 s8, s8, 4
	v_mul_lo_u32 v3, v1, s14
	s_addc_u32 s9, s9, 0
	s_add_i32 s12, s12, -1
	v_sub_u32_e32 v3, v2, v3
	s_cmp_lg_u32 s12, 0
	v_mov_b32_e32 v2, v1
	v_mad_u64_u32 v[0:1], s[14:15], v3, s16, v[0:1]
	s_cbranch_scc1 .LBB5_190
.LBB5_191:
	s_cbranch_execnz .LBB5_194
.LBB5_192:
	s_waitcnt lgkmcnt(0)
	v_mul_hi_u32 v0, s1, v12
	v_add_u32_e32 v0, v12, v0
	v_lshrrev_b32_e32 v1, s2, v0
	v_mul_lo_u32 v0, v1, s0
	v_sub_u32_e32 v0, v12, v0
	s_andn2_b64 vcc, exec, s[34:35]
	v_mul_lo_u32 v0, v0, s28
	s_cbranch_vccnz .LBB5_194
; %bb.193:
	v_mul_hi_u32 v2, s30, v1
	v_add_u32_e32 v2, v1, v2
	v_lshrrev_b32_e32 v2, s31, v2
	v_mul_lo_u32 v2, v2, s3
	v_sub_u32_e32 v1, v1, v2
	v_mad_u64_u32 v[0:1], s[8:9], v1, s29, v[0:1]
.LBB5_194:
	s_waitcnt lgkmcnt(0)
	v_mov_b32_e32 v1, s47
	v_add_u32_e32 v12, 0x80, v12
	global_store_byte v0, v1, s[26:27]
	s_or_b64 exec, exec, s[40:41]
	v_cmp_gt_i32_e32 vcc, s48, v12
	s_and_saveexec_b64 s[40:41], vcc
	s_cbranch_execnz .LBB5_180
.LBB5_195:
	s_or_b64 exec, exec, s[40:41]
	v_cmp_gt_i32_e32 vcc, s48, v12
	s_and_saveexec_b64 s[40:41], vcc
	s_cbranch_execz .LBB5_211
.LBB5_196:
	s_andn2_b64 vcc, exec, s[6:7]
	s_cbranch_vccnz .LBB5_201
; %bb.197:
	s_andn2_b64 vcc, exec, s[38:39]
	s_cbranch_vccnz .LBB5_202
; %bb.198:
	s_add_i32 s51, s49, 1
	s_mov_b32 s50, 0
	s_cmp_eq_u32 s46, 2
	v_mov_b32_e32 v0, 0
	s_cbranch_scc1 .LBB5_214
; %bb.199:
	s_and_b32 s50, s51, 28
	s_mov_b32 s52, 0
	v_mov_b32_e32 v0, 0
	s_mov_b64 s[42:43], s[4:5]
	s_mov_b64 s[44:45], s[36:37]
	v_mov_b32_e32 v2, v12
.LBB5_200:                              ; =>This Inner Loop Header: Depth=1
	s_load_dwordx8 s[8:15], s[42:43], 0x4
	s_load_dwordx4 s[16:19], s[42:43], 0x24
	s_load_dwordx4 s[20:23], s[44:45], 0x0
	s_add_u32 s42, s42, 48
	s_addc_u32 s43, s43, 0
	s_waitcnt lgkmcnt(0)
	v_mul_hi_u32 v1, s9, v2
	v_add_u32_e32 v1, v2, v1
	v_lshrrev_b32_e32 v1, s10, v1
	v_mul_lo_u32 v3, v1, s8
	v_mul_hi_u32 v4, s12, v1
	v_sub_u32_e32 v2, v2, v3
	v_add_u32_e32 v3, v1, v4
	v_lshrrev_b32_e32 v3, s13, v3
	v_mul_lo_u32 v4, v3, s11
	v_mul_hi_u32 v5, s15, v3
	v_sub_u32_e32 v1, v1, v4
	v_add_u32_e32 v4, v3, v5
	v_mul_lo_u32 v2, v2, s20
	v_mul_lo_u32 v1, v1, s21
	v_lshrrev_b32_e32 v4, s16, v4
	v_add3_u32 v0, v2, v0, v1
	v_mul_hi_u32 v2, s18, v4
	v_add_u32_e32 v2, v4, v2
	v_mul_lo_u32 v1, v4, s14
	v_lshrrev_b32_e32 v2, s19, v2
	s_add_i32 s52, s52, 4
	v_sub_u32_e32 v1, v3, v1
	v_mul_lo_u32 v3, v2, s17
	s_add_u32 s44, s44, 16
	v_sub_u32_e32 v3, v4, v3
	s_addc_u32 s45, s45, 0
	v_mul_lo_u32 v1, v1, s22
	v_mul_lo_u32 v3, v3, s23
	s_cmp_eq_u32 s50, s52
	v_add3_u32 v0, v1, v0, v3
	s_cbranch_scc0 .LBB5_200
	s_branch .LBB5_215
.LBB5_201:
                                        ; implicit-def: $vgpr0
	s_branch .LBB5_219
.LBB5_202:
	v_mov_b32_e32 v0, 0
	s_branch .LBB5_218
.LBB5_203:
	v_mov_b32_e32 v2, v12
.LBB5_204:
	s_and_b32 s12, s51, 3
	s_cmp_eq_u32 s12, 0
	s_cbranch_scc1 .LBB5_207
; %bb.205:
	s_lshl_b32 s8, s50, 2
	s_add_u32 s8, s8, s4
	s_addc_u32 s9, s5, 0
	s_add_u32 s8, s8, 0xc4
	s_addc_u32 s9, s9, 0
	s_mul_i32 s10, s50, 12
	s_add_u32 s10, s4, s10
	s_addc_u32 s11, s5, 0
.LBB5_206:                              ; =>This Inner Loop Header: Depth=1
	s_load_dwordx2 s[14:15], s[10:11], 0x4
	s_load_dword s13, s[10:11], 0xc
	s_load_dword s16, s[8:9], 0x0
	s_add_u32 s10, s10, 12
	s_addc_u32 s11, s11, 0
	s_waitcnt lgkmcnt(0)
	v_mul_hi_u32 v1, s15, v2
	v_add_u32_e32 v1, v2, v1
	v_lshrrev_b32_e32 v1, s13, v1
	s_add_u32 s8, s8, 4
	v_mul_lo_u32 v3, v1, s14
	s_addc_u32 s9, s9, 0
	s_add_i32 s12, s12, -1
	v_sub_u32_e32 v3, v2, v3
	s_cmp_lg_u32 s12, 0
	v_mov_b32_e32 v2, v1
	v_mad_u64_u32 v[0:1], s[14:15], v3, s16, v[0:1]
	s_cbranch_scc1 .LBB5_206
.LBB5_207:
	s_cbranch_execnz .LBB5_210
.LBB5_208:
	s_waitcnt lgkmcnt(0)
	v_mul_hi_u32 v0, s1, v12
	v_add_u32_e32 v0, v12, v0
	v_lshrrev_b32_e32 v1, s2, v0
	v_mul_lo_u32 v0, v1, s0
	v_sub_u32_e32 v0, v12, v0
	s_andn2_b64 vcc, exec, s[34:35]
	v_mul_lo_u32 v0, v0, s28
	s_cbranch_vccnz .LBB5_210
; %bb.209:
	v_mul_hi_u32 v2, s30, v1
	v_add_u32_e32 v2, v1, v2
	v_lshrrev_b32_e32 v2, s31, v2
	v_mul_lo_u32 v2, v2, s3
	v_sub_u32_e32 v1, v1, v2
	v_mad_u64_u32 v[0:1], s[8:9], v1, s29, v[0:1]
.LBB5_210:
	s_waitcnt lgkmcnt(0)
	v_mov_b32_e32 v1, s47
	v_add_u32_e32 v12, 0x80, v12
	global_store_byte v0, v1, s[26:27]
	s_or_b64 exec, exec, s[40:41]
	v_cmp_gt_i32_e32 vcc, s48, v12
	s_and_saveexec_b64 s[40:41], vcc
	s_cbranch_execnz .LBB5_196
.LBB5_211:
	s_or_b64 exec, exec, s[40:41]
	v_cmp_gt_i32_e32 vcc, s48, v12
	s_and_saveexec_b64 s[40:41], vcc
	s_cbranch_execnz .LBB5_222
.LBB5_212:
	s_or_b64 exec, exec, s[40:41]
                                        ; implicit-def: $vgpr16
                                        ; implicit-def: $vgpr12
	s_waitcnt lgkmcnt(0)
	s_andn2_saveexec_b64 s[0:1], s[24:25]
	s_cbranch_execnz .LBB5_8
.LBB5_213:
	s_endpgm
.LBB5_214:
	v_mov_b32_e32 v2, v12
.LBB5_215:
	s_and_b32 s12, s51, 3
	s_cmp_eq_u32 s12, 0
	s_cbranch_scc1 .LBB5_218
; %bb.216:
	s_lshl_b32 s8, s50, 2
	s_add_u32 s8, s8, s4
	s_addc_u32 s9, s5, 0
	s_add_u32 s8, s8, 0xc4
	s_addc_u32 s9, s9, 0
	s_mul_i32 s10, s50, 12
	s_add_u32 s10, s4, s10
	s_addc_u32 s11, s5, 0
.LBB5_217:                              ; =>This Inner Loop Header: Depth=1
	s_load_dwordx2 s[14:15], s[10:11], 0x4
	s_load_dword s13, s[10:11], 0xc
	s_load_dword s16, s[8:9], 0x0
	s_add_u32 s10, s10, 12
	s_addc_u32 s11, s11, 0
	s_waitcnt lgkmcnt(0)
	v_mul_hi_u32 v1, s15, v2
	v_add_u32_e32 v1, v2, v1
	v_lshrrev_b32_e32 v1, s13, v1
	s_add_u32 s8, s8, 4
	v_mul_lo_u32 v3, v1, s14
	s_addc_u32 s9, s9, 0
	s_add_i32 s12, s12, -1
	v_sub_u32_e32 v3, v2, v3
	s_cmp_lg_u32 s12, 0
	v_mov_b32_e32 v2, v1
	v_mad_u64_u32 v[0:1], s[14:15], v3, s16, v[0:1]
	s_cbranch_scc1 .LBB5_217
.LBB5_218:
	s_cbranch_execnz .LBB5_221
.LBB5_219:
	s_waitcnt lgkmcnt(0)
	v_mul_hi_u32 v0, s1, v12
	v_add_u32_e32 v0, v12, v0
	v_lshrrev_b32_e32 v1, s2, v0
	v_mul_lo_u32 v0, v1, s0
	v_sub_u32_e32 v0, v12, v0
	s_andn2_b64 vcc, exec, s[34:35]
	v_mul_lo_u32 v0, v0, s28
	s_cbranch_vccnz .LBB5_221
; %bb.220:
	v_mul_hi_u32 v2, s30, v1
	v_add_u32_e32 v2, v1, v2
	v_lshrrev_b32_e32 v2, s31, v2
	v_mul_lo_u32 v2, v2, s3
	v_sub_u32_e32 v1, v1, v2
	v_mad_u64_u32 v[0:1], s[8:9], v1, s29, v[0:1]
.LBB5_221:
	s_waitcnt lgkmcnt(0)
	v_mov_b32_e32 v1, s47
	v_add_u32_e32 v12, 0x80, v12
	global_store_byte v0, v1, s[26:27]
	s_or_b64 exec, exec, s[40:41]
	v_cmp_gt_i32_e32 vcc, s48, v12
	s_and_saveexec_b64 s[40:41], vcc
	s_cbranch_execz .LBB5_212
.LBB5_222:
	s_andn2_b64 vcc, exec, s[6:7]
	s_cbranch_vccnz .LBB5_227
; %bb.223:
	s_andn2_b64 vcc, exec, s[38:39]
	s_cbranch_vccnz .LBB5_228
; %bb.224:
	s_add_i32 s49, s49, 1
	s_mov_b32 s42, 0
	s_cmp_eq_u32 s46, 2
	v_mov_b32_e32 v0, 0
	s_cbranch_scc1 .LBB5_229
; %bb.225:
	s_and_b32 s42, s49, 28
	s_mov_b32 s43, 0
	v_mov_b32_e32 v0, 0
	s_mov_b64 s[38:39], s[4:5]
	v_mov_b32_e32 v2, v12
.LBB5_226:                              ; =>This Inner Loop Header: Depth=1
	s_load_dwordx8 s[8:15], s[38:39], 0x4
	s_load_dwordx4 s[16:19], s[38:39], 0x24
	s_load_dwordx4 s[20:23], s[36:37], 0x0
	s_add_u32 s38, s38, 48
	s_addc_u32 s39, s39, 0
	s_waitcnt lgkmcnt(0)
	v_mul_hi_u32 v1, s9, v2
	v_add_u32_e32 v1, v2, v1
	v_lshrrev_b32_e32 v1, s10, v1
	v_mul_lo_u32 v3, v1, s8
	v_mul_hi_u32 v4, s12, v1
	v_sub_u32_e32 v2, v2, v3
	v_add_u32_e32 v3, v1, v4
	v_lshrrev_b32_e32 v3, s13, v3
	v_mul_lo_u32 v4, v3, s11
	v_mul_hi_u32 v5, s15, v3
	v_sub_u32_e32 v1, v1, v4
	v_add_u32_e32 v4, v3, v5
	v_mul_lo_u32 v2, v2, s20
	v_mul_lo_u32 v1, v1, s21
	v_lshrrev_b32_e32 v4, s16, v4
	v_add3_u32 v0, v2, v0, v1
	v_mul_hi_u32 v2, s18, v4
	v_add_u32_e32 v2, v4, v2
	v_mul_lo_u32 v1, v4, s14
	v_lshrrev_b32_e32 v2, s19, v2
	s_add_i32 s43, s43, 4
	v_sub_u32_e32 v1, v3, v1
	v_mul_lo_u32 v3, v2, s17
	s_add_u32 s36, s36, 16
	v_sub_u32_e32 v3, v4, v3
	s_addc_u32 s37, s37, 0
	v_mul_lo_u32 v1, v1, s22
	v_mul_lo_u32 v3, v3, s23
	s_cmp_eq_u32 s42, s43
	v_add3_u32 v0, v1, v0, v3
	s_cbranch_scc0 .LBB5_226
	s_branch .LBB5_230
.LBB5_227:
                                        ; implicit-def: $vgpr0
	s_branch .LBB5_234
.LBB5_228:
	v_mov_b32_e32 v0, 0
	s_branch .LBB5_233
.LBB5_229:
	v_mov_b32_e32 v2, v12
.LBB5_230:
	s_and_b32 s12, s49, 3
	s_cmp_eq_u32 s12, 0
	s_cbranch_scc1 .LBB5_233
; %bb.231:
	s_lshl_b32 s8, s42, 2
	s_add_u32 s8, s8, s4
	s_addc_u32 s9, s5, 0
	s_add_u32 s8, s8, 0xc4
	s_addc_u32 s9, s9, 0
	s_mul_i32 s10, s42, 12
	s_add_u32 s10, s4, s10
	s_addc_u32 s11, s5, 0
.LBB5_232:                              ; =>This Inner Loop Header: Depth=1
	s_load_dwordx2 s[14:15], s[10:11], 0x4
	s_load_dword s13, s[10:11], 0xc
	s_load_dword s16, s[8:9], 0x0
	s_add_u32 s10, s10, 12
	s_addc_u32 s11, s11, 0
	s_waitcnt lgkmcnt(0)
	v_mul_hi_u32 v1, s15, v2
	v_add_u32_e32 v1, v2, v1
	v_lshrrev_b32_e32 v1, s13, v1
	s_add_u32 s8, s8, 4
	v_mul_lo_u32 v3, v1, s14
	s_addc_u32 s9, s9, 0
	s_add_i32 s12, s12, -1
	v_sub_u32_e32 v3, v2, v3
	s_cmp_lg_u32 s12, 0
	v_mov_b32_e32 v2, v1
	v_mad_u64_u32 v[0:1], s[14:15], v3, s16, v[0:1]
	s_cbranch_scc1 .LBB5_232
.LBB5_233:
	s_cbranch_execnz .LBB5_236
.LBB5_234:
	s_waitcnt lgkmcnt(0)
	v_mul_hi_u32 v0, s1, v12
	v_add_u32_e32 v0, v12, v0
	v_lshrrev_b32_e32 v1, s2, v0
	v_mul_lo_u32 v0, v1, s0
	v_sub_u32_e32 v0, v12, v0
	s_andn2_b64 vcc, exec, s[34:35]
	v_mul_lo_u32 v0, v0, s28
	s_cbranch_vccnz .LBB5_236
; %bb.235:
	v_mul_hi_u32 v2, s30, v1
	v_add_u32_e32 v2, v1, v2
	v_lshrrev_b32_e32 v2, s31, v2
	v_mul_lo_u32 v2, v2, s3
	v_sub_u32_e32 v1, v1, v2
	v_mad_u64_u32 v[0:1], s[0:1], v1, s29, v[0:1]
.LBB5_236:
	s_waitcnt lgkmcnt(0)
	v_mov_b32_e32 v1, s47
	global_store_byte v0, v1, s[26:27]
	s_or_b64 exec, exec, s[40:41]
                                        ; implicit-def: $vgpr16
                                        ; implicit-def: $vgpr12
	s_andn2_saveexec_b64 s[0:1], s[24:25]
	s_cbranch_execz .LBB5_213
	s_branch .LBB5_8
	.section	.rodata,"a",@progbits
	.p2align	6, 0x0
	.amdhsa_kernel _ZN2at6native32elementwise_kernel_manual_unrollILi128ELi8EZNS0_22gpu_kernel_impl_nocastINS0_11FillFunctorIhEEEEvRNS_18TensorIteratorBaseERKT_EUlibE_EEviT1_
		.amdhsa_group_segment_fixed_size 0
		.amdhsa_private_segment_fixed_size 0
		.amdhsa_kernarg_size 288
		.amdhsa_user_sgpr_count 6
		.amdhsa_user_sgpr_private_segment_buffer 1
		.amdhsa_user_sgpr_dispatch_ptr 0
		.amdhsa_user_sgpr_queue_ptr 0
		.amdhsa_user_sgpr_kernarg_segment_ptr 1
		.amdhsa_user_sgpr_dispatch_id 0
		.amdhsa_user_sgpr_flat_scratch_init 0
		.amdhsa_user_sgpr_kernarg_preload_length 0
		.amdhsa_user_sgpr_kernarg_preload_offset 0
		.amdhsa_user_sgpr_private_segment_size 0
		.amdhsa_uses_dynamic_stack 0
		.amdhsa_system_sgpr_private_segment_wavefront_offset 0
		.amdhsa_system_sgpr_workgroup_id_x 1
		.amdhsa_system_sgpr_workgroup_id_y 0
		.amdhsa_system_sgpr_workgroup_id_z 0
		.amdhsa_system_sgpr_workgroup_info 0
		.amdhsa_system_vgpr_workitem_id 0
		.amdhsa_next_free_vgpr 17
		.amdhsa_next_free_sgpr 53
		.amdhsa_accum_offset 20
		.amdhsa_reserve_vcc 1
		.amdhsa_reserve_flat_scratch 0
		.amdhsa_float_round_mode_32 0
		.amdhsa_float_round_mode_16_64 0
		.amdhsa_float_denorm_mode_32 3
		.amdhsa_float_denorm_mode_16_64 3
		.amdhsa_dx10_clamp 1
		.amdhsa_ieee_mode 1
		.amdhsa_fp16_overflow 0
		.amdhsa_tg_split 0
		.amdhsa_exception_fp_ieee_invalid_op 0
		.amdhsa_exception_fp_denorm_src 0
		.amdhsa_exception_fp_ieee_div_zero 0
		.amdhsa_exception_fp_ieee_overflow 0
		.amdhsa_exception_fp_ieee_underflow 0
		.amdhsa_exception_fp_ieee_inexact 0
		.amdhsa_exception_int_div_zero 0
	.end_amdhsa_kernel
	.section	.text._ZN2at6native32elementwise_kernel_manual_unrollILi128ELi8EZNS0_22gpu_kernel_impl_nocastINS0_11FillFunctorIhEEEEvRNS_18TensorIteratorBaseERKT_EUlibE_EEviT1_,"axG",@progbits,_ZN2at6native32elementwise_kernel_manual_unrollILi128ELi8EZNS0_22gpu_kernel_impl_nocastINS0_11FillFunctorIhEEEEvRNS_18TensorIteratorBaseERKT_EUlibE_EEviT1_,comdat
.Lfunc_end5:
	.size	_ZN2at6native32elementwise_kernel_manual_unrollILi128ELi8EZNS0_22gpu_kernel_impl_nocastINS0_11FillFunctorIhEEEEvRNS_18TensorIteratorBaseERKT_EUlibE_EEviT1_, .Lfunc_end5-_ZN2at6native32elementwise_kernel_manual_unrollILi128ELi8EZNS0_22gpu_kernel_impl_nocastINS0_11FillFunctorIhEEEEvRNS_18TensorIteratorBaseERKT_EUlibE_EEviT1_
                                        ; -- End function
	.section	.AMDGPU.csdata,"",@progbits
; Kernel info:
; codeLenInByte = 9664
; NumSgprs: 57
; NumVgprs: 17
; NumAgprs: 0
; TotalNumVgprs: 17
; ScratchSize: 0
; MemoryBound: 0
; FloatMode: 240
; IeeeMode: 1
; LDSByteSize: 0 bytes/workgroup (compile time only)
; SGPRBlocks: 7
; VGPRBlocks: 2
; NumSGPRsForWavesPerEU: 57
; NumVGPRsForWavesPerEU: 17
; AccumOffset: 20
; Occupancy: 8
; WaveLimiterHint : 1
; COMPUTE_PGM_RSRC2:SCRATCH_EN: 0
; COMPUTE_PGM_RSRC2:USER_SGPR: 6
; COMPUTE_PGM_RSRC2:TRAP_HANDLER: 0
; COMPUTE_PGM_RSRC2:TGID_X_EN: 1
; COMPUTE_PGM_RSRC2:TGID_Y_EN: 0
; COMPUTE_PGM_RSRC2:TGID_Z_EN: 0
; COMPUTE_PGM_RSRC2:TIDIG_COMP_CNT: 0
; COMPUTE_PGM_RSRC3_GFX90A:ACCUM_OFFSET: 4
; COMPUTE_PGM_RSRC3_GFX90A:TG_SPLIT: 0
	.section	.text._ZN2at6native32elementwise_kernel_manual_unrollILi128ELi4EZNS0_15gpu_kernel_implINS0_11FillFunctorIhEEEEvRNS_18TensorIteratorBaseERKT_EUlibE_EEviT1_,"axG",@progbits,_ZN2at6native32elementwise_kernel_manual_unrollILi128ELi4EZNS0_15gpu_kernel_implINS0_11FillFunctorIhEEEEvRNS_18TensorIteratorBaseERKT_EUlibE_EEviT1_,comdat
	.protected	_ZN2at6native32elementwise_kernel_manual_unrollILi128ELi4EZNS0_15gpu_kernel_implINS0_11FillFunctorIhEEEEvRNS_18TensorIteratorBaseERKT_EUlibE_EEviT1_ ; -- Begin function _ZN2at6native32elementwise_kernel_manual_unrollILi128ELi4EZNS0_15gpu_kernel_implINS0_11FillFunctorIhEEEEvRNS_18TensorIteratorBaseERKT_EUlibE_EEviT1_
	.globl	_ZN2at6native32elementwise_kernel_manual_unrollILi128ELi4EZNS0_15gpu_kernel_implINS0_11FillFunctorIhEEEEvRNS_18TensorIteratorBaseERKT_EUlibE_EEviT1_
	.p2align	8
	.type	_ZN2at6native32elementwise_kernel_manual_unrollILi128ELi4EZNS0_15gpu_kernel_implINS0_11FillFunctorIhEEEEvRNS_18TensorIteratorBaseERKT_EUlibE_EEviT1_,@function
_ZN2at6native32elementwise_kernel_manual_unrollILi128ELi4EZNS0_15gpu_kernel_implINS0_11FillFunctorIhEEEEvRNS_18TensorIteratorBaseERKT_EUlibE_EEviT1_: ; @_ZN2at6native32elementwise_kernel_manual_unrollILi128ELi4EZNS0_15gpu_kernel_implINS0_11FillFunctorIhEEEEvRNS_18TensorIteratorBaseERKT_EUlibE_EEviT1_
; %bb.0:
	s_load_dwordx4 s[20:23], s[4:5], 0x8
	s_load_dword s33, s[4:5], 0x0
	v_lshl_or_b32 v24, s6, 9, v0
	v_or_b32_e32 v0, 0x180, v24
	s_mov_b64 s[18:19], 0
	s_waitcnt lgkmcnt(0)
	v_lshrrev_b16_e64 v8, 8, s23
	v_cmp_le_i32_e32 vcc, s33, v0
	s_mov_b64 s[2:3], 0
	s_and_saveexec_b64 s[0:1], vcc
	s_xor_b64 s[24:25], exec, s[0:1]
	s_cbranch_execz .LBB6_404
; %bb.1:
	v_mov_b32_e32 v0, 0xff
	v_and_b32_e32 v9, s23, v0
	v_and_b32_e32 v0, 0xffff, v9
	v_cvt_f32_ubyte0_e32 v4, v0
	v_and_b32_e32 v2, 0x400000, v4
	v_lshrrev_b32_e32 v1, 23, v4
	v_cmp_ne_u32_e32 vcc, 0, v2
	v_and_b32_e32 v2, 0x3fffff, v4
	s_movk_i32 s0, 0xff
	v_or_b32_e32 v2, v1, v2
	v_cmp_eq_u32_e64 s[16:17], s0, v1
	v_cmp_ne_u32_e64 s[0:1], 0, v2
	s_and_b64 s[0:1], vcc, s[0:1]
	v_cndmask_b32_e64 v2, 0, 1, s[0:1]
	s_mov_b32 s0, 0x43800000
	v_cmp_gt_u32_e64 s[14:15], s0, v4
	s_mov_b32 s0, 0x3bffffff
	v_add_f32_e32 v22, 0x46000000, v4
	v_add_u32_e32 v23, v1, v2
	v_cmp_lt_u32_e64 s[12:13], s0, v4
	v_bfe_u32 v1, v4, 20, 1
	v_readfirstlane_b32 s0, v22
	s_mov_b32 s2, 0x47800000
	s_and_b32 s26, s23, 0xff
	v_add_u32_e32 v1, v4, v1
	s_and_b32 s0, s0, 0xff
	v_cmp_gt_u32_e64 s[10:11], s2, v4
	s_mov_b32 s2, 0x37ffffff
	v_add_f32_e32 v19, 0x42800000, v4
	v_add_u32_e32 v2, 0x487ffff, v1
	s_cmp_lg_u32 s0, 0
	v_cmp_lt_u32_e64 s[8:9], s2, v4
	v_readfirstlane_b32 s2, v19
	v_lshrrev_b32_e32 v21, 20, v2
	s_cselect_b64 s[30:31], -1, 0
	v_bfe_u32 v2, v4, 21, 1
	s_and_b32 s2, s2, 0xff
	v_add_u32_e32 v2, v4, v2
	s_cmp_lg_u32 s2, 0
	s_mov_b32 s2, 0x43efffff
	v_add_u32_e32 v3, 0x88fffff, v2
	v_cmp_lt_u32_e64 s[4:5], s2, v4
	s_mov_b32 s2, 0x3c800000
	v_add_u32_e32 v1, 0x407ffff, v1
	v_lshrrev_b32_e32 v18, 21, v3
	v_cmp_gt_u32_e64 s[6:7], s2, v4
	v_lshrrev_b32_e32 v3, 20, v1
	v_and_b32_e32 v1, 0xff00000, v1
	s_mov_b32 s2, 0x7f00000
	v_mov_b32_e32 v5, 0x7e
	v_cmp_ne_u32_e32 vcc, s2, v1
	v_add_u32_e32 v1, 0x80fffff, v2
	s_mov_b32 s34, 0x7f800000
	v_cndmask_b32_e32 v16, v5, v3, vcc
	v_lshrrev_b32_e32 v13, 21, v1
	v_mov_b32_e32 v1, 0x7f
	v_cmp_lt_u32_e32 vcc, s34, v4
	v_mov_b32_e32 v2, 0x7c
	v_cndmask_b32_e32 v20, v5, v1, vcc
	v_cndmask_b32_e32 v15, v2, v1, vcc
	v_bfe_u32 v1, v4, 16, 1
	v_add_u32_e32 v1, v4, v1
	s_mov_b32 s0, 0x477fffff
	s_mov_b32 s2, 0x38800000
	v_add_u32_e32 v1, 0x7fff, v1
	v_cmp_ne_u16_e32 vcc, 0, v9
	s_mov_b32 s27, 0
	v_cmp_lt_u32_e64 s[0:1], s0, v4
	s_cselect_b64 s[28:29], -1, 0
	v_add_f32_e32 v17, 0x46800000, v4
	v_cmp_gt_u32_e64 s[2:3], s2, v4
	v_add_f32_e32 v14, 0x43000000, v4
	v_lshrrev_b32_e32 v12, 16, v1
	v_cndmask_b32_e64 v11, 0, 1, vcc
	v_cvt_f64_u32_e32 v[0:1], v0
	v_cvt_f16_u16_e32 v10, v9
	v_cmp_gt_i32_e32 vcc, s33, v24
	s_mov_b64 s[38:39], -1
	s_mov_b64 s[40:41], 0
	s_mov_b64 s[34:35], 0
	s_and_saveexec_b64 s[36:37], vcc
	s_cbranch_execz .LBB6_100
; %bb.2:
	v_mul_lo_u32 v2, v24, s22
	v_ashrrev_i32_e32 v3, 31, v2
	v_mov_b32_e32 v5, s21
	v_add_co_u32_e32 v6, vcc, s20, v2
	v_addc_co_u32_e32 v7, vcc, v5, v3, vcc
	v_cmp_gt_i16_e32 vcc, 11, v8
	s_cbranch_vccnz .LBB6_9
; %bb.3:
	v_cmp_lt_i16_e32 vcc, 25, v8
	s_cbranch_vccz .LBB6_12
; %bb.4:
	v_cmp_lt_i16_e32 vcc, 28, v8
	s_cbranch_vccz .LBB6_13
	;; [unrolled: 3-line block ×4, first 2 shown]
; %bb.7:
	v_cmp_eq_u16_e32 vcc, 46, v8
	s_mov_b64 s[42:43], 0
	s_mov_b64 s[34:35], -1
	s_mov_b64 s[38:39], 0
	s_cbranch_vccz .LBB6_16
; %bb.8:
	global_store_dword v[6:7], v12, off
	s_mov_b64 s[38:39], -1
	s_mov_b64 s[34:35], 0
	s_branch .LBB6_16
.LBB6_9:
	s_mov_b64 s[38:39], 0
	s_cbranch_execnz .LBB6_60
.LBB6_10:
	s_andn2_b64 vcc, exec, s[38:39]
	s_cbranch_vccnz .LBB6_98
.LBB6_11:
	v_add_u32_e32 v24, 0x80, v24
	s_mov_b64 s[38:39], -1
	s_branch .LBB6_99
.LBB6_12:
	s_mov_b64 s[38:39], 0
	s_cbranch_execnz .LBB6_38
	s_branch .LBB6_59
.LBB6_13:
	s_mov_b64 s[42:43], -1
	s_mov_b64 s[38:39], 0
	s_branch .LBB6_24
.LBB6_14:
	s_mov_b64 s[42:43], -1
	s_mov_b64 s[38:39], 0
	s_branch .LBB6_20
.LBB6_15:
	s_mov_b64 s[42:43], -1
	s_mov_b64 s[38:39], 0
.LBB6_16:
	s_and_b64 vcc, exec, s[42:43]
	s_cbranch_vccz .LBB6_19
; %bb.17:
	v_cmp_eq_u16_e32 vcc, 44, v8
	s_mov_b64 s[34:35], -1
	s_cbranch_vccz .LBB6_19
; %bb.18:
	v_mov_b32_e32 v2, 0xff
	v_cndmask_b32_e64 v2, v23, v2, s[16:17]
	global_store_byte v[6:7], v2, off
	s_mov_b64 s[38:39], -1
	s_mov_b64 s[34:35], 0
.LBB6_19:
	s_mov_b64 s[42:43], 0
.LBB6_20:
	s_and_b64 vcc, exec, s[42:43]
	s_cbranch_vccz .LBB6_23
; %bb.21:
	v_cmp_eq_u16_e32 vcc, 29, v8
	s_mov_b64 s[34:35], -1
	s_cbranch_vccz .LBB6_23
; %bb.22:
	v_pk_mov_b32 v[2:3], s[26:27], s[26:27] op_sel:[0,1]
	global_store_dwordx2 v[6:7], v[2:3], off
	s_mov_b64 s[38:39], -1
	s_mov_b64 s[34:35], 0
.LBB6_23:
	s_mov_b64 s[42:43], 0
.LBB6_24:
	s_and_b64 vcc, exec, s[42:43]
	s_cbranch_vccz .LBB6_37
; %bb.25:
	v_cmp_gt_i16_e32 vcc, 27, v8
	s_mov_b64 s[38:39], -1
	s_cbranch_vccnz .LBB6_31
; %bb.26:
	v_cmp_lt_i16_e32 vcc, 27, v8
	s_cbranch_vccz .LBB6_28
; %bb.27:
	v_mov_b32_e32 v2, s26
	s_mov_b64 s[38:39], 0
	global_store_dword v[6:7], v2, off
.LBB6_28:
	s_andn2_b64 vcc, exec, s[38:39]
	s_cbranch_vccnz .LBB6_30
; %bb.29:
	global_store_short v[6:7], v9, off
.LBB6_30:
	s_mov_b64 s[38:39], 0
.LBB6_31:
	s_andn2_b64 vcc, exec, s[38:39]
	s_cbranch_vccnz .LBB6_36
; %bb.32:
	s_andn2_b64 vcc, exec, s[14:15]
	v_mov_b32_e32 v2, 0x80
	s_cbranch_vccnz .LBB6_35
; %bb.33:
	s_or_b64 s[38:39], s[12:13], s[30:31]
	s_andn2_b64 vcc, exec, s[38:39]
	v_mov_b32_e32 v2, 0
	s_cbranch_vccnz .LBB6_35
; %bb.34:
	v_cndmask_b32_e64 v2, v22, v21, s[12:13]
.LBB6_35:
	global_store_byte v[6:7], v2, off
.LBB6_36:
	s_mov_b64 s[38:39], -1
.LBB6_37:
	s_branch .LBB6_59
.LBB6_38:
	v_cmp_lt_i16_e32 vcc, 22, v8
	s_mov_b64 s[42:43], -1
	s_cbranch_vccz .LBB6_51
; %bb.39:
	v_cmp_gt_i16_e32 vcc, 24, v8
	s_mov_b64 s[38:39], -1
	s_cbranch_vccnz .LBB6_48
; %bb.40:
	v_cmp_lt_i16_e32 vcc, 24, v8
	s_cbranch_vccz .LBB6_45
; %bb.41:
	s_andn2_b64 vcc, exec, s[10:11]
	v_mov_b32_e32 v2, 0x80
	s_cbranch_vccnz .LBB6_44
; %bb.42:
	s_or_b64 s[38:39], s[8:9], s[28:29]
	s_andn2_b64 vcc, exec, s[38:39]
	v_mov_b32_e32 v2, 0
	s_cbranch_vccnz .LBB6_44
; %bb.43:
	v_cndmask_b32_e64 v2, v19, v18, s[8:9]
.LBB6_44:
	s_mov_b64 s[38:39], 0
	global_store_byte v[6:7], v2, off
.LBB6_45:
	s_and_b64 vcc, exec, s[38:39]
	s_cbranch_vccz .LBB6_47
; %bb.46:
	v_cndmask_b32_e64 v2, v16, v17, s[6:7]
	v_cndmask_b32_e64 v2, v2, v20, s[4:5]
	global_store_byte v[6:7], v2, off
.LBB6_47:
	s_mov_b64 s[38:39], 0
.LBB6_48:
	s_andn2_b64 vcc, exec, s[38:39]
	s_cbranch_vccnz .LBB6_50
; %bb.49:
	v_cndmask_b32_e64 v2, v13, v14, s[2:3]
	v_cndmask_b32_e64 v2, v2, v15, s[0:1]
	global_store_byte v[6:7], v2, off
.LBB6_50:
	s_mov_b64 s[42:43], 0
	s_mov_b64 s[38:39], -1
.LBB6_51:
	s_andn2_b64 vcc, exec, s[42:43]
	s_cbranch_vccnz .LBB6_59
; %bb.52:
	v_cmp_lt_i16_e32 vcc, 14, v8
	s_mov_b64 s[42:43], -1
	s_cbranch_vccz .LBB6_56
; %bb.53:
	v_cmp_eq_u16_e32 vcc, 15, v8
	s_mov_b64 s[34:35], -1
	s_cbranch_vccz .LBB6_55
; %bb.54:
	global_store_short v[6:7], v12, off
	s_mov_b64 s[38:39], -1
	s_mov_b64 s[34:35], 0
.LBB6_55:
	s_mov_b64 s[42:43], 0
.LBB6_56:
	s_and_b64 vcc, exec, s[42:43]
	s_cbranch_vccz .LBB6_59
; %bb.57:
	v_cmp_eq_u16_e32 vcc, 11, v8
	s_mov_b64 s[34:35], -1
	s_cbranch_vccz .LBB6_59
; %bb.58:
	s_mov_b64 s[38:39], -1
	s_mov_b64 s[34:35], 0
	global_store_byte v[6:7], v11, off
.LBB6_59:
	s_branch .LBB6_10
.LBB6_60:
	v_cmp_gt_i16_e32 vcc, 5, v8
	s_mov_b64 s[38:39], -1
	s_cbranch_vccnz .LBB6_81
; %bb.61:
	v_cmp_gt_i16_e32 vcc, 8, v8
	s_cbranch_vccnz .LBB6_71
; %bb.62:
	v_cmp_gt_i16_e32 vcc, 9, v8
	s_cbranch_vccnz .LBB6_68
; %bb.63:
	v_cmp_lt_i16_e32 vcc, 9, v8
	s_cbranch_vccz .LBB6_65
; %bb.64:
	v_mov_b32_e32 v2, 0
	v_mov_b32_e32 v3, v2
	global_store_dwordx4 v[6:7], v[0:3], off
	s_mov_b64 s[38:39], 0
.LBB6_65:
	s_andn2_b64 vcc, exec, s[38:39]
	s_cbranch_vccnz .LBB6_67
; %bb.66:
	v_mov_b32_e32 v5, 0
	global_store_dwordx2 v[6:7], v[4:5], off
.LBB6_67:
	s_mov_b64 s[38:39], 0
.LBB6_68:
	s_andn2_b64 vcc, exec, s[38:39]
	s_cbranch_vccnz .LBB6_70
; %bb.69:
	global_store_dword v[6:7], v10, off
.LBB6_70:
	s_mov_b64 s[38:39], 0
.LBB6_71:
	s_andn2_b64 vcc, exec, s[38:39]
	s_cbranch_vccnz .LBB6_80
; %bb.72:
	v_cmp_gt_i16_e32 vcc, 6, v8
	s_mov_b64 s[38:39], -1
	s_cbranch_vccnz .LBB6_78
; %bb.73:
	v_cmp_lt_i16_e32 vcc, 6, v8
	s_cbranch_vccz .LBB6_75
; %bb.74:
	global_store_dwordx2 v[6:7], v[0:1], off
	s_mov_b64 s[38:39], 0
.LBB6_75:
	s_andn2_b64 vcc, exec, s[38:39]
	s_cbranch_vccnz .LBB6_77
; %bb.76:
	global_store_dword v[6:7], v4, off
.LBB6_77:
	s_mov_b64 s[38:39], 0
.LBB6_78:
	s_andn2_b64 vcc, exec, s[38:39]
	s_cbranch_vccnz .LBB6_80
; %bb.79:
	global_store_short v[6:7], v10, off
.LBB6_80:
	s_mov_b64 s[38:39], 0
.LBB6_81:
	s_andn2_b64 vcc, exec, s[38:39]
	s_cbranch_vccnz .LBB6_97
; %bb.82:
	v_cmp_gt_i16_e32 vcc, 2, v8
	s_mov_b64 s[38:39], -1
	s_cbranch_vccnz .LBB6_92
; %bb.83:
	v_cmp_gt_i16_e32 vcc, 3, v8
	s_cbranch_vccnz .LBB6_89
; %bb.84:
	v_cmp_lt_i16_e32 vcc, 3, v8
	s_cbranch_vccz .LBB6_86
; %bb.85:
	v_pk_mov_b32 v[2:3], s[26:27], s[26:27] op_sel:[0,1]
	global_store_dwordx2 v[6:7], v[2:3], off
	s_mov_b64 s[38:39], 0
.LBB6_86:
	s_andn2_b64 vcc, exec, s[38:39]
	s_cbranch_vccnz .LBB6_88
; %bb.87:
	v_mov_b32_e32 v2, s26
	global_store_dword v[6:7], v2, off
.LBB6_88:
	s_mov_b64 s[38:39], 0
.LBB6_89:
	s_andn2_b64 vcc, exec, s[38:39]
	s_cbranch_vccnz .LBB6_91
; %bb.90:
	global_store_short v[6:7], v9, off
.LBB6_91:
	s_mov_b64 s[38:39], 0
.LBB6_92:
	s_andn2_b64 vcc, exec, s[38:39]
	s_cbranch_vccnz .LBB6_97
; %bb.93:
	v_cmp_lt_i16_e32 vcc, 0, v8
	s_mov_b64 s[38:39], -1
	s_cbranch_vccz .LBB6_95
; %bb.94:
	v_mov_b32_e32 v2, s23
	global_store_byte v[6:7], v2, off
	s_mov_b64 s[38:39], 0
.LBB6_95:
	s_andn2_b64 vcc, exec, s[38:39]
	s_cbranch_vccnz .LBB6_97
; %bb.96:
	v_mov_b32_e32 v2, s23
	global_store_byte v[6:7], v2, off
.LBB6_97:
	s_branch .LBB6_11
.LBB6_98:
	s_mov_b64 s[38:39], 0
                                        ; implicit-def: $vgpr24
.LBB6_99:
	s_and_b64 s[34:35], s[34:35], exec
	s_orn2_b64 s[38:39], s[38:39], exec
.LBB6_100:
	s_or_b64 exec, exec, s[36:37]
	s_mov_b64 s[42:43], 0
                                        ; implicit-def: $vgpr6_vgpr7
	s_and_saveexec_b64 s[36:37], s[38:39]
	s_cbranch_execz .LBB6_109
; %bb.101:
	v_cmp_gt_i32_e32 vcc, s33, v24
	s_mov_b64 s[44:45], -1
	s_mov_b64 s[38:39], s[34:35]
	s_and_saveexec_b64 s[40:41], vcc
	s_cbranch_execz .LBB6_204
; %bb.102:
	v_mul_lo_u32 v2, v24, s22
	v_ashrrev_i32_e32 v3, 31, v2
	v_mov_b32_e32 v5, s21
	v_add_co_u32_e32 v6, vcc, s20, v2
	v_addc_co_u32_e32 v7, vcc, v5, v3, vcc
	v_cmp_gt_i16_e32 vcc, 11, v8
	s_cbranch_vccnz .LBB6_112
; %bb.103:
	v_cmp_lt_i16_e32 vcc, 25, v8
	s_cbranch_vccz .LBB6_115
; %bb.104:
	v_cmp_lt_i16_e32 vcc, 28, v8
	s_cbranch_vccz .LBB6_116
	;; [unrolled: 3-line block ×4, first 2 shown]
; %bb.107:
	v_cmp_eq_u16_e32 vcc, 46, v8
	s_mov_b64 s[44:45], 0
	s_mov_b64 s[38:39], -1
	s_cbranch_vccz .LBB6_119
; %bb.108:
	global_store_dword v[6:7], v12, off
	s_mov_b64 s[42:43], -1
	s_mov_b64 s[38:39], 0
	s_branch .LBB6_119
.LBB6_109:
	s_or_b64 exec, exec, s[36:37]
	s_mov_b64 s[0:1], 0
	s_and_saveexec_b64 s[2:3], s[34:35]
	s_cbranch_execnz .LBB6_364
.LBB6_110:
	s_or_b64 exec, exec, s[2:3]
	s_and_saveexec_b64 s[2:3], s[40:41]
	s_xor_b64 s[2:3], exec, s[2:3]
	s_cbranch_execz .LBB6_365
.LBB6_111:
	global_store_byte v[6:7], v11, off
	s_or_b64 exec, exec, s[2:3]
	s_and_saveexec_b64 s[2:3], s[42:43]
	s_xor_b64 s[2:3], exec, s[2:3]
	s_cbranch_execz .LBB6_403
	s_branch .LBB6_366
.LBB6_112:
	s_mov_b64 s[38:39], s[34:35]
	s_and_b64 vcc, exec, s[44:45]
	s_cbranch_vccnz .LBB6_164
.LBB6_113:
	s_andn2_b64 vcc, exec, s[42:43]
	s_cbranch_vccnz .LBB6_202
.LBB6_114:
	v_add_u32_e32 v24, 0x80, v24
	s_mov_b64 s[42:43], -1
	s_branch .LBB6_203
.LBB6_115:
	s_mov_b64 s[38:39], s[34:35]
	s_branch .LBB6_141
.LBB6_116:
	s_mov_b64 s[38:39], s[34:35]
	s_branch .LBB6_127
.LBB6_117:
	s_mov_b64 s[38:39], s[34:35]
	s_branch .LBB6_123
.LBB6_118:
	s_mov_b64 s[38:39], s[34:35]
.LBB6_119:
	s_and_b64 vcc, exec, s[44:45]
	s_cbranch_vccz .LBB6_122
; %bb.120:
	v_cmp_eq_u16_e32 vcc, 44, v8
	s_mov_b64 s[38:39], -1
	s_cbranch_vccz .LBB6_122
; %bb.121:
	v_mov_b32_e32 v2, 0xff
	v_cndmask_b32_e64 v2, v23, v2, s[16:17]
	s_mov_b64 s[42:43], -1
	s_mov_b64 s[38:39], 0
	global_store_byte v[6:7], v2, off
.LBB6_122:
	s_mov_b64 s[44:45], 0
.LBB6_123:
	s_and_b64 vcc, exec, s[44:45]
	s_cbranch_vccz .LBB6_126
; %bb.124:
	v_cmp_eq_u16_e32 vcc, 29, v8
	s_mov_b64 s[38:39], -1
	s_cbranch_vccz .LBB6_126
; %bb.125:
	v_pk_mov_b32 v[2:3], s[26:27], s[26:27] op_sel:[0,1]
	global_store_dwordx2 v[6:7], v[2:3], off
	s_mov_b64 s[42:43], -1
	s_mov_b64 s[38:39], 0
.LBB6_126:
	s_mov_b64 s[44:45], 0
.LBB6_127:
	s_and_b64 vcc, exec, s[44:45]
	s_cbranch_vccz .LBB6_140
; %bb.128:
	v_cmp_gt_i16_e32 vcc, 27, v8
	s_mov_b64 s[42:43], -1
	s_cbranch_vccnz .LBB6_134
; %bb.129:
	v_cmp_lt_i16_e32 vcc, 27, v8
	s_cbranch_vccz .LBB6_131
; %bb.130:
	v_mov_b32_e32 v2, s26
	s_mov_b64 s[42:43], 0
	global_store_dword v[6:7], v2, off
.LBB6_131:
	s_andn2_b64 vcc, exec, s[42:43]
	s_cbranch_vccnz .LBB6_133
; %bb.132:
	global_store_short v[6:7], v9, off
.LBB6_133:
	s_mov_b64 s[42:43], 0
.LBB6_134:
	s_andn2_b64 vcc, exec, s[42:43]
	s_cbranch_vccnz .LBB6_139
; %bb.135:
	s_andn2_b64 vcc, exec, s[14:15]
	v_mov_b32_e32 v2, 0x80
	s_cbranch_vccnz .LBB6_138
; %bb.136:
	s_or_b64 s[42:43], s[12:13], s[30:31]
	s_andn2_b64 vcc, exec, s[42:43]
	v_mov_b32_e32 v2, 0
	s_cbranch_vccnz .LBB6_138
; %bb.137:
	v_cndmask_b32_e64 v2, v22, v21, s[12:13]
.LBB6_138:
	global_store_byte v[6:7], v2, off
.LBB6_139:
	s_mov_b64 s[42:43], -1
.LBB6_140:
	s_mov_b64 s[44:45], 0
.LBB6_141:
	s_and_b64 vcc, exec, s[44:45]
	s_cbranch_vccz .LBB6_163
; %bb.142:
	v_cmp_lt_i16_e32 vcc, 22, v8
	s_mov_b64 s[44:45], -1
	s_cbranch_vccz .LBB6_155
; %bb.143:
	v_cmp_gt_i16_e32 vcc, 24, v8
	s_mov_b64 s[42:43], -1
	s_cbranch_vccnz .LBB6_152
; %bb.144:
	v_cmp_lt_i16_e32 vcc, 24, v8
	s_cbranch_vccz .LBB6_149
; %bb.145:
	s_andn2_b64 vcc, exec, s[10:11]
	v_mov_b32_e32 v2, 0x80
	s_cbranch_vccnz .LBB6_148
; %bb.146:
	s_or_b64 s[42:43], s[8:9], s[28:29]
	s_andn2_b64 vcc, exec, s[42:43]
	v_mov_b32_e32 v2, 0
	s_cbranch_vccnz .LBB6_148
; %bb.147:
	v_cndmask_b32_e64 v2, v19, v18, s[8:9]
.LBB6_148:
	s_mov_b64 s[42:43], 0
	global_store_byte v[6:7], v2, off
.LBB6_149:
	s_and_b64 vcc, exec, s[42:43]
	s_cbranch_vccz .LBB6_151
; %bb.150:
	v_cndmask_b32_e64 v2, v16, v17, s[6:7]
	v_cndmask_b32_e64 v2, v2, v20, s[4:5]
	global_store_byte v[6:7], v2, off
.LBB6_151:
	s_mov_b64 s[42:43], 0
.LBB6_152:
	s_andn2_b64 vcc, exec, s[42:43]
	s_cbranch_vccnz .LBB6_154
; %bb.153:
	v_cndmask_b32_e64 v2, v13, v14, s[2:3]
	v_cndmask_b32_e64 v2, v2, v15, s[0:1]
	global_store_byte v[6:7], v2, off
.LBB6_154:
	s_mov_b64 s[44:45], 0
	s_mov_b64 s[42:43], -1
.LBB6_155:
	s_andn2_b64 vcc, exec, s[44:45]
	s_cbranch_vccnz .LBB6_163
; %bb.156:
	v_cmp_lt_i16_e32 vcc, 14, v8
	s_mov_b64 s[44:45], -1
	s_cbranch_vccz .LBB6_160
; %bb.157:
	v_cmp_eq_u16_e32 vcc, 15, v8
	s_mov_b64 s[38:39], -1
	s_cbranch_vccz .LBB6_159
; %bb.158:
	global_store_short v[6:7], v12, off
	s_mov_b64 s[42:43], -1
	s_mov_b64 s[38:39], 0
.LBB6_159:
	s_mov_b64 s[44:45], 0
.LBB6_160:
	s_and_b64 vcc, exec, s[44:45]
	s_cbranch_vccz .LBB6_163
; %bb.161:
	v_cmp_eq_u16_e32 vcc, 11, v8
	s_mov_b64 s[38:39], -1
	s_cbranch_vccz .LBB6_163
; %bb.162:
	s_mov_b64 s[42:43], -1
	s_mov_b64 s[38:39], 0
	global_store_byte v[6:7], v11, off
.LBB6_163:
	s_branch .LBB6_113
.LBB6_164:
	v_cmp_gt_i16_e32 vcc, 5, v8
	s_mov_b64 s[42:43], -1
	s_cbranch_vccnz .LBB6_185
; %bb.165:
	v_cmp_gt_i16_e32 vcc, 8, v8
	s_cbranch_vccnz .LBB6_175
; %bb.166:
	v_cmp_gt_i16_e32 vcc, 9, v8
	s_cbranch_vccnz .LBB6_172
; %bb.167:
	v_cmp_lt_i16_e32 vcc, 9, v8
	s_cbranch_vccz .LBB6_169
; %bb.168:
	v_mov_b32_e32 v2, 0
	v_mov_b32_e32 v3, v2
	s_mov_b64 s[42:43], 0
	global_store_dwordx4 v[6:7], v[0:3], off
.LBB6_169:
	s_andn2_b64 vcc, exec, s[42:43]
	s_cbranch_vccnz .LBB6_171
; %bb.170:
	v_mov_b32_e32 v5, 0
	global_store_dwordx2 v[6:7], v[4:5], off
.LBB6_171:
	s_mov_b64 s[42:43], 0
.LBB6_172:
	s_andn2_b64 vcc, exec, s[42:43]
	s_cbranch_vccnz .LBB6_174
; %bb.173:
	global_store_dword v[6:7], v10, off
.LBB6_174:
	s_mov_b64 s[42:43], 0
.LBB6_175:
	s_andn2_b64 vcc, exec, s[42:43]
	s_cbranch_vccnz .LBB6_184
; %bb.176:
	v_cmp_gt_i16_e32 vcc, 6, v8
	s_mov_b64 s[42:43], -1
	s_cbranch_vccnz .LBB6_182
; %bb.177:
	v_cmp_lt_i16_e32 vcc, 6, v8
	s_cbranch_vccz .LBB6_179
; %bb.178:
	s_mov_b64 s[42:43], 0
	global_store_dwordx2 v[6:7], v[0:1], off
.LBB6_179:
	s_andn2_b64 vcc, exec, s[42:43]
	s_cbranch_vccnz .LBB6_181
; %bb.180:
	global_store_dword v[6:7], v4, off
.LBB6_181:
	s_mov_b64 s[42:43], 0
.LBB6_182:
	s_andn2_b64 vcc, exec, s[42:43]
	s_cbranch_vccnz .LBB6_184
; %bb.183:
	global_store_short v[6:7], v10, off
.LBB6_184:
	s_mov_b64 s[42:43], 0
.LBB6_185:
	s_andn2_b64 vcc, exec, s[42:43]
	s_cbranch_vccnz .LBB6_201
; %bb.186:
	v_cmp_gt_i16_e32 vcc, 2, v8
	s_mov_b64 s[42:43], -1
	s_cbranch_vccnz .LBB6_196
; %bb.187:
	v_cmp_gt_i16_e32 vcc, 3, v8
	s_cbranch_vccnz .LBB6_193
; %bb.188:
	v_cmp_lt_i16_e32 vcc, 3, v8
	s_cbranch_vccz .LBB6_190
; %bb.189:
	v_pk_mov_b32 v[2:3], s[26:27], s[26:27] op_sel:[0,1]
	s_mov_b64 s[42:43], 0
	global_store_dwordx2 v[6:7], v[2:3], off
.LBB6_190:
	s_andn2_b64 vcc, exec, s[42:43]
	s_cbranch_vccnz .LBB6_192
; %bb.191:
	v_mov_b32_e32 v2, s26
	global_store_dword v[6:7], v2, off
.LBB6_192:
	s_mov_b64 s[42:43], 0
.LBB6_193:
	s_andn2_b64 vcc, exec, s[42:43]
	s_cbranch_vccnz .LBB6_195
; %bb.194:
	global_store_short v[6:7], v9, off
.LBB6_195:
	s_mov_b64 s[42:43], 0
.LBB6_196:
	s_andn2_b64 vcc, exec, s[42:43]
	s_cbranch_vccnz .LBB6_201
; %bb.197:
	v_cmp_lt_i16_e32 vcc, 0, v8
	s_mov_b64 s[42:43], -1
	s_cbranch_vccz .LBB6_199
; %bb.198:
	v_mov_b32_e32 v2, s23
	s_mov_b64 s[42:43], 0
	global_store_byte v[6:7], v2, off
.LBB6_199:
	s_andn2_b64 vcc, exec, s[42:43]
	s_cbranch_vccnz .LBB6_201
; %bb.200:
	v_mov_b32_e32 v2, s23
	global_store_byte v[6:7], v2, off
.LBB6_201:
	s_branch .LBB6_114
.LBB6_202:
	s_mov_b64 s[42:43], 0
                                        ; implicit-def: $vgpr24
.LBB6_203:
	s_andn2_b64 s[44:45], s[34:35], exec
	s_and_b64 s[38:39], s[38:39], exec
	s_or_b64 s[38:39], s[44:45], s[38:39]
	s_orn2_b64 s[44:45], s[42:43], exec
.LBB6_204:
	s_or_b64 exec, exec, s[40:41]
	s_mov_b64 s[46:47], 0
	s_mov_b64 s[42:43], 0
                                        ; implicit-def: $vgpr6_vgpr7
	s_and_saveexec_b64 s[40:41], s[44:45]
	s_cbranch_execz .LBB6_363
; %bb.205:
	v_cmp_gt_i32_e32 vcc, s33, v24
	s_mov_b64 s[48:49], -1
	s_mov_b64 s[44:45], s[38:39]
	s_and_saveexec_b64 s[42:43], vcc
	s_cbranch_execz .LBB6_306
; %bb.206:
	v_mul_lo_u32 v2, v24, s22
	v_ashrrev_i32_e32 v3, 31, v2
	v_mov_b32_e32 v5, s21
	v_add_co_u32_e32 v6, vcc, s20, v2
	v_addc_co_u32_e32 v7, vcc, v5, v3, vcc
	v_cmp_gt_i16_e32 vcc, 11, v8
	s_cbranch_vccnz .LBB6_213
; %bb.207:
	v_cmp_lt_i16_e32 vcc, 25, v8
	s_cbranch_vccz .LBB6_214
; %bb.208:
	v_cmp_lt_i16_e32 vcc, 28, v8
	s_cbranch_vccz .LBB6_215
; %bb.209:
	v_cmp_lt_i16_e32 vcc, 43, v8
	s_cbranch_vccz .LBB6_216
; %bb.210:
	v_cmp_lt_i16_e32 vcc, 45, v8
	s_cbranch_vccz .LBB6_217
; %bb.211:
	v_cmp_eq_u16_e32 vcc, 46, v8
	s_mov_b64 s[48:49], 0
	s_mov_b64 s[44:45], -1
	s_cbranch_vccz .LBB6_218
; %bb.212:
	global_store_dword v[6:7], v12, off
	s_mov_b64 s[46:47], -1
	s_mov_b64 s[44:45], 0
	s_branch .LBB6_218
.LBB6_213:
	s_mov_b64 s[44:45], s[38:39]
	s_branch .LBB6_263
.LBB6_214:
	s_mov_b64 s[44:45], s[38:39]
	s_branch .LBB6_240
.LBB6_215:
	s_mov_b64 s[44:45], s[38:39]
	s_branch .LBB6_226
.LBB6_216:
	s_mov_b64 s[44:45], s[38:39]
	s_branch .LBB6_222
.LBB6_217:
	s_mov_b64 s[44:45], s[38:39]
.LBB6_218:
	s_and_b64 vcc, exec, s[48:49]
	s_cbranch_vccz .LBB6_221
; %bb.219:
	v_cmp_eq_u16_e32 vcc, 44, v8
	s_mov_b64 s[44:45], -1
	s_cbranch_vccz .LBB6_221
; %bb.220:
	v_mov_b32_e32 v2, 0xff
	v_cndmask_b32_e64 v2, v23, v2, s[16:17]
	s_mov_b64 s[46:47], -1
	s_mov_b64 s[44:45], 0
	global_store_byte v[6:7], v2, off
.LBB6_221:
	s_mov_b64 s[48:49], 0
.LBB6_222:
	s_and_b64 vcc, exec, s[48:49]
	s_cbranch_vccz .LBB6_225
; %bb.223:
	v_cmp_eq_u16_e32 vcc, 29, v8
	s_mov_b64 s[44:45], -1
	s_cbranch_vccz .LBB6_225
; %bb.224:
	v_pk_mov_b32 v[2:3], s[26:27], s[26:27] op_sel:[0,1]
	global_store_dwordx2 v[6:7], v[2:3], off
	s_mov_b64 s[46:47], -1
	s_mov_b64 s[44:45], 0
.LBB6_225:
	s_mov_b64 s[48:49], 0
.LBB6_226:
	s_and_b64 vcc, exec, s[48:49]
	s_cbranch_vccz .LBB6_239
; %bb.227:
	v_cmp_gt_i16_e32 vcc, 27, v8
	s_mov_b64 s[46:47], -1
	s_cbranch_vccnz .LBB6_233
; %bb.228:
	v_cmp_lt_i16_e32 vcc, 27, v8
	s_cbranch_vccz .LBB6_230
; %bb.229:
	v_mov_b32_e32 v2, s26
	s_mov_b64 s[46:47], 0
	global_store_dword v[6:7], v2, off
.LBB6_230:
	s_andn2_b64 vcc, exec, s[46:47]
	s_cbranch_vccnz .LBB6_232
; %bb.231:
	global_store_short v[6:7], v9, off
.LBB6_232:
	s_mov_b64 s[46:47], 0
.LBB6_233:
	s_andn2_b64 vcc, exec, s[46:47]
	s_cbranch_vccnz .LBB6_238
; %bb.234:
	s_andn2_b64 vcc, exec, s[14:15]
	v_mov_b32_e32 v2, 0x80
	s_cbranch_vccnz .LBB6_237
; %bb.235:
	s_or_b64 s[46:47], s[12:13], s[30:31]
	s_andn2_b64 vcc, exec, s[46:47]
	v_mov_b32_e32 v2, 0
	s_cbranch_vccnz .LBB6_237
; %bb.236:
	v_cndmask_b32_e64 v2, v22, v21, s[12:13]
.LBB6_237:
	global_store_byte v[6:7], v2, off
.LBB6_238:
	s_mov_b64 s[46:47], -1
.LBB6_239:
	s_mov_b64 s[48:49], 0
.LBB6_240:
	s_and_b64 vcc, exec, s[48:49]
	s_cbranch_vccz .LBB6_262
; %bb.241:
	v_cmp_lt_i16_e32 vcc, 22, v8
	s_mov_b64 s[48:49], -1
	s_cbranch_vccz .LBB6_254
; %bb.242:
	v_cmp_gt_i16_e32 vcc, 24, v8
	s_mov_b64 s[46:47], -1
	s_cbranch_vccnz .LBB6_251
; %bb.243:
	v_cmp_lt_i16_e32 vcc, 24, v8
	s_cbranch_vccz .LBB6_248
; %bb.244:
	s_andn2_b64 vcc, exec, s[10:11]
	v_mov_b32_e32 v2, 0x80
	s_cbranch_vccnz .LBB6_247
; %bb.245:
	s_or_b64 s[46:47], s[8:9], s[28:29]
	s_andn2_b64 vcc, exec, s[46:47]
	v_mov_b32_e32 v2, 0
	s_cbranch_vccnz .LBB6_247
; %bb.246:
	v_cndmask_b32_e64 v2, v19, v18, s[8:9]
.LBB6_247:
	s_mov_b64 s[46:47], 0
	global_store_byte v[6:7], v2, off
.LBB6_248:
	s_and_b64 vcc, exec, s[46:47]
	s_cbranch_vccz .LBB6_250
; %bb.249:
	v_cndmask_b32_e64 v2, v16, v17, s[6:7]
	v_cndmask_b32_e64 v2, v2, v20, s[4:5]
	global_store_byte v[6:7], v2, off
.LBB6_250:
	s_mov_b64 s[46:47], 0
.LBB6_251:
	s_andn2_b64 vcc, exec, s[46:47]
	s_cbranch_vccnz .LBB6_253
; %bb.252:
	v_cndmask_b32_e64 v2, v13, v14, s[2:3]
	v_cndmask_b32_e64 v2, v2, v15, s[0:1]
	global_store_byte v[6:7], v2, off
.LBB6_253:
	s_mov_b64 s[48:49], 0
	s_mov_b64 s[46:47], -1
.LBB6_254:
	s_andn2_b64 vcc, exec, s[48:49]
	s_cbranch_vccnz .LBB6_262
; %bb.255:
	v_cmp_lt_i16_e32 vcc, 14, v8
	s_mov_b64 s[48:49], -1
	s_cbranch_vccz .LBB6_259
; %bb.256:
	v_cmp_eq_u16_e32 vcc, 15, v8
	s_mov_b64 s[44:45], -1
	s_cbranch_vccz .LBB6_258
; %bb.257:
	global_store_short v[6:7], v12, off
	s_mov_b64 s[46:47], -1
	s_mov_b64 s[44:45], 0
.LBB6_258:
	s_mov_b64 s[48:49], 0
.LBB6_259:
	s_and_b64 vcc, exec, s[48:49]
	s_cbranch_vccz .LBB6_262
; %bb.260:
	v_cmp_eq_u16_e32 vcc, 11, v8
	s_mov_b64 s[44:45], -1
	s_cbranch_vccz .LBB6_262
; %bb.261:
	s_mov_b64 s[46:47], -1
	s_mov_b64 s[44:45], 0
	global_store_byte v[6:7], v11, off
.LBB6_262:
	s_mov_b64 s[48:49], 0
.LBB6_263:
	s_and_b64 vcc, exec, s[48:49]
	s_cbranch_vccz .LBB6_302
; %bb.264:
	v_cmp_gt_i16_e32 vcc, 5, v8
	s_mov_b64 s[46:47], -1
	s_cbranch_vccnz .LBB6_285
; %bb.265:
	v_cmp_gt_i16_e32 vcc, 8, v8
	s_cbranch_vccnz .LBB6_275
; %bb.266:
	v_cmp_gt_i16_e32 vcc, 9, v8
	s_cbranch_vccnz .LBB6_272
; %bb.267:
	v_cmp_lt_i16_e32 vcc, 9, v8
	s_cbranch_vccz .LBB6_269
; %bb.268:
	v_mov_b32_e32 v2, 0
	v_mov_b32_e32 v3, v2
	s_mov_b64 s[46:47], 0
	global_store_dwordx4 v[6:7], v[0:3], off
.LBB6_269:
	s_andn2_b64 vcc, exec, s[46:47]
	s_cbranch_vccnz .LBB6_271
; %bb.270:
	v_mov_b32_e32 v5, 0
	global_store_dwordx2 v[6:7], v[4:5], off
.LBB6_271:
	s_mov_b64 s[46:47], 0
.LBB6_272:
	s_andn2_b64 vcc, exec, s[46:47]
	s_cbranch_vccnz .LBB6_274
; %bb.273:
	global_store_dword v[6:7], v10, off
.LBB6_274:
	s_mov_b64 s[46:47], 0
.LBB6_275:
	s_andn2_b64 vcc, exec, s[46:47]
	s_cbranch_vccnz .LBB6_284
; %bb.276:
	v_cmp_gt_i16_e32 vcc, 6, v8
	s_mov_b64 s[46:47], -1
	s_cbranch_vccnz .LBB6_282
; %bb.277:
	v_cmp_lt_i16_e32 vcc, 6, v8
	s_cbranch_vccz .LBB6_279
; %bb.278:
	s_mov_b64 s[46:47], 0
	global_store_dwordx2 v[6:7], v[0:1], off
.LBB6_279:
	s_andn2_b64 vcc, exec, s[46:47]
	s_cbranch_vccnz .LBB6_281
; %bb.280:
	global_store_dword v[6:7], v4, off
.LBB6_281:
	s_mov_b64 s[46:47], 0
.LBB6_282:
	s_andn2_b64 vcc, exec, s[46:47]
	s_cbranch_vccnz .LBB6_284
; %bb.283:
	global_store_short v[6:7], v10, off
.LBB6_284:
	s_mov_b64 s[46:47], 0
.LBB6_285:
	s_andn2_b64 vcc, exec, s[46:47]
	s_cbranch_vccnz .LBB6_301
; %bb.286:
	v_cmp_gt_i16_e32 vcc, 2, v8
	s_mov_b64 s[46:47], -1
	s_cbranch_vccnz .LBB6_296
; %bb.287:
	v_cmp_gt_i16_e32 vcc, 3, v8
	s_cbranch_vccnz .LBB6_293
; %bb.288:
	v_cmp_lt_i16_e32 vcc, 3, v8
	s_cbranch_vccz .LBB6_290
; %bb.289:
	v_pk_mov_b32 v[2:3], s[26:27], s[26:27] op_sel:[0,1]
	s_mov_b64 s[46:47], 0
	global_store_dwordx2 v[6:7], v[2:3], off
.LBB6_290:
	s_andn2_b64 vcc, exec, s[46:47]
	s_cbranch_vccnz .LBB6_292
; %bb.291:
	v_mov_b32_e32 v2, s26
	global_store_dword v[6:7], v2, off
.LBB6_292:
	s_mov_b64 s[46:47], 0
.LBB6_293:
	s_andn2_b64 vcc, exec, s[46:47]
	s_cbranch_vccnz .LBB6_295
; %bb.294:
	global_store_short v[6:7], v9, off
.LBB6_295:
	s_mov_b64 s[46:47], 0
.LBB6_296:
	s_andn2_b64 vcc, exec, s[46:47]
	s_cbranch_vccnz .LBB6_301
; %bb.297:
	v_cmp_lt_i16_e32 vcc, 0, v8
	s_mov_b64 s[46:47], -1
	s_cbranch_vccz .LBB6_299
; %bb.298:
	v_mov_b32_e32 v2, s23
	s_mov_b64 s[46:47], 0
	global_store_byte v[6:7], v2, off
.LBB6_299:
	s_andn2_b64 vcc, exec, s[46:47]
	s_cbranch_vccnz .LBB6_301
; %bb.300:
	v_mov_b32_e32 v2, s23
	global_store_byte v[6:7], v2, off
.LBB6_301:
	s_mov_b64 s[46:47], -1
.LBB6_302:
	s_andn2_b64 vcc, exec, s[46:47]
	s_cbranch_vccnz .LBB6_304
; %bb.303:
	v_add_u32_e32 v24, 0x80, v24
	s_mov_b64 s[46:47], -1
	s_branch .LBB6_305
.LBB6_304:
	s_mov_b64 s[46:47], 0
                                        ; implicit-def: $vgpr24
.LBB6_305:
	s_andn2_b64 s[48:49], s[38:39], exec
	s_and_b64 s[44:45], s[44:45], exec
	s_or_b64 s[44:45], s[48:49], s[44:45]
	s_orn2_b64 s[48:49], s[46:47], exec
.LBB6_306:
	s_or_b64 exec, exec, s[42:43]
	s_mov_b64 s[46:47], 0
	s_mov_b64 s[52:53], 0
                                        ; implicit-def: $vgpr6_vgpr7
	s_and_saveexec_b64 s[42:43], s[48:49]
	s_cbranch_execz .LBB6_362
; %bb.307:
	v_cmp_gt_i32_e32 vcc, s33, v24
	s_mov_b64 s[50:51], 0
	s_mov_b64 s[48:49], s[44:45]
                                        ; implicit-def: $vgpr6_vgpr7
	s_and_saveexec_b64 s[46:47], vcc
	s_cbranch_execz .LBB6_361
; %bb.308:
	v_mul_lo_u32 v2, v24, s22
	v_ashrrev_i32_e32 v3, 31, v2
	v_mov_b32_e32 v5, s21
	v_add_co_u32_e32 v6, vcc, s20, v2
	v_addc_co_u32_e32 v7, vcc, v5, v3, vcc
	v_cmp_gt_i16_e32 vcc, 11, v8
	s_cbranch_vccnz .LBB6_358
; %bb.309:
	v_cmp_lt_i16_e32 vcc, 25, v8
	s_mov_b64 s[50:51], -1
	s_mov_b64 s[48:49], s[44:45]
	s_cbranch_vccz .LBB6_337
; %bb.310:
	v_cmp_lt_i16_e32 vcc, 28, v8
	s_mov_b64 s[48:49], s[44:45]
	s_cbranch_vccz .LBB6_324
; %bb.311:
	v_cmp_lt_i16_e32 vcc, 43, v8
	;; [unrolled: 4-line block ×3, first 2 shown]
	s_mov_b64 s[48:49], s[44:45]
	s_cbranch_vccz .LBB6_316
; %bb.313:
	v_cmp_eq_u16_e32 vcc, 46, v8
	s_mov_b64 s[48:49], -1
	s_cbranch_vccz .LBB6_315
; %bb.314:
	global_store_dword v[6:7], v12, off
	s_mov_b64 s[48:49], 0
.LBB6_315:
	s_mov_b64 s[50:51], 0
.LBB6_316:
	s_and_b64 vcc, exec, s[50:51]
	s_cbranch_vccz .LBB6_319
; %bb.317:
	v_cmp_eq_u16_e32 vcc, 44, v8
	s_mov_b64 s[48:49], -1
	s_cbranch_vccz .LBB6_319
; %bb.318:
	v_mov_b32_e32 v2, 0xff
	v_cndmask_b32_e64 v2, v23, v2, s[16:17]
	global_store_byte v[6:7], v2, off
	s_mov_b64 s[48:49], 0
.LBB6_319:
	s_mov_b64 s[50:51], 0
.LBB6_320:
	s_and_b64 vcc, exec, s[50:51]
	s_cbranch_vccz .LBB6_323
; %bb.321:
	v_cmp_eq_u16_e32 vcc, 29, v8
	s_mov_b64 s[48:49], -1
	s_cbranch_vccz .LBB6_323
; %bb.322:
	v_pk_mov_b32 v[2:3], s[26:27], s[26:27] op_sel:[0,1]
	global_store_dwordx2 v[6:7], v[2:3], off
	s_mov_b64 s[48:49], 0
.LBB6_323:
	s_mov_b64 s[50:51], 0
.LBB6_324:
	s_and_b64 vcc, exec, s[50:51]
	s_cbranch_vccz .LBB6_336
; %bb.325:
	v_cmp_gt_i16_e32 vcc, 27, v8
	s_mov_b64 s[16:17], -1
	s_cbranch_vccnz .LBB6_331
; %bb.326:
	v_cmp_lt_i16_e32 vcc, 27, v8
	s_cbranch_vccz .LBB6_328
; %bb.327:
	v_mov_b32_e32 v2, s26
	s_mov_b64 s[16:17], 0
	global_store_dword v[6:7], v2, off
.LBB6_328:
	s_andn2_b64 vcc, exec, s[16:17]
	s_cbranch_vccnz .LBB6_330
; %bb.329:
	global_store_short v[6:7], v9, off
.LBB6_330:
	s_mov_b64 s[16:17], 0
.LBB6_331:
	s_andn2_b64 vcc, exec, s[16:17]
	s_cbranch_vccnz .LBB6_336
; %bb.332:
	s_andn2_b64 vcc, exec, s[14:15]
	v_mov_b32_e32 v2, 0x80
	s_cbranch_vccnz .LBB6_335
; %bb.333:
	s_or_b64 s[14:15], s[12:13], s[30:31]
	s_andn2_b64 vcc, exec, s[14:15]
	v_mov_b32_e32 v2, 0
	s_cbranch_vccnz .LBB6_335
; %bb.334:
	v_cndmask_b32_e64 v2, v22, v21, s[12:13]
.LBB6_335:
	global_store_byte v[6:7], v2, off
.LBB6_336:
	s_mov_b64 s[50:51], 0
.LBB6_337:
	s_mov_b64 s[12:13], 0
	s_and_b64 vcc, exec, s[50:51]
	s_cbranch_vccz .LBB6_359
; %bb.338:
	v_cmp_lt_i16_e32 vcc, 22, v8
	s_mov_b64 s[14:15], -1
	s_cbranch_vccz .LBB6_351
; %bb.339:
	v_cmp_gt_i16_e32 vcc, 24, v8
	s_cbranch_vccnz .LBB6_348
; %bb.340:
	v_cmp_lt_i16_e32 vcc, 24, v8
	s_cbranch_vccz .LBB6_345
; %bb.341:
	s_andn2_b64 vcc, exec, s[10:11]
	v_mov_b32_e32 v2, 0x80
	s_cbranch_vccnz .LBB6_344
; %bb.342:
	s_or_b64 s[10:11], s[8:9], s[28:29]
	s_andn2_b64 vcc, exec, s[10:11]
	v_mov_b32_e32 v2, 0
	s_cbranch_vccnz .LBB6_344
; %bb.343:
	v_cndmask_b32_e64 v2, v19, v18, s[8:9]
.LBB6_344:
	s_mov_b64 s[14:15], 0
	global_store_byte v[6:7], v2, off
.LBB6_345:
	s_and_b64 vcc, exec, s[14:15]
	s_cbranch_vccz .LBB6_347
; %bb.346:
	v_cndmask_b32_e64 v2, v16, v17, s[6:7]
	v_cndmask_b32_e64 v2, v2, v20, s[4:5]
	global_store_byte v[6:7], v2, off
.LBB6_347:
	s_mov_b64 s[14:15], 0
.LBB6_348:
	s_andn2_b64 vcc, exec, s[14:15]
	s_cbranch_vccnz .LBB6_350
; %bb.349:
	v_cndmask_b32_e64 v2, v13, v14, s[2:3]
	v_cndmask_b32_e64 v2, v2, v15, s[0:1]
	global_store_byte v[6:7], v2, off
.LBB6_350:
	s_mov_b64 s[14:15], 0
.LBB6_351:
	s_andn2_b64 vcc, exec, s[14:15]
	s_mov_b64 s[0:1], 0
	s_cbranch_vccnz .LBB6_360
; %bb.352:
	v_cmp_lt_i16_e32 vcc, 14, v8
	s_mov_b64 s[2:3], -1
	s_cbranch_vccz .LBB6_356
; %bb.353:
	v_cmp_eq_u16_e32 vcc, 15, v8
	s_mov_b64 s[48:49], -1
	s_cbranch_vccz .LBB6_355
; %bb.354:
	global_store_short v[6:7], v12, off
	s_mov_b64 s[48:49], 0
.LBB6_355:
	s_mov_b64 s[2:3], 0
.LBB6_356:
	s_and_b64 vcc, exec, s[2:3]
	s_cbranch_vccz .LBB6_360
; %bb.357:
	v_cmp_ne_u16_e32 vcc, 11, v8
	s_andn2_b64 s[2:3], s[48:49], exec
	s_and_b64 s[4:5], vcc, exec
	s_mov_b64 s[0:1], -1
	s_or_b64 s[48:49], s[2:3], s[4:5]
	s_branch .LBB6_360
.LBB6_358:
	s_mov_b64 s[0:1], 0
	s_mov_b64 s[12:13], -1
	s_mov_b64 s[48:49], s[44:45]
	s_branch .LBB6_360
.LBB6_359:
	s_mov_b64 s[0:1], 0
.LBB6_360:
	s_and_b64 s[50:51], s[0:1], exec
	s_andn2_b64 s[0:1], s[44:45], exec
	s_and_b64 s[2:3], s[48:49], exec
	s_and_b64 s[52:53], s[12:13], exec
	s_or_b64 s[48:49], s[0:1], s[2:3]
.LBB6_361:
	s_or_b64 exec, exec, s[46:47]
	s_andn2_b64 s[0:1], s[44:45], exec
	s_and_b64 s[2:3], s[48:49], exec
	s_and_b64 s[52:53], s[52:53], exec
	;; [unrolled: 1-line block ×3, first 2 shown]
	s_or_b64 s[44:45], s[0:1], s[2:3]
.LBB6_362:
	s_or_b64 exec, exec, s[42:43]
	s_andn2_b64 s[0:1], s[38:39], exec
	s_and_b64 s[2:3], s[44:45], exec
	s_and_b64 s[42:43], s[52:53], exec
	;; [unrolled: 1-line block ×3, first 2 shown]
	s_or_b64 s[38:39], s[0:1], s[2:3]
.LBB6_363:
	s_or_b64 exec, exec, s[40:41]
	s_andn2_b64 s[0:1], s[34:35], exec
	s_and_b64 s[2:3], s[38:39], exec
	s_and_b64 s[42:43], s[42:43], exec
	;; [unrolled: 1-line block ×3, first 2 shown]
	s_or_b64 s[34:35], s[0:1], s[2:3]
	s_or_b64 exec, exec, s[36:37]
	s_mov_b64 s[0:1], 0
	s_and_saveexec_b64 s[2:3], s[34:35]
	s_cbranch_execz .LBB6_110
.LBB6_364:
	s_mov_b64 s[0:1], exec
	s_andn2_b64 s[40:41], s[40:41], exec
	s_trap 2
	s_or_b64 exec, exec, s[2:3]
	s_and_saveexec_b64 s[2:3], s[40:41]
	s_xor_b64 s[2:3], exec, s[2:3]
	s_cbranch_execnz .LBB6_111
.LBB6_365:
	s_or_b64 exec, exec, s[2:3]
	s_and_saveexec_b64 s[2:3], s[42:43]
	s_xor_b64 s[2:3], exec, s[2:3]
	s_cbranch_execz .LBB6_403
.LBB6_366:
	v_cmp_gt_i16_e32 vcc, 5, v8
	s_mov_b64 s[4:5], -1
	s_cbranch_vccnz .LBB6_387
; %bb.367:
	v_cmp_gt_i16_e32 vcc, 8, v8
	s_cbranch_vccnz .LBB6_377
; %bb.368:
	v_cmp_gt_i16_e32 vcc, 9, v8
	s_cbranch_vccnz .LBB6_374
; %bb.369:
	v_cmp_lt_i16_e32 vcc, 9, v8
	s_cbranch_vccz .LBB6_371
; %bb.370:
	v_mov_b32_e32 v2, 0
	v_mov_b32_e32 v3, v2
	s_mov_b64 s[4:5], 0
	global_store_dwordx4 v[6:7], v[0:3], off
.LBB6_371:
	s_andn2_b64 vcc, exec, s[4:5]
	s_cbranch_vccnz .LBB6_373
; %bb.372:
	v_mov_b32_e32 v5, 0
	global_store_dwordx2 v[6:7], v[4:5], off
.LBB6_373:
	s_mov_b64 s[4:5], 0
.LBB6_374:
	s_andn2_b64 vcc, exec, s[4:5]
	s_cbranch_vccnz .LBB6_376
; %bb.375:
	global_store_dword v[6:7], v10, off
.LBB6_376:
	s_mov_b64 s[4:5], 0
.LBB6_377:
	s_andn2_b64 vcc, exec, s[4:5]
	s_cbranch_vccnz .LBB6_386
; %bb.378:
	v_cmp_gt_i16_e32 vcc, 6, v8
	s_mov_b64 s[4:5], -1
	s_cbranch_vccnz .LBB6_384
; %bb.379:
	v_cmp_lt_i16_e32 vcc, 6, v8
	s_cbranch_vccz .LBB6_381
; %bb.380:
	s_mov_b64 s[4:5], 0
	global_store_dwordx2 v[6:7], v[0:1], off
.LBB6_381:
	s_andn2_b64 vcc, exec, s[4:5]
	s_cbranch_vccnz .LBB6_383
; %bb.382:
	global_store_dword v[6:7], v4, off
.LBB6_383:
	s_mov_b64 s[4:5], 0
.LBB6_384:
	s_andn2_b64 vcc, exec, s[4:5]
	s_cbranch_vccnz .LBB6_386
; %bb.385:
	global_store_short v[6:7], v10, off
.LBB6_386:
	s_mov_b64 s[4:5], 0
.LBB6_387:
	s_andn2_b64 vcc, exec, s[4:5]
	s_cbranch_vccnz .LBB6_403
; %bb.388:
	v_cmp_gt_i16_e32 vcc, 2, v8
	s_mov_b64 s[4:5], -1
	s_cbranch_vccnz .LBB6_398
; %bb.389:
	v_cmp_gt_i16_e32 vcc, 3, v8
	s_cbranch_vccnz .LBB6_395
; %bb.390:
	v_cmp_lt_i16_e32 vcc, 3, v8
	s_cbranch_vccz .LBB6_392
; %bb.391:
	v_pk_mov_b32 v[0:1], s[26:27], s[26:27] op_sel:[0,1]
	s_mov_b64 s[4:5], 0
	global_store_dwordx2 v[6:7], v[0:1], off
.LBB6_392:
	s_andn2_b64 vcc, exec, s[4:5]
	s_cbranch_vccnz .LBB6_394
; %bb.393:
	v_mov_b32_e32 v0, s26
	global_store_dword v[6:7], v0, off
.LBB6_394:
	s_mov_b64 s[4:5], 0
.LBB6_395:
	s_andn2_b64 vcc, exec, s[4:5]
	s_cbranch_vccnz .LBB6_397
; %bb.396:
	global_store_short v[6:7], v9, off
.LBB6_397:
	s_mov_b64 s[4:5], 0
.LBB6_398:
	s_andn2_b64 vcc, exec, s[4:5]
	s_cbranch_vccnz .LBB6_403
; %bb.399:
	v_cmp_lt_i16_e32 vcc, 0, v8
	s_mov_b64 s[4:5], -1
	s_cbranch_vccz .LBB6_401
; %bb.400:
	v_mov_b32_e32 v0, s23
	s_mov_b64 s[4:5], 0
	global_store_byte v[6:7], v0, off
.LBB6_401:
	s_andn2_b64 vcc, exec, s[4:5]
	s_cbranch_vccnz .LBB6_403
; %bb.402:
	v_mov_b32_e32 v0, s23
	global_store_byte v[6:7], v0, off
.LBB6_403:
	s_or_b64 exec, exec, s[2:3]
	s_and_b64 s[2:3], s[0:1], exec
                                        ; implicit-def: $vgpr8
                                        ; implicit-def: $vgpr24
.LBB6_404:
	s_or_saveexec_b64 s[4:5], s[24:25]
	s_mov_b64 s[0:1], 0
                                        ; implicit-def: $vgpr0_vgpr1
	s_xor_b64 exec, exec, s[4:5]
	s_cbranch_execz .LBB6_433
; %bb.405:
	v_mul_lo_u32 v2, s22, v24
	v_ashrrev_i32_e32 v1, 31, v2
	v_mov_b32_e32 v3, s21
	v_add_co_u32_e32 v0, vcc, s20, v2
	v_addc_co_u32_e32 v1, vcc, v3, v1, vcc
	v_cmp_gt_i16_e64 s[0:1], 11, v8
	s_and_b64 vcc, exec, s[0:1]
	s_cbranch_vccnz .LBB6_436
; %bb.406:
	v_cmp_lt_i16_e32 vcc, 25, v8
	s_mov_b64 s[12:13], -1
	s_mov_b64 s[8:9], 0
	s_mov_b64 s[10:11], 0
	;; [unrolled: 1-line block ×3, first 2 shown]
	s_cbranch_vccz .LBB6_446
; %bb.407:
	v_cmp_lt_i16_e32 vcc, 28, v8
	s_cbranch_vccz .LBB6_422
; %bb.408:
	v_cmp_lt_i16_e32 vcc, 43, v8
	;; [unrolled: 3-line block ×3, first 2 shown]
	s_cbranch_vccz .LBB6_412
; %bb.410:
	v_cmp_eq_u16_e32 vcc, 46, v8
	s_mov_b64 s[6:7], -1
	s_mov_b64 s[12:13], 0
	s_cbranch_vccz .LBB6_412
; %bb.411:
	v_cvt_f32_ubyte0_e32 v3, s23
	v_bfe_u32 v4, v3, 16, 1
	v_add_u32_e32 v3, v3, v4
	v_add_u32_e32 v3, 0x7fff, v3
	v_lshrrev_b32_e32 v3, 16, v3
	global_store_dword v[0:1], v3, off
	s_mov_b64 s[6:7], 0
	s_mov_b64 s[10:11], -1
.LBB6_412:
	s_and_b64 vcc, exec, s[12:13]
	s_cbranch_vccz .LBB6_417
; %bb.413:
	v_cmp_eq_u16_e32 vcc, 44, v8
	s_mov_b64 s[6:7], -1
	s_cbranch_vccz .LBB6_417
; %bb.414:
	v_cvt_f32_ubyte0_e32 v3, s23
	v_readfirstlane_b32 s7, v3
	s_lshr_b32 s6, s7, 23
	s_cmpk_eq_i32 s6, 0xff
	v_mov_b32_e32 v3, 0xff
	s_cbranch_scc1 .LBB6_416
; %bb.415:
	s_bitcmp1_b32 s7, 22
	s_cselect_b64 s[10:11], -1, 0
	s_and_b32 s7, s7, 0x3fffff
	s_or_b32 s7, s6, s7
	s_cmp_lg_u32 s7, 0
	s_cselect_b64 s[12:13], -1, 0
	s_and_b64 s[10:11], s[10:11], s[12:13]
	v_cndmask_b32_e64 v3, 0, 1, s[10:11]
	v_add_u32_e32 v3, s6, v3
.LBB6_416:
	s_mov_b64 s[6:7], 0
	s_mov_b64 s[10:11], -1
	global_store_byte v[0:1], v3, off
.LBB6_417:
	s_mov_b64 s[12:13], 0
.LBB6_418:
	s_and_b64 vcc, exec, s[12:13]
	s_cbranch_vccz .LBB6_421
; %bb.419:
	v_cmp_eq_u16_e32 vcc, 29, v8
	s_mov_b64 s[6:7], -1
	s_cbranch_vccz .LBB6_421
; %bb.420:
	s_and_b32 s6, s23, 0xff
	v_mov_b32_e32 v4, s6
	v_mov_b32_e32 v5, 0
	global_store_dwordx2 v[0:1], v[4:5], off
	s_mov_b64 s[6:7], 0
	s_mov_b64 s[10:11], -1
.LBB6_421:
	s_mov_b64 s[12:13], 0
.LBB6_422:
	s_and_b64 vcc, exec, s[12:13]
	s_cbranch_vccz .LBB6_445
; %bb.423:
	v_cmp_gt_i16_e32 vcc, 27, v8
	s_mov_b64 s[10:11], -1
	s_cbranch_vccnz .LBB6_429
; %bb.424:
	v_cmp_lt_i16_e32 vcc, 27, v8
	s_cbranch_vccz .LBB6_426
; %bb.425:
	s_and_b32 s10, s23, 0xff
	v_mov_b32_e32 v3, s10
	s_mov_b64 s[10:11], 0
	global_store_dword v[0:1], v3, off
.LBB6_426:
	s_andn2_b64 vcc, exec, s[10:11]
	s_cbranch_vccnz .LBB6_428
; %bb.427:
	v_mov_b32_e32 v3, 0xff
	v_and_b32_e32 v3, s23, v3
	global_store_short v[0:1], v3, off
.LBB6_428:
	s_mov_b64 s[10:11], 0
.LBB6_429:
	s_andn2_b64 vcc, exec, s[10:11]
	s_cbranch_vccnz .LBB6_444
; %bb.430:
	v_cvt_f32_ubyte0_e32 v3, s23
	s_mov_b32 s11, 0x437fffff
	v_cmp_lt_u32_e32 vcc, s11, v3
	v_readfirstlane_b32 s10, v3
	v_mov_b32_e32 v5, 0x80
	s_cbranch_vccnz .LBB6_443
; %bb.431:
	s_cmp_gt_u32 s10, 0x3bffffff
	s_cbranch_scc0 .LBB6_438
; %bb.432:
	s_bfe_u32 s11, s10, 0x10014
	s_add_i32 s10, s10, s11
	s_add_i32 s10, s10, 0x487ffff
	s_lshr_b32 s14, s10, 20
	s_mov_b64 s[12:13], 0
	s_mov_b64 s[10:11], -1
	s_branch .LBB6_439
.LBB6_433:
	s_or_b64 exec, exec, s[4:5]
	s_and_saveexec_b64 s[4:5], s[2:3]
	s_cbranch_execz .LBB6_834
.LBB6_434:
	; divergent unreachable
	s_or_b64 exec, exec, s[4:5]
	s_and_saveexec_b64 s[2:3], s[18:19]
	s_xor_b64 s[2:3], exec, s[2:3]
	s_cbranch_execnz .LBB6_835
.LBB6_435:
	s_or_b64 exec, exec, s[2:3]
	s_and_saveexec_b64 s[2:3], s[0:1]
	s_cbranch_execnz .LBB6_836
	s_branch .LBB6_873
.LBB6_436:
	s_mov_b64 s[10:11], 0
	s_mov_b64 s[6:7], s[2:3]
	s_cbranch_execnz .LBB6_496
.LBB6_437:
	s_andn2_b64 vcc, exec, s[10:11]
	s_cbranch_vccz .LBB6_534
	s_branch .LBB6_832
.LBB6_438:
	s_mov_b64 s[12:13], -1
	s_mov_b64 s[10:11], 0
                                        ; implicit-def: $sgpr14
.LBB6_439:
	s_andn2_b64 vcc, exec, s[12:13]
	v_mov_b32_e32 v4, s14
                                        ; implicit-def: $sgpr12
	s_cbranch_vccnz .LBB6_441
; %bb.440:
	v_add_f32_e32 v3, 0x46000000, v3
	v_and_b32_e32 v4, 0xff, v3
	s_mov_b32 s12, 0
	v_cmp_ne_u32_e64 s[10:11], 0, v4
.LBB6_441:
	s_andn2_b64 vcc, exec, s[10:11]
	v_mov_b32_e32 v5, s12
	s_cbranch_vccnz .LBB6_443
; %bb.442:
	v_mov_b32_e32 v5, v4
.LBB6_443:
	global_store_byte v[0:1], v5, off
.LBB6_444:
	s_mov_b64 s[10:11], -1
.LBB6_445:
	s_mov_b64 s[12:13], 0
.LBB6_446:
	s_and_b64 vcc, exec, s[12:13]
	s_cbranch_vccz .LBB6_492
; %bb.447:
	v_cmp_lt_i16_e32 vcc, 22, v8
	s_mov_b64 s[8:9], -1
	s_cbranch_vccz .LBB6_485
; %bb.448:
	v_cmp_gt_i16_e32 vcc, 24, v8
	s_cbranch_vccnz .LBB6_472
; %bb.449:
	v_cmp_lt_i16_e32 vcc, 24, v8
	s_cbranch_vccz .LBB6_459
; %bb.450:
	v_cvt_f32_ubyte0_e32 v3, s23
	s_mov_b32 s9, 0x477fffff
	v_cmp_lt_u32_e32 vcc, s9, v3
	v_readfirstlane_b32 s8, v3
	v_mov_b32_e32 v5, 0x80
	s_cbranch_vccnz .LBB6_458
; %bb.451:
	s_cmp_gt_u32 s8, 0x37ffffff
	s_cbranch_scc0 .LBB6_453
; %bb.452:
	s_bfe_u32 s9, s8, 0x10015
	s_add_i32 s8, s8, s9
	s_add_i32 s8, s8, 0x88fffff
	s_lshr_b32 s12, s8, 21
	s_mov_b64 s[10:11], 0
	s_mov_b64 s[8:9], -1
	s_branch .LBB6_454
.LBB6_453:
	s_mov_b64 s[10:11], -1
	s_mov_b64 s[8:9], 0
                                        ; implicit-def: $sgpr12
.LBB6_454:
	s_andn2_b64 vcc, exec, s[10:11]
	v_mov_b32_e32 v4, s12
                                        ; implicit-def: $sgpr10
	s_cbranch_vccnz .LBB6_456
; %bb.455:
	v_add_f32_e32 v3, 0x42800000, v3
	v_and_b32_e32 v4, 0xff, v3
	s_mov_b32 s10, 0
	v_cmp_ne_u32_e64 s[8:9], 0, v4
.LBB6_456:
	s_andn2_b64 vcc, exec, s[8:9]
	v_mov_b32_e32 v5, s10
	s_cbranch_vccnz .LBB6_458
; %bb.457:
	v_mov_b32_e32 v5, v4
.LBB6_458:
	s_mov_b64 s[8:9], 0
	global_store_byte v[0:1], v5, off
.LBB6_459:
	s_and_b64 vcc, exec, s[8:9]
	s_cbranch_vccz .LBB6_471
; %bb.460:
	v_cvt_f32_ubyte0_e32 v3, s23
	s_mov_b32 s8, 0x43f00000
	v_cmp_gt_u32_e32 vcc, s8, v3
	v_readfirstlane_b32 s10, v3
	s_cbranch_vccz .LBB6_463
; %bb.461:
	s_cmp_gt_u32 s10, 0x3c7fffff
	s_cbranch_scc0 .LBB6_464
; %bb.462:
	s_bfe_u32 s8, s10, 0x10014
	s_add_i32 s8, s10, s8
	s_add_i32 s8, s8, 0x407ffff
	s_lshr_b32 s9, s8, 20
	s_and_b32 s8, s8, 0xff00000
	s_cmp_lg_u32 s8, 0x7f00000
	s_cselect_b32 s11, s9, 0x7e
	s_mov_b64 s[8:9], 0
	s_branch .LBB6_465
.LBB6_463:
	s_mov_b64 s[8:9], -1
                                        ; implicit-def: $vgpr4
	s_branch .LBB6_468
.LBB6_464:
	s_mov_b64 s[8:9], -1
                                        ; implicit-def: $sgpr11
.LBB6_465:
	s_andn2_b64 vcc, exec, s[8:9]
	v_mov_b32_e32 v4, s11
	s_cbranch_vccnz .LBB6_467
; %bb.466:
	v_add_f32_e32 v4, 0x46800000, v3
.LBB6_467:
	s_mov_b64 s[8:9], 0
.LBB6_468:
	s_andn2_b64 vcc, exec, s[8:9]
	s_cbranch_vccnz .LBB6_470
; %bb.469:
	s_cmp_gt_u32 s10, 0x7f800000
	s_movk_i32 s8, 0x7f
	s_cselect_b32 s8, s8, 0x7e
	v_mov_b32_e32 v4, s8
.LBB6_470:
	global_store_byte v[0:1], v4, off
.LBB6_471:
	s_mov_b64 s[8:9], 0
.LBB6_472:
	s_andn2_b64 vcc, exec, s[8:9]
	s_cbranch_vccnz .LBB6_484
; %bb.473:
	v_cvt_f32_ubyte0_e32 v3, s23
	s_mov_b32 s8, 0x47800000
	v_cmp_gt_u32_e32 vcc, s8, v3
	v_readfirstlane_b32 s10, v3
	s_cbranch_vccz .LBB6_476
; %bb.474:
	s_cmp_gt_u32 s10, 0x387fffff
	s_cbranch_scc0 .LBB6_477
; %bb.475:
	s_bfe_u32 s8, s10, 0x10015
	s_add_i32 s8, s10, s8
	s_add_i32 s8, s8, 0x80fffff
	s_lshr_b32 s11, s8, 21
	s_mov_b64 s[8:9], 0
	s_branch .LBB6_478
.LBB6_476:
	s_mov_b64 s[8:9], -1
                                        ; implicit-def: $vgpr4
	s_branch .LBB6_481
.LBB6_477:
	s_mov_b64 s[8:9], -1
                                        ; implicit-def: $sgpr11
.LBB6_478:
	s_andn2_b64 vcc, exec, s[8:9]
	v_mov_b32_e32 v4, s11
	s_cbranch_vccnz .LBB6_480
; %bb.479:
	v_add_f32_e32 v4, 0x43000000, v3
.LBB6_480:
	s_mov_b64 s[8:9], 0
.LBB6_481:
	s_andn2_b64 vcc, exec, s[8:9]
	s_cbranch_vccnz .LBB6_483
; %bb.482:
	s_cmp_gt_u32 s10, 0x7f800000
	s_movk_i32 s8, 0x7f
	s_cselect_b32 s8, s8, 0x7c
	v_mov_b32_e32 v4, s8
.LBB6_483:
	global_store_byte v[0:1], v4, off
.LBB6_484:
	s_mov_b64 s[8:9], 0
	s_mov_b64 s[10:11], -1
.LBB6_485:
	s_andn2_b64 vcc, exec, s[8:9]
	s_mov_b64 s[8:9], 0
	s_cbranch_vccnz .LBB6_492
; %bb.486:
	v_cmp_lt_i16_e32 vcc, 14, v8
	s_mov_b64 s[12:13], -1
	s_cbranch_vccz .LBB6_490
; %bb.487:
	v_cmp_eq_u16_e32 vcc, 15, v8
	s_mov_b64 s[6:7], -1
	s_cbranch_vccz .LBB6_489
; %bb.488:
	v_cvt_f32_ubyte0_e32 v3, s23
	v_bfe_u32 v4, v3, 16, 1
	v_add_u32_e32 v3, v3, v4
	v_add_u32_e32 v3, 0x7fff, v3
	global_store_short_d16_hi v[0:1], v3, off
	s_mov_b64 s[6:7], 0
	s_mov_b64 s[10:11], -1
.LBB6_489:
	s_mov_b64 s[12:13], 0
.LBB6_490:
	s_and_b64 vcc, exec, s[12:13]
	s_cbranch_vccz .LBB6_492
; %bb.491:
	v_cmp_ne_u16_e64 s[6:7], 11, v8
	s_mov_b64 s[8:9], -1
.LBB6_492:
	s_and_b64 vcc, exec, s[6:7]
	s_mov_b64 s[6:7], s[2:3]
	s_cbranch_vccnz .LBB6_564
; %bb.493:
	s_andn2_b64 vcc, exec, s[8:9]
	s_cbranch_vccnz .LBB6_495
.LBB6_494:
	v_mov_b32_e32 v3, 0
	v_cmp_ne_u16_sdwa s[8:9], s23, v3 src0_sel:BYTE_0 src1_sel:DWORD
	v_cndmask_b32_e64 v3, 0, 1, s[8:9]
	s_mov_b64 s[10:11], -1
	global_store_byte v[0:1], v3, off
.LBB6_495:
	s_branch .LBB6_437
.LBB6_496:
	v_cmp_gt_i16_e32 vcc, 5, v8
	s_mov_b64 s[8:9], -1
	s_cbranch_vccnz .LBB6_517
; %bb.497:
	v_cmp_gt_i16_e32 vcc, 8, v8
	s_cbranch_vccnz .LBB6_507
; %bb.498:
	v_cmp_gt_i16_e32 vcc, 9, v8
	s_cbranch_vccnz .LBB6_504
; %bb.499:
	v_cmp_lt_i16_e32 vcc, 9, v8
	s_cbranch_vccz .LBB6_501
; %bb.500:
	s_mov_b32 s8, 0xffff
	v_mov_b32_e32 v3, s23
	v_and_b32_sdwa v3, s8, v3 dst_sel:DWORD dst_unused:UNUSED_PAD src0_sel:DWORD src1_sel:BYTE_0
	v_mov_b32_e32 v6, 0
	v_cvt_f64_u32_e32 v[4:5], v3
	v_mov_b32_e32 v7, v6
	global_store_dwordx4 v[0:1], v[4:7], off
	s_mov_b64 s[8:9], 0
.LBB6_501:
	s_andn2_b64 vcc, exec, s[8:9]
	s_cbranch_vccnz .LBB6_503
; %bb.502:
	v_cvt_f32_ubyte0_e32 v4, s23
	v_mov_b32_e32 v5, 0
	global_store_dwordx2 v[0:1], v[4:5], off
.LBB6_503:
	s_mov_b64 s[8:9], 0
.LBB6_504:
	s_andn2_b64 vcc, exec, s[8:9]
	s_cbranch_vccnz .LBB6_506
; %bb.505:
	v_cvt_f16_u16_sdwa v3, s23 dst_sel:DWORD dst_unused:UNUSED_PAD src0_sel:BYTE_0
	global_store_dword v[0:1], v3, off
.LBB6_506:
	s_mov_b64 s[8:9], 0
.LBB6_507:
	s_andn2_b64 vcc, exec, s[8:9]
	s_cbranch_vccnz .LBB6_516
; %bb.508:
	v_cmp_gt_i16_e32 vcc, 6, v8
	s_mov_b64 s[8:9], -1
	s_cbranch_vccnz .LBB6_514
; %bb.509:
	v_cmp_lt_i16_e32 vcc, 6, v8
	s_cbranch_vccz .LBB6_511
; %bb.510:
	s_mov_b32 s8, 0xffff
	v_mov_b32_e32 v3, s23
	v_and_b32_sdwa v3, s8, v3 dst_sel:DWORD dst_unused:UNUSED_PAD src0_sel:DWORD src1_sel:BYTE_0
	v_cvt_f64_u32_e32 v[4:5], v3
	global_store_dwordx2 v[0:1], v[4:5], off
	s_mov_b64 s[8:9], 0
.LBB6_511:
	s_andn2_b64 vcc, exec, s[8:9]
	s_cbranch_vccnz .LBB6_513
; %bb.512:
	v_cvt_f32_ubyte0_e32 v3, s23
	global_store_dword v[0:1], v3, off
.LBB6_513:
	s_mov_b64 s[8:9], 0
.LBB6_514:
	s_andn2_b64 vcc, exec, s[8:9]
	s_cbranch_vccnz .LBB6_516
; %bb.515:
	v_cvt_f16_u16_sdwa v3, s23 dst_sel:DWORD dst_unused:UNUSED_PAD src0_sel:BYTE_0
	global_store_short v[0:1], v3, off
.LBB6_516:
	s_mov_b64 s[8:9], 0
.LBB6_517:
	s_andn2_b64 vcc, exec, s[8:9]
	s_cbranch_vccnz .LBB6_533
; %bb.518:
	v_cmp_gt_i16_e32 vcc, 2, v8
	s_mov_b64 s[8:9], -1
	s_cbranch_vccnz .LBB6_528
; %bb.519:
	v_cmp_gt_i16_e32 vcc, 3, v8
	s_cbranch_vccnz .LBB6_525
; %bb.520:
	v_cmp_lt_i16_e32 vcc, 3, v8
	s_cbranch_vccz .LBB6_522
; %bb.521:
	s_and_b32 s8, s23, 0xff
	v_mov_b32_e32 v4, s8
	v_mov_b32_e32 v5, 0
	global_store_dwordx2 v[0:1], v[4:5], off
	s_mov_b64 s[8:9], 0
.LBB6_522:
	s_andn2_b64 vcc, exec, s[8:9]
	s_cbranch_vccnz .LBB6_524
; %bb.523:
	s_and_b32 s8, s23, 0xff
	v_mov_b32_e32 v3, s8
	global_store_dword v[0:1], v3, off
.LBB6_524:
	s_mov_b64 s[8:9], 0
.LBB6_525:
	s_andn2_b64 vcc, exec, s[8:9]
	s_cbranch_vccnz .LBB6_527
; %bb.526:
	v_mov_b32_e32 v3, 0xff
	v_and_b32_e32 v3, s23, v3
	global_store_short v[0:1], v3, off
.LBB6_527:
	s_mov_b64 s[8:9], 0
.LBB6_528:
	s_andn2_b64 vcc, exec, s[8:9]
	s_cbranch_vccnz .LBB6_533
; %bb.529:
	v_cmp_lt_i16_e32 vcc, 0, v8
	s_mov_b64 s[8:9], -1
	s_cbranch_vccz .LBB6_531
; %bb.530:
	v_mov_b32_e32 v3, s23
	global_store_byte v[0:1], v3, off
	s_mov_b64 s[8:9], 0
.LBB6_531:
	s_andn2_b64 vcc, exec, s[8:9]
	s_cbranch_vccnz .LBB6_533
; %bb.532:
	v_mov_b32_e32 v3, s23
	global_store_byte v[0:1], v3, off
.LBB6_533:
.LBB6_534:
	s_lshl_b32 s16, s22, 7
	v_add_u32_e32 v2, s16, v2
	v_ashrrev_i32_e32 v1, 31, v2
	v_mov_b32_e32 v3, s21
	v_add_co_u32_e32 v0, vcc, s20, v2
	v_addc_co_u32_e32 v1, vcc, v3, v1, vcc
	s_and_b64 vcc, exec, s[0:1]
	s_cbranch_vccnz .LBB6_562
; %bb.535:
	v_cmp_lt_i16_e32 vcc, 25, v8
	s_mov_b64 s[14:15], -1
	s_mov_b64 s[10:11], 0
	s_mov_b64 s[12:13], 0
	;; [unrolled: 1-line block ×3, first 2 shown]
	s_cbranch_vccz .LBB6_573
; %bb.536:
	v_cmp_lt_i16_e32 vcc, 28, v8
	s_cbranch_vccz .LBB6_551
; %bb.537:
	v_cmp_lt_i16_e32 vcc, 43, v8
	;; [unrolled: 3-line block ×3, first 2 shown]
	s_cbranch_vccz .LBB6_541
; %bb.539:
	v_cmp_eq_u16_e32 vcc, 46, v8
	s_mov_b64 s[8:9], -1
	s_mov_b64 s[14:15], 0
	s_cbranch_vccz .LBB6_541
; %bb.540:
	v_cvt_f32_ubyte0_e32 v3, s23
	v_bfe_u32 v4, v3, 16, 1
	v_add_u32_e32 v3, v3, v4
	v_add_u32_e32 v3, 0x7fff, v3
	v_lshrrev_b32_e32 v3, 16, v3
	global_store_dword v[0:1], v3, off
	s_mov_b64 s[8:9], 0
	s_mov_b64 s[12:13], -1
.LBB6_541:
	s_and_b64 vcc, exec, s[14:15]
	s_cbranch_vccz .LBB6_546
; %bb.542:
	v_cmp_eq_u16_e32 vcc, 44, v8
	s_mov_b64 s[8:9], -1
	s_cbranch_vccz .LBB6_546
; %bb.543:
	v_cvt_f32_ubyte0_e32 v3, s23
	v_readfirstlane_b32 s9, v3
	s_lshr_b32 s8, s9, 23
	s_cmpk_eq_i32 s8, 0xff
	v_mov_b32_e32 v3, 0xff
	s_cbranch_scc1 .LBB6_545
; %bb.544:
	s_bitcmp1_b32 s9, 22
	s_cselect_b64 s[12:13], -1, 0
	s_and_b32 s9, s9, 0x3fffff
	s_or_b32 s9, s8, s9
	s_cmp_lg_u32 s9, 0
	s_cselect_b64 s[14:15], -1, 0
	s_and_b64 s[12:13], s[12:13], s[14:15]
	v_cndmask_b32_e64 v3, 0, 1, s[12:13]
	v_add_u32_e32 v3, s8, v3
.LBB6_545:
	s_mov_b64 s[8:9], 0
	s_mov_b64 s[12:13], -1
	global_store_byte v[0:1], v3, off
.LBB6_546:
	s_mov_b64 s[14:15], 0
.LBB6_547:
	s_and_b64 vcc, exec, s[14:15]
	s_cbranch_vccz .LBB6_550
; %bb.548:
	v_cmp_eq_u16_e32 vcc, 29, v8
	s_mov_b64 s[8:9], -1
	s_cbranch_vccz .LBB6_550
; %bb.549:
	s_and_b32 s8, s23, 0xff
	v_mov_b32_e32 v4, s8
	v_mov_b32_e32 v5, 0
	global_store_dwordx2 v[0:1], v[4:5], off
	s_mov_b64 s[8:9], 0
	s_mov_b64 s[12:13], -1
.LBB6_550:
	s_mov_b64 s[14:15], 0
.LBB6_551:
	s_and_b64 vcc, exec, s[14:15]
	s_cbranch_vccz .LBB6_572
; %bb.552:
	v_cmp_gt_i16_e32 vcc, 27, v8
	s_mov_b64 s[12:13], -1
	s_cbranch_vccnz .LBB6_558
; %bb.553:
	v_cmp_lt_i16_e32 vcc, 27, v8
	s_cbranch_vccz .LBB6_555
; %bb.554:
	s_and_b32 s12, s23, 0xff
	v_mov_b32_e32 v3, s12
	s_mov_b64 s[12:13], 0
	global_store_dword v[0:1], v3, off
.LBB6_555:
	s_andn2_b64 vcc, exec, s[12:13]
	s_cbranch_vccnz .LBB6_557
; %bb.556:
	v_mov_b32_e32 v3, 0xff
	v_and_b32_e32 v3, s23, v3
	global_store_short v[0:1], v3, off
.LBB6_557:
	s_mov_b64 s[12:13], 0
.LBB6_558:
	s_andn2_b64 vcc, exec, s[12:13]
	s_cbranch_vccnz .LBB6_571
; %bb.559:
	v_cvt_f32_ubyte0_e32 v3, s23
	s_mov_b32 s13, 0x437fffff
	v_cmp_lt_u32_e32 vcc, s13, v3
	v_readfirstlane_b32 s12, v3
	v_mov_b32_e32 v5, 0x80
	s_cbranch_vccnz .LBB6_570
; %bb.560:
	s_cmp_gt_u32 s12, 0x3bffffff
	s_cbranch_scc0 .LBB6_565
; %bb.561:
	s_bfe_u32 s13, s12, 0x10014
	s_add_i32 s12, s12, s13
	s_add_i32 s12, s12, 0x487ffff
	s_lshr_b32 s17, s12, 20
	s_mov_b64 s[14:15], 0
	s_mov_b64 s[12:13], -1
	s_branch .LBB6_566
.LBB6_562:
	s_mov_b64 s[12:13], 0
	s_cbranch_execnz .LBB6_623
.LBB6_563:
	s_andn2_b64 vcc, exec, s[12:13]
	s_cbranch_vccz .LBB6_661
	s_branch .LBB6_832
.LBB6_564:
	s_or_b64 s[6:7], s[2:3], exec
	s_trap 2
	s_cbranch_execz .LBB6_494
	s_branch .LBB6_495
.LBB6_565:
	s_mov_b64 s[14:15], -1
	s_mov_b64 s[12:13], 0
                                        ; implicit-def: $sgpr17
.LBB6_566:
	s_andn2_b64 vcc, exec, s[14:15]
	v_mov_b32_e32 v4, s17
                                        ; implicit-def: $sgpr14
	s_cbranch_vccnz .LBB6_568
; %bb.567:
	v_add_f32_e32 v3, 0x46000000, v3
	v_and_b32_e32 v4, 0xff, v3
	s_mov_b32 s14, 0
	v_cmp_ne_u32_e64 s[12:13], 0, v4
.LBB6_568:
	s_andn2_b64 vcc, exec, s[12:13]
	v_mov_b32_e32 v5, s14
	s_cbranch_vccnz .LBB6_570
; %bb.569:
	v_mov_b32_e32 v5, v4
.LBB6_570:
	global_store_byte v[0:1], v5, off
.LBB6_571:
	s_mov_b64 s[12:13], -1
.LBB6_572:
	s_mov_b64 s[14:15], 0
.LBB6_573:
	s_and_b64 vcc, exec, s[14:15]
	s_cbranch_vccz .LBB6_619
; %bb.574:
	v_cmp_lt_i16_e32 vcc, 22, v8
	s_mov_b64 s[10:11], -1
	s_cbranch_vccz .LBB6_612
; %bb.575:
	v_cmp_gt_i16_e32 vcc, 24, v8
	s_cbranch_vccnz .LBB6_599
; %bb.576:
	v_cmp_lt_i16_e32 vcc, 24, v8
	s_cbranch_vccz .LBB6_586
; %bb.577:
	v_cvt_f32_ubyte0_e32 v3, s23
	s_mov_b32 s11, 0x477fffff
	v_cmp_lt_u32_e32 vcc, s11, v3
	v_readfirstlane_b32 s10, v3
	v_mov_b32_e32 v5, 0x80
	s_cbranch_vccnz .LBB6_585
; %bb.578:
	s_cmp_gt_u32 s10, 0x37ffffff
	s_cbranch_scc0 .LBB6_580
; %bb.579:
	s_bfe_u32 s11, s10, 0x10015
	s_add_i32 s10, s10, s11
	s_add_i32 s10, s10, 0x88fffff
	s_lshr_b32 s14, s10, 21
	s_mov_b64 s[12:13], 0
	s_mov_b64 s[10:11], -1
	s_branch .LBB6_581
.LBB6_580:
	s_mov_b64 s[12:13], -1
	s_mov_b64 s[10:11], 0
                                        ; implicit-def: $sgpr14
.LBB6_581:
	s_andn2_b64 vcc, exec, s[12:13]
	v_mov_b32_e32 v4, s14
                                        ; implicit-def: $sgpr12
	s_cbranch_vccnz .LBB6_583
; %bb.582:
	v_add_f32_e32 v3, 0x42800000, v3
	v_and_b32_e32 v4, 0xff, v3
	s_mov_b32 s12, 0
	v_cmp_ne_u32_e64 s[10:11], 0, v4
.LBB6_583:
	s_andn2_b64 vcc, exec, s[10:11]
	v_mov_b32_e32 v5, s12
	s_cbranch_vccnz .LBB6_585
; %bb.584:
	v_mov_b32_e32 v5, v4
.LBB6_585:
	s_mov_b64 s[10:11], 0
	global_store_byte v[0:1], v5, off
.LBB6_586:
	s_and_b64 vcc, exec, s[10:11]
	s_cbranch_vccz .LBB6_598
; %bb.587:
	v_cvt_f32_ubyte0_e32 v3, s23
	s_mov_b32 s10, 0x43f00000
	v_cmp_gt_u32_e32 vcc, s10, v3
	v_readfirstlane_b32 s12, v3
	s_cbranch_vccz .LBB6_590
; %bb.588:
	s_cmp_gt_u32 s12, 0x3c7fffff
	s_cbranch_scc0 .LBB6_591
; %bb.589:
	s_bfe_u32 s10, s12, 0x10014
	s_add_i32 s10, s12, s10
	s_add_i32 s10, s10, 0x407ffff
	s_lshr_b32 s11, s10, 20
	s_and_b32 s10, s10, 0xff00000
	s_cmp_lg_u32 s10, 0x7f00000
	s_cselect_b32 s13, s11, 0x7e
	s_mov_b64 s[10:11], 0
	s_branch .LBB6_592
.LBB6_590:
	s_mov_b64 s[10:11], -1
                                        ; implicit-def: $vgpr4
	s_branch .LBB6_595
.LBB6_591:
	s_mov_b64 s[10:11], -1
                                        ; implicit-def: $sgpr13
.LBB6_592:
	s_andn2_b64 vcc, exec, s[10:11]
	v_mov_b32_e32 v4, s13
	s_cbranch_vccnz .LBB6_594
; %bb.593:
	v_add_f32_e32 v4, 0x46800000, v3
.LBB6_594:
	s_mov_b64 s[10:11], 0
.LBB6_595:
	s_andn2_b64 vcc, exec, s[10:11]
	s_cbranch_vccnz .LBB6_597
; %bb.596:
	s_cmp_gt_u32 s12, 0x7f800000
	s_movk_i32 s10, 0x7f
	s_cselect_b32 s10, s10, 0x7e
	v_mov_b32_e32 v4, s10
.LBB6_597:
	global_store_byte v[0:1], v4, off
.LBB6_598:
	s_mov_b64 s[10:11], 0
.LBB6_599:
	s_andn2_b64 vcc, exec, s[10:11]
	s_cbranch_vccnz .LBB6_611
; %bb.600:
	v_cvt_f32_ubyte0_e32 v3, s23
	s_mov_b32 s10, 0x47800000
	v_cmp_gt_u32_e32 vcc, s10, v3
	v_readfirstlane_b32 s12, v3
	s_cbranch_vccz .LBB6_603
; %bb.601:
	s_cmp_gt_u32 s12, 0x387fffff
	s_cbranch_scc0 .LBB6_604
; %bb.602:
	s_bfe_u32 s10, s12, 0x10015
	s_add_i32 s10, s12, s10
	s_add_i32 s10, s10, 0x80fffff
	s_lshr_b32 s13, s10, 21
	s_mov_b64 s[10:11], 0
	s_branch .LBB6_605
.LBB6_603:
	s_mov_b64 s[10:11], -1
                                        ; implicit-def: $vgpr4
	s_branch .LBB6_608
.LBB6_604:
	s_mov_b64 s[10:11], -1
                                        ; implicit-def: $sgpr13
.LBB6_605:
	s_andn2_b64 vcc, exec, s[10:11]
	v_mov_b32_e32 v4, s13
	s_cbranch_vccnz .LBB6_607
; %bb.606:
	v_add_f32_e32 v4, 0x43000000, v3
.LBB6_607:
	s_mov_b64 s[10:11], 0
.LBB6_608:
	s_andn2_b64 vcc, exec, s[10:11]
	s_cbranch_vccnz .LBB6_610
; %bb.609:
	s_cmp_gt_u32 s12, 0x7f800000
	s_movk_i32 s10, 0x7f
	s_cselect_b32 s10, s10, 0x7c
	v_mov_b32_e32 v4, s10
.LBB6_610:
	global_store_byte v[0:1], v4, off
.LBB6_611:
	s_mov_b64 s[10:11], 0
	s_mov_b64 s[12:13], -1
.LBB6_612:
	s_andn2_b64 vcc, exec, s[10:11]
	s_mov_b64 s[10:11], 0
	s_cbranch_vccnz .LBB6_619
; %bb.613:
	v_cmp_lt_i16_e32 vcc, 14, v8
	s_mov_b64 s[14:15], -1
	s_cbranch_vccz .LBB6_617
; %bb.614:
	v_cmp_eq_u16_e32 vcc, 15, v8
	s_mov_b64 s[8:9], -1
	s_cbranch_vccz .LBB6_616
; %bb.615:
	v_cvt_f32_ubyte0_e32 v3, s23
	v_bfe_u32 v4, v3, 16, 1
	v_add_u32_e32 v3, v3, v4
	v_add_u32_e32 v3, 0x7fff, v3
	global_store_short_d16_hi v[0:1], v3, off
	s_mov_b64 s[8:9], 0
	s_mov_b64 s[12:13], -1
.LBB6_616:
	s_mov_b64 s[14:15], 0
.LBB6_617:
	s_and_b64 vcc, exec, s[14:15]
	s_cbranch_vccz .LBB6_619
; %bb.618:
	v_cmp_ne_u16_e64 s[8:9], 11, v8
	s_mov_b64 s[10:11], -1
.LBB6_619:
	s_and_b64 vcc, exec, s[8:9]
	s_cbranch_vccnz .LBB6_721
; %bb.620:
	s_andn2_b64 vcc, exec, s[10:11]
	s_cbranch_vccnz .LBB6_622
.LBB6_621:
	v_mov_b32_e32 v3, 0
	v_cmp_ne_u16_sdwa s[8:9], s23, v3 src0_sel:BYTE_0 src1_sel:DWORD
	v_cndmask_b32_e64 v3, 0, 1, s[8:9]
	s_mov_b64 s[12:13], -1
	global_store_byte v[0:1], v3, off
.LBB6_622:
	s_branch .LBB6_563
.LBB6_623:
	v_cmp_gt_i16_e32 vcc, 5, v8
	s_mov_b64 s[8:9], -1
	s_cbranch_vccnz .LBB6_644
; %bb.624:
	v_cmp_gt_i16_e32 vcc, 8, v8
	s_cbranch_vccnz .LBB6_634
; %bb.625:
	v_cmp_gt_i16_e32 vcc, 9, v8
	s_cbranch_vccnz .LBB6_631
; %bb.626:
	v_cmp_lt_i16_e32 vcc, 9, v8
	s_cbranch_vccz .LBB6_628
; %bb.627:
	s_mov_b32 s8, 0xffff
	v_mov_b32_e32 v3, s23
	v_and_b32_sdwa v3, s8, v3 dst_sel:DWORD dst_unused:UNUSED_PAD src0_sel:DWORD src1_sel:BYTE_0
	v_mov_b32_e32 v6, 0
	v_cvt_f64_u32_e32 v[4:5], v3
	v_mov_b32_e32 v7, v6
	global_store_dwordx4 v[0:1], v[4:7], off
	s_mov_b64 s[8:9], 0
.LBB6_628:
	s_andn2_b64 vcc, exec, s[8:9]
	s_cbranch_vccnz .LBB6_630
; %bb.629:
	v_cvt_f32_ubyte0_e32 v4, s23
	v_mov_b32_e32 v5, 0
	global_store_dwordx2 v[0:1], v[4:5], off
.LBB6_630:
	s_mov_b64 s[8:9], 0
.LBB6_631:
	s_andn2_b64 vcc, exec, s[8:9]
	s_cbranch_vccnz .LBB6_633
; %bb.632:
	v_cvt_f16_u16_sdwa v3, s23 dst_sel:DWORD dst_unused:UNUSED_PAD src0_sel:BYTE_0
	global_store_dword v[0:1], v3, off
.LBB6_633:
	s_mov_b64 s[8:9], 0
.LBB6_634:
	s_andn2_b64 vcc, exec, s[8:9]
	s_cbranch_vccnz .LBB6_643
; %bb.635:
	v_cmp_gt_i16_e32 vcc, 6, v8
	s_mov_b64 s[8:9], -1
	s_cbranch_vccnz .LBB6_641
; %bb.636:
	v_cmp_lt_i16_e32 vcc, 6, v8
	s_cbranch_vccz .LBB6_638
; %bb.637:
	s_mov_b32 s8, 0xffff
	v_mov_b32_e32 v3, s23
	v_and_b32_sdwa v3, s8, v3 dst_sel:DWORD dst_unused:UNUSED_PAD src0_sel:DWORD src1_sel:BYTE_0
	v_cvt_f64_u32_e32 v[4:5], v3
	global_store_dwordx2 v[0:1], v[4:5], off
	s_mov_b64 s[8:9], 0
.LBB6_638:
	s_andn2_b64 vcc, exec, s[8:9]
	s_cbranch_vccnz .LBB6_640
; %bb.639:
	v_cvt_f32_ubyte0_e32 v3, s23
	global_store_dword v[0:1], v3, off
.LBB6_640:
	s_mov_b64 s[8:9], 0
.LBB6_641:
	s_andn2_b64 vcc, exec, s[8:9]
	s_cbranch_vccnz .LBB6_643
; %bb.642:
	v_cvt_f16_u16_sdwa v3, s23 dst_sel:DWORD dst_unused:UNUSED_PAD src0_sel:BYTE_0
	global_store_short v[0:1], v3, off
.LBB6_643:
	s_mov_b64 s[8:9], 0
.LBB6_644:
	s_andn2_b64 vcc, exec, s[8:9]
	s_cbranch_vccnz .LBB6_660
; %bb.645:
	v_cmp_gt_i16_e32 vcc, 2, v8
	s_mov_b64 s[8:9], -1
	s_cbranch_vccnz .LBB6_655
; %bb.646:
	v_cmp_gt_i16_e32 vcc, 3, v8
	s_cbranch_vccnz .LBB6_652
; %bb.647:
	v_cmp_lt_i16_e32 vcc, 3, v8
	s_cbranch_vccz .LBB6_649
; %bb.648:
	s_and_b32 s8, s23, 0xff
	v_mov_b32_e32 v4, s8
	v_mov_b32_e32 v5, 0
	global_store_dwordx2 v[0:1], v[4:5], off
	s_mov_b64 s[8:9], 0
.LBB6_649:
	s_andn2_b64 vcc, exec, s[8:9]
	s_cbranch_vccnz .LBB6_651
; %bb.650:
	s_and_b32 s8, s23, 0xff
	v_mov_b32_e32 v3, s8
	global_store_dword v[0:1], v3, off
.LBB6_651:
	s_mov_b64 s[8:9], 0
.LBB6_652:
	s_andn2_b64 vcc, exec, s[8:9]
	s_cbranch_vccnz .LBB6_654
; %bb.653:
	v_mov_b32_e32 v3, 0xff
	v_and_b32_e32 v3, s23, v3
	global_store_short v[0:1], v3, off
.LBB6_654:
	s_mov_b64 s[8:9], 0
.LBB6_655:
	s_andn2_b64 vcc, exec, s[8:9]
	s_cbranch_vccnz .LBB6_660
; %bb.656:
	v_cmp_lt_i16_e32 vcc, 0, v8
	s_mov_b64 s[8:9], -1
	s_cbranch_vccz .LBB6_658
; %bb.657:
	v_mov_b32_e32 v3, s23
	global_store_byte v[0:1], v3, off
	s_mov_b64 s[8:9], 0
.LBB6_658:
	s_andn2_b64 vcc, exec, s[8:9]
	s_cbranch_vccnz .LBB6_660
; %bb.659:
	v_mov_b32_e32 v3, s23
	global_store_byte v[0:1], v3, off
.LBB6_660:
.LBB6_661:
	v_add_u32_e32 v2, s16, v2
	v_ashrrev_i32_e32 v1, 31, v2
	v_mov_b32_e32 v3, s21
	v_add_co_u32_e32 v0, vcc, s20, v2
	v_addc_co_u32_e32 v1, vcc, v3, v1, vcc
	s_and_b64 vcc, exec, s[0:1]
	s_cbranch_vccnz .LBB6_689
; %bb.662:
	v_cmp_lt_i16_e32 vcc, 25, v8
	s_mov_b64 s[14:15], -1
	s_mov_b64 s[10:11], 0
	s_mov_b64 s[12:13], 0
	;; [unrolled: 1-line block ×3, first 2 shown]
	s_cbranch_vccz .LBB6_730
; %bb.663:
	v_cmp_lt_i16_e32 vcc, 28, v8
	s_cbranch_vccz .LBB6_678
; %bb.664:
	v_cmp_lt_i16_e32 vcc, 43, v8
	;; [unrolled: 3-line block ×3, first 2 shown]
	s_cbranch_vccz .LBB6_668
; %bb.666:
	v_cmp_eq_u16_e32 vcc, 46, v8
	s_mov_b64 s[8:9], -1
	s_mov_b64 s[14:15], 0
	s_cbranch_vccz .LBB6_668
; %bb.667:
	v_cvt_f32_ubyte0_e32 v3, s23
	v_bfe_u32 v4, v3, 16, 1
	v_add_u32_e32 v3, v3, v4
	v_add_u32_e32 v3, 0x7fff, v3
	v_lshrrev_b32_e32 v3, 16, v3
	global_store_dword v[0:1], v3, off
	s_mov_b64 s[8:9], 0
	s_mov_b64 s[12:13], -1
.LBB6_668:
	s_and_b64 vcc, exec, s[14:15]
	s_cbranch_vccz .LBB6_673
; %bb.669:
	v_cmp_eq_u16_e32 vcc, 44, v8
	s_mov_b64 s[8:9], -1
	s_cbranch_vccz .LBB6_673
; %bb.670:
	v_cvt_f32_ubyte0_e32 v3, s23
	v_readfirstlane_b32 s9, v3
	s_lshr_b32 s8, s9, 23
	s_cmpk_eq_i32 s8, 0xff
	v_mov_b32_e32 v3, 0xff
	s_cbranch_scc1 .LBB6_672
; %bb.671:
	s_bitcmp1_b32 s9, 22
	s_cselect_b64 s[12:13], -1, 0
	s_and_b32 s9, s9, 0x3fffff
	s_or_b32 s9, s8, s9
	s_cmp_lg_u32 s9, 0
	s_cselect_b64 s[14:15], -1, 0
	s_and_b64 s[12:13], s[12:13], s[14:15]
	v_cndmask_b32_e64 v3, 0, 1, s[12:13]
	v_add_u32_e32 v3, s8, v3
.LBB6_672:
	s_mov_b64 s[8:9], 0
	s_mov_b64 s[12:13], -1
	global_store_byte v[0:1], v3, off
.LBB6_673:
	s_mov_b64 s[14:15], 0
.LBB6_674:
	s_and_b64 vcc, exec, s[14:15]
	s_cbranch_vccz .LBB6_677
; %bb.675:
	v_cmp_eq_u16_e32 vcc, 29, v8
	s_mov_b64 s[8:9], -1
	s_cbranch_vccz .LBB6_677
; %bb.676:
	s_and_b32 s8, s23, 0xff
	v_mov_b32_e32 v4, s8
	v_mov_b32_e32 v5, 0
	global_store_dwordx2 v[0:1], v[4:5], off
	s_mov_b64 s[8:9], 0
	s_mov_b64 s[12:13], -1
.LBB6_677:
	s_mov_b64 s[14:15], 0
.LBB6_678:
	s_and_b64 vcc, exec, s[14:15]
	s_cbranch_vccz .LBB6_729
; %bb.679:
	v_cmp_gt_i16_e32 vcc, 27, v8
	s_mov_b64 s[12:13], -1
	s_cbranch_vccnz .LBB6_685
; %bb.680:
	v_cmp_lt_i16_e32 vcc, 27, v8
	s_cbranch_vccz .LBB6_682
; %bb.681:
	s_and_b32 s12, s23, 0xff
	v_mov_b32_e32 v3, s12
	s_mov_b64 s[12:13], 0
	global_store_dword v[0:1], v3, off
.LBB6_682:
	s_andn2_b64 vcc, exec, s[12:13]
	s_cbranch_vccnz .LBB6_684
; %bb.683:
	v_mov_b32_e32 v3, 0xff
	v_and_b32_e32 v3, s23, v3
	global_store_short v[0:1], v3, off
.LBB6_684:
	s_mov_b64 s[12:13], 0
.LBB6_685:
	s_andn2_b64 vcc, exec, s[12:13]
	s_cbranch_vccnz .LBB6_728
; %bb.686:
	v_cvt_f32_ubyte0_e32 v3, s23
	s_mov_b32 s13, 0x437fffff
	v_cmp_lt_u32_e32 vcc, s13, v3
	v_readfirstlane_b32 s12, v3
	v_mov_b32_e32 v5, 0x80
	s_cbranch_vccnz .LBB6_727
; %bb.687:
	s_cmp_gt_u32 s12, 0x3bffffff
	s_cbranch_scc0 .LBB6_722
; %bb.688:
	s_bfe_u32 s13, s12, 0x10014
	s_add_i32 s12, s12, s13
	s_add_i32 s12, s12, 0x487ffff
	s_lshr_b32 s17, s12, 20
	s_mov_b64 s[14:15], 0
	s_mov_b64 s[12:13], -1
	s_branch .LBB6_723
.LBB6_689:
	s_mov_b64 s[12:13], 0
	s_cbranch_execnz .LBB6_794
.LBB6_690:
	s_andn2_b64 vcc, exec, s[12:13]
	s_cbranch_vccnz .LBB6_832
.LBB6_691:
	v_add_u32_e32 v0, s16, v2
	v_ashrrev_i32_e32 v1, 31, v0
	v_mov_b32_e32 v2, s21
	v_add_co_u32_e32 v0, vcc, s20, v0
	v_addc_co_u32_e32 v1, vcc, v2, v1, vcc
	s_and_b64 vcc, exec, s[0:1]
	s_cbranch_vccnz .LBB6_720
; %bb.692:
	v_cmp_lt_i16_e32 vcc, 25, v8
	s_mov_b64 s[10:11], -1
	s_mov_b64 s[8:9], 0
	s_mov_b64 s[0:1], 0
	s_cbranch_vccz .LBB6_744
; %bb.693:
	v_cmp_lt_i16_e32 vcc, 28, v8
	s_cbranch_vccz .LBB6_709
; %bb.694:
	v_cmp_lt_i16_e32 vcc, 43, v8
	;; [unrolled: 3-line block ×3, first 2 shown]
	s_cbranch_vccz .LBB6_699
; %bb.696:
	v_cmp_eq_u16_e32 vcc, 46, v8
	s_mov_b64 s[0:1], -1
	s_cbranch_vccz .LBB6_698
; %bb.697:
	v_cvt_f32_ubyte0_e32 v2, s23
	v_bfe_u32 v3, v2, 16, 1
	v_add_u32_e32 v2, v2, v3
	v_add_u32_e32 v2, 0x7fff, v2
	v_lshrrev_b32_e32 v2, 16, v2
	global_store_dword v[0:1], v2, off
	s_mov_b64 s[0:1], 0
.LBB6_698:
	s_mov_b64 s[10:11], 0
.LBB6_699:
	s_and_b64 vcc, exec, s[10:11]
	s_cbranch_vccz .LBB6_704
; %bb.700:
	v_cmp_eq_u16_e32 vcc, 44, v8
	s_mov_b64 s[0:1], -1
	s_cbranch_vccz .LBB6_704
; %bb.701:
	v_cvt_f32_ubyte0_e32 v2, s23
	v_readfirstlane_b32 s1, v2
	s_lshr_b32 s0, s1, 23
	s_cmpk_eq_i32 s0, 0xff
	v_mov_b32_e32 v2, 0xff
	s_cbranch_scc1 .LBB6_703
; %bb.702:
	s_bitcmp1_b32 s1, 22
	s_cselect_b64 s[10:11], -1, 0
	s_and_b32 s1, s1, 0x3fffff
	s_or_b32 s1, s0, s1
	s_cmp_lg_u32 s1, 0
	s_cselect_b64 s[12:13], -1, 0
	s_and_b64 s[10:11], s[10:11], s[12:13]
	v_cndmask_b32_e64 v2, 0, 1, s[10:11]
	v_add_u32_e32 v2, s0, v2
.LBB6_703:
	s_mov_b64 s[0:1], 0
	global_store_byte v[0:1], v2, off
.LBB6_704:
	s_mov_b64 s[10:11], 0
.LBB6_705:
	s_and_b64 vcc, exec, s[10:11]
	s_cbranch_vccz .LBB6_708
; %bb.706:
	v_cmp_eq_u16_e32 vcc, 29, v8
	s_mov_b64 s[0:1], -1
	s_cbranch_vccz .LBB6_708
; %bb.707:
	s_and_b32 s0, s23, 0xff
	v_mov_b32_e32 v2, s0
	v_mov_b32_e32 v3, 0
	global_store_dwordx2 v[0:1], v[2:3], off
	s_mov_b64 s[0:1], 0
.LBB6_708:
	s_mov_b64 s[10:11], 0
.LBB6_709:
	s_and_b64 vcc, exec, s[10:11]
	s_cbranch_vccz .LBB6_743
; %bb.710:
	v_cmp_gt_i16_e32 vcc, 27, v8
	s_mov_b64 s[10:11], -1
	s_cbranch_vccnz .LBB6_716
; %bb.711:
	v_cmp_lt_i16_e32 vcc, 27, v8
	s_cbranch_vccz .LBB6_713
; %bb.712:
	s_and_b32 s10, s23, 0xff
	v_mov_b32_e32 v2, s10
	global_store_dword v[0:1], v2, off
	s_mov_b64 s[10:11], 0
.LBB6_713:
	s_andn2_b64 vcc, exec, s[10:11]
	s_cbranch_vccnz .LBB6_715
; %bb.714:
	v_mov_b32_e32 v2, 0xff
	v_and_b32_e32 v2, s23, v2
	global_store_short v[0:1], v2, off
.LBB6_715:
	s_mov_b64 s[10:11], 0
.LBB6_716:
	s_andn2_b64 vcc, exec, s[10:11]
	s_cbranch_vccnz .LBB6_743
; %bb.717:
	v_cvt_f32_ubyte0_e32 v2, s23
	s_mov_b32 s11, 0x437fffff
	v_cmp_lt_u32_e32 vcc, s11, v2
	v_readfirstlane_b32 s10, v2
	v_mov_b32_e32 v4, 0x80
	s_cbranch_vccnz .LBB6_742
; %bb.718:
	s_cmp_gt_u32 s10, 0x3bffffff
	s_cbranch_scc0 .LBB6_737
; %bb.719:
	s_bfe_u32 s11, s10, 0x10014
	s_add_i32 s10, s10, s11
	s_add_i32 s10, s10, 0x487ffff
	s_lshr_b32 s14, s10, 20
	s_mov_b64 s[12:13], 0
	s_mov_b64 s[10:11], -1
	s_branch .LBB6_738
.LBB6_720:
	s_mov_b64 s[8:9], 0
	s_mov_b64 s[0:1], -1
	s_branch .LBB6_833
.LBB6_721:
	s_trap 2
	s_or_b64 s[6:7], s[6:7], exec
	s_cbranch_execz .LBB6_621
	s_branch .LBB6_622
.LBB6_722:
	s_mov_b64 s[14:15], -1
	s_mov_b64 s[12:13], 0
                                        ; implicit-def: $sgpr17
.LBB6_723:
	s_andn2_b64 vcc, exec, s[14:15]
	v_mov_b32_e32 v4, s17
                                        ; implicit-def: $sgpr14
	s_cbranch_vccnz .LBB6_725
; %bb.724:
	v_add_f32_e32 v3, 0x46000000, v3
	v_and_b32_e32 v4, 0xff, v3
	s_mov_b32 s14, 0
	v_cmp_ne_u32_e64 s[12:13], 0, v4
.LBB6_725:
	s_andn2_b64 vcc, exec, s[12:13]
	v_mov_b32_e32 v5, s14
	s_cbranch_vccnz .LBB6_727
; %bb.726:
	v_mov_b32_e32 v5, v4
.LBB6_727:
	global_store_byte v[0:1], v5, off
.LBB6_728:
	s_mov_b64 s[12:13], -1
.LBB6_729:
	s_mov_b64 s[14:15], 0
.LBB6_730:
	s_and_b64 vcc, exec, s[14:15]
	s_cbranch_vccz .LBB6_790
; %bb.731:
	v_cmp_lt_i16_e32 vcc, 22, v8
	s_mov_b64 s[10:11], -1
	s_cbranch_vccz .LBB6_783
; %bb.732:
	v_cmp_gt_i16_e32 vcc, 24, v8
	s_cbranch_vccnz .LBB6_770
; %bb.733:
	v_cmp_lt_i16_e32 vcc, 24, v8
	s_cbranch_vccz .LBB6_757
; %bb.734:
	v_cvt_f32_ubyte0_e32 v3, s23
	s_mov_b32 s11, 0x477fffff
	v_cmp_lt_u32_e32 vcc, s11, v3
	v_readfirstlane_b32 s10, v3
	v_mov_b32_e32 v5, 0x80
	s_cbranch_vccnz .LBB6_756
; %bb.735:
	s_cmp_gt_u32 s10, 0x37ffffff
	s_cbranch_scc0 .LBB6_751
; %bb.736:
	s_bfe_u32 s11, s10, 0x10015
	s_add_i32 s10, s10, s11
	s_add_i32 s10, s10, 0x88fffff
	s_lshr_b32 s14, s10, 21
	s_mov_b64 s[12:13], 0
	s_mov_b64 s[10:11], -1
	s_branch .LBB6_752
.LBB6_737:
	s_mov_b64 s[12:13], -1
	s_mov_b64 s[10:11], 0
                                        ; implicit-def: $sgpr14
.LBB6_738:
	s_andn2_b64 vcc, exec, s[12:13]
	v_mov_b32_e32 v3, s14
                                        ; implicit-def: $sgpr12
	s_cbranch_vccnz .LBB6_740
; %bb.739:
	v_add_f32_e32 v2, 0x46000000, v2
	v_and_b32_e32 v3, 0xff, v2
	s_mov_b32 s12, 0
	v_cmp_ne_u32_e64 s[10:11], 0, v3
.LBB6_740:
	s_andn2_b64 vcc, exec, s[10:11]
	v_mov_b32_e32 v4, s12
	s_cbranch_vccnz .LBB6_742
; %bb.741:
	v_mov_b32_e32 v4, v3
.LBB6_742:
	global_store_byte v[0:1], v4, off
.LBB6_743:
	s_mov_b64 s[10:11], 0
.LBB6_744:
	s_and_b64 vcc, exec, s[10:11]
	s_cbranch_vccz .LBB6_914
; %bb.745:
	v_cmp_lt_i16_e32 vcc, 22, v8
	s_mov_b64 s[8:9], -1
	s_cbranch_vccz .LBB6_907
; %bb.746:
	v_cmp_gt_i16_e32 vcc, 24, v8
	s_cbranch_vccnz .LBB6_894
; %bb.747:
	v_cmp_lt_i16_e32 vcc, 24, v8
	s_cbranch_vccz .LBB6_881
; %bb.748:
	v_cvt_f32_ubyte0_e32 v2, s23
	s_mov_b32 s9, 0x477fffff
	v_cmp_lt_u32_e32 vcc, s9, v2
	v_readfirstlane_b32 s8, v2
	v_mov_b32_e32 v4, 0x80
	s_cbranch_vccnz .LBB6_880
; %bb.749:
	s_cmp_gt_u32 s8, 0x37ffffff
	s_cbranch_scc0 .LBB6_875
; %bb.750:
	s_bfe_u32 s9, s8, 0x10015
	s_add_i32 s8, s8, s9
	s_add_i32 s8, s8, 0x88fffff
	s_lshr_b32 s12, s8, 21
	s_mov_b64 s[10:11], 0
	s_mov_b64 s[8:9], -1
	s_branch .LBB6_876
.LBB6_751:
	s_mov_b64 s[12:13], -1
	s_mov_b64 s[10:11], 0
                                        ; implicit-def: $sgpr14
.LBB6_752:
	s_andn2_b64 vcc, exec, s[12:13]
	v_mov_b32_e32 v4, s14
                                        ; implicit-def: $sgpr12
	s_cbranch_vccnz .LBB6_754
; %bb.753:
	v_add_f32_e32 v3, 0x42800000, v3
	v_and_b32_e32 v4, 0xff, v3
	s_mov_b32 s12, 0
	v_cmp_ne_u32_e64 s[10:11], 0, v4
.LBB6_754:
	s_andn2_b64 vcc, exec, s[10:11]
	v_mov_b32_e32 v5, s12
	s_cbranch_vccnz .LBB6_756
; %bb.755:
	v_mov_b32_e32 v5, v4
.LBB6_756:
	s_mov_b64 s[10:11], 0
	global_store_byte v[0:1], v5, off
.LBB6_757:
	s_and_b64 vcc, exec, s[10:11]
	s_cbranch_vccz .LBB6_769
; %bb.758:
	v_cvt_f32_ubyte0_e32 v3, s23
	s_mov_b32 s10, 0x43f00000
	v_cmp_gt_u32_e32 vcc, s10, v3
	v_readfirstlane_b32 s12, v3
	s_cbranch_vccz .LBB6_761
; %bb.759:
	s_cmp_gt_u32 s12, 0x3c7fffff
	s_cbranch_scc0 .LBB6_762
; %bb.760:
	s_bfe_u32 s10, s12, 0x10014
	s_add_i32 s10, s12, s10
	s_add_i32 s10, s10, 0x407ffff
	s_lshr_b32 s11, s10, 20
	s_and_b32 s10, s10, 0xff00000
	s_cmp_lg_u32 s10, 0x7f00000
	s_cselect_b32 s13, s11, 0x7e
	s_mov_b64 s[10:11], 0
	s_branch .LBB6_763
.LBB6_761:
	s_mov_b64 s[10:11], -1
                                        ; implicit-def: $vgpr4
	s_branch .LBB6_766
.LBB6_762:
	s_mov_b64 s[10:11], -1
                                        ; implicit-def: $sgpr13
.LBB6_763:
	s_andn2_b64 vcc, exec, s[10:11]
	v_mov_b32_e32 v4, s13
	s_cbranch_vccnz .LBB6_765
; %bb.764:
	v_add_f32_e32 v4, 0x46800000, v3
.LBB6_765:
	s_mov_b64 s[10:11], 0
.LBB6_766:
	s_andn2_b64 vcc, exec, s[10:11]
	s_cbranch_vccnz .LBB6_768
; %bb.767:
	s_cmp_gt_u32 s12, 0x7f800000
	s_movk_i32 s10, 0x7f
	s_cselect_b32 s10, s10, 0x7e
	v_mov_b32_e32 v4, s10
.LBB6_768:
	global_store_byte v[0:1], v4, off
.LBB6_769:
	s_mov_b64 s[10:11], 0
.LBB6_770:
	s_andn2_b64 vcc, exec, s[10:11]
	s_cbranch_vccnz .LBB6_782
; %bb.771:
	v_cvt_f32_ubyte0_e32 v3, s23
	s_mov_b32 s10, 0x47800000
	v_cmp_gt_u32_e32 vcc, s10, v3
	v_readfirstlane_b32 s12, v3
	s_cbranch_vccz .LBB6_774
; %bb.772:
	s_cmp_gt_u32 s12, 0x387fffff
	s_cbranch_scc0 .LBB6_775
; %bb.773:
	s_bfe_u32 s10, s12, 0x10015
	s_add_i32 s10, s12, s10
	s_add_i32 s10, s10, 0x80fffff
	s_lshr_b32 s13, s10, 21
	s_mov_b64 s[10:11], 0
	s_branch .LBB6_776
.LBB6_774:
	s_mov_b64 s[10:11], -1
                                        ; implicit-def: $vgpr4
	s_branch .LBB6_779
.LBB6_775:
	s_mov_b64 s[10:11], -1
                                        ; implicit-def: $sgpr13
.LBB6_776:
	s_andn2_b64 vcc, exec, s[10:11]
	v_mov_b32_e32 v4, s13
	s_cbranch_vccnz .LBB6_778
; %bb.777:
	v_add_f32_e32 v4, 0x43000000, v3
.LBB6_778:
	s_mov_b64 s[10:11], 0
.LBB6_779:
	s_andn2_b64 vcc, exec, s[10:11]
	s_cbranch_vccnz .LBB6_781
; %bb.780:
	s_cmp_gt_u32 s12, 0x7f800000
	s_movk_i32 s10, 0x7f
	s_cselect_b32 s10, s10, 0x7c
	v_mov_b32_e32 v4, s10
.LBB6_781:
	global_store_byte v[0:1], v4, off
.LBB6_782:
	s_mov_b64 s[10:11], 0
	s_mov_b64 s[12:13], -1
.LBB6_783:
	s_andn2_b64 vcc, exec, s[10:11]
	s_mov_b64 s[10:11], 0
	s_cbranch_vccnz .LBB6_790
; %bb.784:
	v_cmp_lt_i16_e32 vcc, 14, v8
	s_mov_b64 s[14:15], -1
	s_cbranch_vccz .LBB6_788
; %bb.785:
	v_cmp_eq_u16_e32 vcc, 15, v8
	s_mov_b64 s[8:9], -1
	s_cbranch_vccz .LBB6_787
; %bb.786:
	v_cvt_f32_ubyte0_e32 v3, s23
	v_bfe_u32 v4, v3, 16, 1
	v_add_u32_e32 v3, v3, v4
	v_add_u32_e32 v3, 0x7fff, v3
	global_store_short_d16_hi v[0:1], v3, off
	s_mov_b64 s[8:9], 0
	s_mov_b64 s[12:13], -1
.LBB6_787:
	s_mov_b64 s[14:15], 0
.LBB6_788:
	s_and_b64 vcc, exec, s[14:15]
	s_cbranch_vccz .LBB6_790
; %bb.789:
	v_cmp_ne_u16_e64 s[8:9], 11, v8
	s_mov_b64 s[10:11], -1
.LBB6_790:
	s_and_b64 vcc, exec, s[8:9]
	s_cbranch_vccnz .LBB6_874
; %bb.791:
	s_andn2_b64 vcc, exec, s[10:11]
	s_cbranch_vccnz .LBB6_793
.LBB6_792:
	v_mov_b32_e32 v3, 0
	v_cmp_ne_u16_sdwa s[8:9], s23, v3 src0_sel:BYTE_0 src1_sel:DWORD
	v_cndmask_b32_e64 v3, 0, 1, s[8:9]
	s_mov_b64 s[12:13], -1
	global_store_byte v[0:1], v3, off
.LBB6_793:
	s_branch .LBB6_690
.LBB6_794:
	v_cmp_gt_i16_e32 vcc, 5, v8
	s_mov_b64 s[8:9], -1
	s_cbranch_vccnz .LBB6_815
; %bb.795:
	v_cmp_gt_i16_e32 vcc, 8, v8
	s_cbranch_vccnz .LBB6_805
; %bb.796:
	v_cmp_gt_i16_e32 vcc, 9, v8
	s_cbranch_vccnz .LBB6_802
; %bb.797:
	v_cmp_lt_i16_e32 vcc, 9, v8
	s_cbranch_vccz .LBB6_799
; %bb.798:
	s_mov_b32 s8, 0xffff
	v_mov_b32_e32 v3, s23
	v_and_b32_sdwa v3, s8, v3 dst_sel:DWORD dst_unused:UNUSED_PAD src0_sel:DWORD src1_sel:BYTE_0
	v_mov_b32_e32 v6, 0
	v_cvt_f64_u32_e32 v[4:5], v3
	v_mov_b32_e32 v7, v6
	global_store_dwordx4 v[0:1], v[4:7], off
	s_mov_b64 s[8:9], 0
.LBB6_799:
	s_andn2_b64 vcc, exec, s[8:9]
	s_cbranch_vccnz .LBB6_801
; %bb.800:
	v_cvt_f32_ubyte0_e32 v4, s23
	v_mov_b32_e32 v5, 0
	global_store_dwordx2 v[0:1], v[4:5], off
.LBB6_801:
	s_mov_b64 s[8:9], 0
.LBB6_802:
	s_andn2_b64 vcc, exec, s[8:9]
	s_cbranch_vccnz .LBB6_804
; %bb.803:
	v_cvt_f16_u16_sdwa v3, s23 dst_sel:DWORD dst_unused:UNUSED_PAD src0_sel:BYTE_0
	global_store_dword v[0:1], v3, off
.LBB6_804:
	s_mov_b64 s[8:9], 0
.LBB6_805:
	s_andn2_b64 vcc, exec, s[8:9]
	s_cbranch_vccnz .LBB6_814
; %bb.806:
	v_cmp_gt_i16_e32 vcc, 6, v8
	s_mov_b64 s[8:9], -1
	s_cbranch_vccnz .LBB6_812
; %bb.807:
	v_cmp_lt_i16_e32 vcc, 6, v8
	s_cbranch_vccz .LBB6_809
; %bb.808:
	s_mov_b32 s8, 0xffff
	v_mov_b32_e32 v3, s23
	v_and_b32_sdwa v3, s8, v3 dst_sel:DWORD dst_unused:UNUSED_PAD src0_sel:DWORD src1_sel:BYTE_0
	v_cvt_f64_u32_e32 v[4:5], v3
	global_store_dwordx2 v[0:1], v[4:5], off
	s_mov_b64 s[8:9], 0
.LBB6_809:
	s_andn2_b64 vcc, exec, s[8:9]
	s_cbranch_vccnz .LBB6_811
; %bb.810:
	v_cvt_f32_ubyte0_e32 v3, s23
	global_store_dword v[0:1], v3, off
.LBB6_811:
	s_mov_b64 s[8:9], 0
.LBB6_812:
	s_andn2_b64 vcc, exec, s[8:9]
	s_cbranch_vccnz .LBB6_814
; %bb.813:
	v_cvt_f16_u16_sdwa v3, s23 dst_sel:DWORD dst_unused:UNUSED_PAD src0_sel:BYTE_0
	global_store_short v[0:1], v3, off
.LBB6_814:
	s_mov_b64 s[8:9], 0
.LBB6_815:
	s_andn2_b64 vcc, exec, s[8:9]
	s_cbranch_vccnz .LBB6_831
; %bb.816:
	v_cmp_gt_i16_e32 vcc, 2, v8
	s_mov_b64 s[8:9], -1
	s_cbranch_vccnz .LBB6_826
; %bb.817:
	v_cmp_gt_i16_e32 vcc, 3, v8
	s_cbranch_vccnz .LBB6_823
; %bb.818:
	v_cmp_lt_i16_e32 vcc, 3, v8
	s_cbranch_vccz .LBB6_820
; %bb.819:
	s_and_b32 s8, s23, 0xff
	v_mov_b32_e32 v4, s8
	v_mov_b32_e32 v5, 0
	global_store_dwordx2 v[0:1], v[4:5], off
	s_mov_b64 s[8:9], 0
.LBB6_820:
	s_andn2_b64 vcc, exec, s[8:9]
	s_cbranch_vccnz .LBB6_822
; %bb.821:
	s_and_b32 s8, s23, 0xff
	v_mov_b32_e32 v3, s8
	global_store_dword v[0:1], v3, off
.LBB6_822:
	s_mov_b64 s[8:9], 0
.LBB6_823:
	s_andn2_b64 vcc, exec, s[8:9]
	s_cbranch_vccnz .LBB6_825
; %bb.824:
	v_mov_b32_e32 v3, 0xff
	v_and_b32_e32 v3, s23, v3
	global_store_short v[0:1], v3, off
.LBB6_825:
	s_mov_b64 s[8:9], 0
.LBB6_826:
	s_andn2_b64 vcc, exec, s[8:9]
	s_cbranch_vccnz .LBB6_831
; %bb.827:
	v_cmp_lt_i16_e32 vcc, 0, v8
	s_mov_b64 s[8:9], -1
	s_cbranch_vccz .LBB6_829
; %bb.828:
	v_mov_b32_e32 v3, s23
	global_store_byte v[0:1], v3, off
	s_mov_b64 s[8:9], 0
.LBB6_829:
	s_andn2_b64 vcc, exec, s[8:9]
	s_cbranch_vccnz .LBB6_831
; %bb.830:
	v_mov_b32_e32 v3, s23
	global_store_byte v[0:1], v3, off
.LBB6_831:
	s_branch .LBB6_691
.LBB6_832:
	s_mov_b64 s[0:1], 0
	s_mov_b64 s[8:9], 0
                                        ; implicit-def: $vgpr8
                                        ; implicit-def: $vgpr0_vgpr1
.LBB6_833:
	s_andn2_b64 s[2:3], s[2:3], exec
	s_and_b64 s[6:7], s[6:7], exec
	s_and_b64 s[0:1], s[0:1], exec
	;; [unrolled: 1-line block ×3, first 2 shown]
	s_or_b64 s[2:3], s[2:3], s[6:7]
	s_or_b64 exec, exec, s[4:5]
	s_and_saveexec_b64 s[4:5], s[2:3]
	s_cbranch_execnz .LBB6_434
.LBB6_834:
	s_or_b64 exec, exec, s[4:5]
	s_and_saveexec_b64 s[2:3], s[18:19]
	s_xor_b64 s[2:3], exec, s[2:3]
	s_cbranch_execz .LBB6_435
.LBB6_835:
	v_mov_b32_e32 v2, 0
	v_cmp_ne_u16_sdwa s[4:5], s23, v2 src0_sel:BYTE_0 src1_sel:DWORD
	v_cndmask_b32_e64 v2, 0, 1, s[4:5]
	global_store_byte v[0:1], v2, off
	s_or_b64 exec, exec, s[2:3]
	s_and_saveexec_b64 s[2:3], s[0:1]
	s_cbranch_execz .LBB6_873
.LBB6_836:
	v_cmp_gt_i16_e32 vcc, 5, v8
	s_mov_b64 s[0:1], -1
	s_cbranch_vccnz .LBB6_857
; %bb.837:
	v_cmp_gt_i16_e32 vcc, 8, v8
	s_cbranch_vccnz .LBB6_847
; %bb.838:
	v_cmp_gt_i16_e32 vcc, 9, v8
	s_cbranch_vccnz .LBB6_844
; %bb.839:
	v_cmp_lt_i16_e32 vcc, 9, v8
	s_cbranch_vccz .LBB6_841
; %bb.840:
	s_mov_b32 s0, 0xffff
	v_mov_b32_e32 v2, s23
	v_and_b32_sdwa v2, s0, v2 dst_sel:DWORD dst_unused:UNUSED_PAD src0_sel:DWORD src1_sel:BYTE_0
	v_mov_b32_e32 v4, 0
	v_cvt_f64_u32_e32 v[2:3], v2
	v_mov_b32_e32 v5, v4
	global_store_dwordx4 v[0:1], v[2:5], off
	s_mov_b64 s[0:1], 0
.LBB6_841:
	s_andn2_b64 vcc, exec, s[0:1]
	s_cbranch_vccnz .LBB6_843
; %bb.842:
	v_cvt_f32_ubyte0_e32 v2, s23
	v_mov_b32_e32 v3, 0
	global_store_dwordx2 v[0:1], v[2:3], off
.LBB6_843:
	s_mov_b64 s[0:1], 0
.LBB6_844:
	s_andn2_b64 vcc, exec, s[0:1]
	s_cbranch_vccnz .LBB6_846
; %bb.845:
	v_cvt_f16_u16_sdwa v2, s23 dst_sel:DWORD dst_unused:UNUSED_PAD src0_sel:BYTE_0
	global_store_dword v[0:1], v2, off
.LBB6_846:
	s_mov_b64 s[0:1], 0
.LBB6_847:
	s_andn2_b64 vcc, exec, s[0:1]
	s_cbranch_vccnz .LBB6_856
; %bb.848:
	v_cmp_gt_i16_e32 vcc, 6, v8
	s_mov_b64 s[0:1], -1
	s_cbranch_vccnz .LBB6_854
; %bb.849:
	v_cmp_lt_i16_e32 vcc, 6, v8
	s_cbranch_vccz .LBB6_851
; %bb.850:
	s_mov_b32 s0, 0xffff
	v_mov_b32_e32 v2, s23
	v_and_b32_sdwa v2, s0, v2 dst_sel:DWORD dst_unused:UNUSED_PAD src0_sel:DWORD src1_sel:BYTE_0
	v_cvt_f64_u32_e32 v[2:3], v2
	global_store_dwordx2 v[0:1], v[2:3], off
	s_mov_b64 s[0:1], 0
.LBB6_851:
	s_andn2_b64 vcc, exec, s[0:1]
	s_cbranch_vccnz .LBB6_853
; %bb.852:
	v_cvt_f32_ubyte0_e32 v2, s23
	global_store_dword v[0:1], v2, off
.LBB6_853:
	s_mov_b64 s[0:1], 0
.LBB6_854:
	s_andn2_b64 vcc, exec, s[0:1]
	s_cbranch_vccnz .LBB6_856
; %bb.855:
	v_cvt_f16_u16_sdwa v2, s23 dst_sel:DWORD dst_unused:UNUSED_PAD src0_sel:BYTE_0
	global_store_short v[0:1], v2, off
.LBB6_856:
	s_mov_b64 s[0:1], 0
.LBB6_857:
	s_andn2_b64 vcc, exec, s[0:1]
	s_cbranch_vccnz .LBB6_873
; %bb.858:
	v_cmp_gt_i16_e32 vcc, 2, v8
	s_mov_b64 s[0:1], -1
	s_cbranch_vccnz .LBB6_868
; %bb.859:
	v_cmp_gt_i16_e32 vcc, 3, v8
	s_cbranch_vccnz .LBB6_865
; %bb.860:
	v_cmp_lt_i16_e32 vcc, 3, v8
	s_cbranch_vccz .LBB6_862
; %bb.861:
	s_and_b32 s0, s23, 0xff
	v_mov_b32_e32 v2, s0
	v_mov_b32_e32 v3, 0
	global_store_dwordx2 v[0:1], v[2:3], off
	s_mov_b64 s[0:1], 0
.LBB6_862:
	s_andn2_b64 vcc, exec, s[0:1]
	s_cbranch_vccnz .LBB6_864
; %bb.863:
	s_and_b32 s0, s23, 0xff
	v_mov_b32_e32 v2, s0
	global_store_dword v[0:1], v2, off
.LBB6_864:
	s_mov_b64 s[0:1], 0
.LBB6_865:
	s_andn2_b64 vcc, exec, s[0:1]
	s_cbranch_vccnz .LBB6_867
; %bb.866:
	v_mov_b32_e32 v2, 0xff
	v_and_b32_e32 v2, s23, v2
	global_store_short v[0:1], v2, off
.LBB6_867:
	s_mov_b64 s[0:1], 0
.LBB6_868:
	s_andn2_b64 vcc, exec, s[0:1]
	s_cbranch_vccnz .LBB6_873
; %bb.869:
	v_cmp_lt_i16_e32 vcc, 0, v8
	s_mov_b64 s[0:1], -1
	s_cbranch_vccz .LBB6_871
; %bb.870:
	v_mov_b32_e32 v2, s23
	global_store_byte v[0:1], v2, off
	s_mov_b64 s[0:1], 0
.LBB6_871:
	s_andn2_b64 vcc, exec, s[0:1]
	s_cbranch_vccnz .LBB6_873
; %bb.872:
	v_mov_b32_e32 v2, s23
	global_store_byte v[0:1], v2, off
	s_endpgm
.LBB6_873:
	s_endpgm
.LBB6_874:
	s_trap 2
	s_or_b64 s[6:7], s[6:7], exec
	s_cbranch_execz .LBB6_792
	s_branch .LBB6_793
.LBB6_875:
	s_mov_b64 s[10:11], -1
	s_mov_b64 s[8:9], 0
                                        ; implicit-def: $sgpr12
.LBB6_876:
	s_andn2_b64 vcc, exec, s[10:11]
	v_mov_b32_e32 v3, s12
                                        ; implicit-def: $sgpr10
	s_cbranch_vccnz .LBB6_878
; %bb.877:
	v_add_f32_e32 v2, 0x42800000, v2
	v_and_b32_e32 v3, 0xff, v2
	s_mov_b32 s10, 0
	v_cmp_ne_u32_e64 s[8:9], 0, v3
.LBB6_878:
	s_andn2_b64 vcc, exec, s[8:9]
	v_mov_b32_e32 v4, s10
	s_cbranch_vccnz .LBB6_880
; %bb.879:
	v_mov_b32_e32 v4, v3
.LBB6_880:
	s_mov_b64 s[8:9], 0
	global_store_byte v[0:1], v4, off
.LBB6_881:
	s_and_b64 vcc, exec, s[8:9]
	s_cbranch_vccz .LBB6_893
; %bb.882:
	v_cvt_f32_ubyte0_e32 v2, s23
	s_mov_b32 s8, 0x43f00000
	v_cmp_gt_u32_e32 vcc, s8, v2
	v_readfirstlane_b32 s10, v2
	s_cbranch_vccz .LBB6_885
; %bb.883:
	s_cmp_gt_u32 s10, 0x3c7fffff
	s_cbranch_scc0 .LBB6_886
; %bb.884:
	s_bfe_u32 s8, s10, 0x10014
	s_add_i32 s8, s10, s8
	s_add_i32 s8, s8, 0x407ffff
	s_lshr_b32 s9, s8, 20
	s_and_b32 s8, s8, 0xff00000
	s_cmp_lg_u32 s8, 0x7f00000
	s_cselect_b32 s11, s9, 0x7e
	s_mov_b64 s[8:9], 0
	s_branch .LBB6_887
.LBB6_885:
	s_mov_b64 s[8:9], -1
                                        ; implicit-def: $vgpr3
	s_branch .LBB6_890
.LBB6_886:
	s_mov_b64 s[8:9], -1
                                        ; implicit-def: $sgpr11
.LBB6_887:
	s_andn2_b64 vcc, exec, s[8:9]
	v_mov_b32_e32 v3, s11
	s_cbranch_vccnz .LBB6_889
; %bb.888:
	v_add_f32_e32 v3, 0x46800000, v2
.LBB6_889:
	s_mov_b64 s[8:9], 0
.LBB6_890:
	s_andn2_b64 vcc, exec, s[8:9]
	s_cbranch_vccnz .LBB6_892
; %bb.891:
	s_cmp_gt_u32 s10, 0x7f800000
	s_movk_i32 s8, 0x7f
	s_cselect_b32 s8, s8, 0x7e
	v_mov_b32_e32 v3, s8
.LBB6_892:
	global_store_byte v[0:1], v3, off
.LBB6_893:
	s_mov_b64 s[8:9], 0
.LBB6_894:
	s_andn2_b64 vcc, exec, s[8:9]
	s_cbranch_vccnz .LBB6_906
; %bb.895:
	v_cvt_f32_ubyte0_e32 v2, s23
	s_mov_b32 s8, 0x47800000
	v_cmp_gt_u32_e32 vcc, s8, v2
	v_readfirstlane_b32 s10, v2
	s_cbranch_vccz .LBB6_898
; %bb.896:
	s_cmp_gt_u32 s10, 0x387fffff
	s_cbranch_scc0 .LBB6_899
; %bb.897:
	s_bfe_u32 s8, s10, 0x10015
	s_add_i32 s8, s10, s8
	s_add_i32 s8, s8, 0x80fffff
	s_lshr_b32 s11, s8, 21
	s_mov_b64 s[8:9], 0
	s_branch .LBB6_900
.LBB6_898:
	s_mov_b64 s[8:9], -1
                                        ; implicit-def: $vgpr3
	s_branch .LBB6_903
.LBB6_899:
	s_mov_b64 s[8:9], -1
                                        ; implicit-def: $sgpr11
.LBB6_900:
	s_andn2_b64 vcc, exec, s[8:9]
	v_mov_b32_e32 v3, s11
	s_cbranch_vccnz .LBB6_902
; %bb.901:
	v_add_f32_e32 v3, 0x43000000, v2
.LBB6_902:
	s_mov_b64 s[8:9], 0
.LBB6_903:
	s_andn2_b64 vcc, exec, s[8:9]
	s_cbranch_vccnz .LBB6_905
; %bb.904:
	s_cmp_gt_u32 s10, 0x7f800000
	s_movk_i32 s8, 0x7f
	s_cselect_b32 s8, s8, 0x7c
	v_mov_b32_e32 v3, s8
.LBB6_905:
	global_store_byte v[0:1], v3, off
.LBB6_906:
	s_mov_b64 s[8:9], 0
.LBB6_907:
	s_andn2_b64 vcc, exec, s[8:9]
	s_mov_b64 s[8:9], 0
	s_cbranch_vccnz .LBB6_914
; %bb.908:
	v_cmp_lt_i16_e32 vcc, 14, v8
	s_mov_b64 s[10:11], -1
	s_cbranch_vccz .LBB6_912
; %bb.909:
	v_cmp_eq_u16_e32 vcc, 15, v8
	s_mov_b64 s[0:1], -1
	s_cbranch_vccz .LBB6_911
; %bb.910:
	v_cvt_f32_ubyte0_e32 v2, s23
	v_bfe_u32 v3, v2, 16, 1
	v_add_u32_e32 v2, v2, v3
	v_add_u32_e32 v2, 0x7fff, v2
	global_store_short_d16_hi v[0:1], v2, off
	s_mov_b64 s[0:1], 0
.LBB6_911:
	s_mov_b64 s[10:11], 0
.LBB6_912:
	s_and_b64 vcc, exec, s[10:11]
	s_cbranch_vccz .LBB6_914
; %bb.913:
	v_cmp_ne_u16_e64 s[0:1], 11, v8
	s_mov_b64 s[8:9], -1
.LBB6_914:
	s_and_b64 vcc, exec, s[0:1]
	s_cbranch_vccnz .LBB6_916
.LBB6_915:
	s_mov_b64 s[0:1], 0
	s_branch .LBB6_833
.LBB6_916:
	s_mov_b64 s[8:9], 0
	s_or_b64 s[6:7], s[6:7], exec
	s_trap 2
	s_branch .LBB6_915
	.section	.rodata,"a",@progbits
	.p2align	6, 0x0
	.amdhsa_kernel _ZN2at6native32elementwise_kernel_manual_unrollILi128ELi4EZNS0_15gpu_kernel_implINS0_11FillFunctorIhEEEEvRNS_18TensorIteratorBaseERKT_EUlibE_EEviT1_
		.amdhsa_group_segment_fixed_size 0
		.amdhsa_private_segment_fixed_size 0
		.amdhsa_kernarg_size 24
		.amdhsa_user_sgpr_count 6
		.amdhsa_user_sgpr_private_segment_buffer 1
		.amdhsa_user_sgpr_dispatch_ptr 0
		.amdhsa_user_sgpr_queue_ptr 0
		.amdhsa_user_sgpr_kernarg_segment_ptr 1
		.amdhsa_user_sgpr_dispatch_id 0
		.amdhsa_user_sgpr_flat_scratch_init 0
		.amdhsa_user_sgpr_kernarg_preload_length 0
		.amdhsa_user_sgpr_kernarg_preload_offset 0
		.amdhsa_user_sgpr_private_segment_size 0
		.amdhsa_uses_dynamic_stack 0
		.amdhsa_system_sgpr_private_segment_wavefront_offset 0
		.amdhsa_system_sgpr_workgroup_id_x 1
		.amdhsa_system_sgpr_workgroup_id_y 0
		.amdhsa_system_sgpr_workgroup_id_z 0
		.amdhsa_system_sgpr_workgroup_info 0
		.amdhsa_system_vgpr_workitem_id 0
		.amdhsa_next_free_vgpr 25
		.amdhsa_next_free_sgpr 54
		.amdhsa_accum_offset 28
		.amdhsa_reserve_vcc 1
		.amdhsa_reserve_flat_scratch 0
		.amdhsa_float_round_mode_32 0
		.amdhsa_float_round_mode_16_64 0
		.amdhsa_float_denorm_mode_32 3
		.amdhsa_float_denorm_mode_16_64 3
		.amdhsa_dx10_clamp 1
		.amdhsa_ieee_mode 1
		.amdhsa_fp16_overflow 0
		.amdhsa_tg_split 0
		.amdhsa_exception_fp_ieee_invalid_op 0
		.amdhsa_exception_fp_denorm_src 0
		.amdhsa_exception_fp_ieee_div_zero 0
		.amdhsa_exception_fp_ieee_overflow 0
		.amdhsa_exception_fp_ieee_underflow 0
		.amdhsa_exception_fp_ieee_inexact 0
		.amdhsa_exception_int_div_zero 0
	.end_amdhsa_kernel
	.section	.text._ZN2at6native32elementwise_kernel_manual_unrollILi128ELi4EZNS0_15gpu_kernel_implINS0_11FillFunctorIhEEEEvRNS_18TensorIteratorBaseERKT_EUlibE_EEviT1_,"axG",@progbits,_ZN2at6native32elementwise_kernel_manual_unrollILi128ELi4EZNS0_15gpu_kernel_implINS0_11FillFunctorIhEEEEvRNS_18TensorIteratorBaseERKT_EUlibE_EEviT1_,comdat
.Lfunc_end6:
	.size	_ZN2at6native32elementwise_kernel_manual_unrollILi128ELi4EZNS0_15gpu_kernel_implINS0_11FillFunctorIhEEEEvRNS_18TensorIteratorBaseERKT_EUlibE_EEviT1_, .Lfunc_end6-_ZN2at6native32elementwise_kernel_manual_unrollILi128ELi4EZNS0_15gpu_kernel_implINS0_11FillFunctorIhEEEEvRNS_18TensorIteratorBaseERKT_EUlibE_EEviT1_
                                        ; -- End function
	.section	.AMDGPU.csdata,"",@progbits
; Kernel info:
; codeLenInByte = 11864
; NumSgprs: 58
; NumVgprs: 25
; NumAgprs: 0
; TotalNumVgprs: 25
; ScratchSize: 0
; MemoryBound: 0
; FloatMode: 240
; IeeeMode: 1
; LDSByteSize: 0 bytes/workgroup (compile time only)
; SGPRBlocks: 7
; VGPRBlocks: 3
; NumSGPRsForWavesPerEU: 58
; NumVGPRsForWavesPerEU: 25
; AccumOffset: 28
; Occupancy: 8
; WaveLimiterHint : 0
; COMPUTE_PGM_RSRC2:SCRATCH_EN: 0
; COMPUTE_PGM_RSRC2:USER_SGPR: 6
; COMPUTE_PGM_RSRC2:TRAP_HANDLER: 0
; COMPUTE_PGM_RSRC2:TGID_X_EN: 1
; COMPUTE_PGM_RSRC2:TGID_Y_EN: 0
; COMPUTE_PGM_RSRC2:TGID_Z_EN: 0
; COMPUTE_PGM_RSRC2:TIDIG_COMP_CNT: 0
; COMPUTE_PGM_RSRC3_GFX90A:ACCUM_OFFSET: 6
; COMPUTE_PGM_RSRC3_GFX90A:TG_SPLIT: 0
	.section	.text._ZN2at6native32elementwise_kernel_manual_unrollILi128ELi4EZNS0_15gpu_kernel_implINS0_11FillFunctorIhEEEEvRNS_18TensorIteratorBaseERKT_EUlibE0_EEviT1_,"axG",@progbits,_ZN2at6native32elementwise_kernel_manual_unrollILi128ELi4EZNS0_15gpu_kernel_implINS0_11FillFunctorIhEEEEvRNS_18TensorIteratorBaseERKT_EUlibE0_EEviT1_,comdat
	.protected	_ZN2at6native32elementwise_kernel_manual_unrollILi128ELi4EZNS0_15gpu_kernel_implINS0_11FillFunctorIhEEEEvRNS_18TensorIteratorBaseERKT_EUlibE0_EEviT1_ ; -- Begin function _ZN2at6native32elementwise_kernel_manual_unrollILi128ELi4EZNS0_15gpu_kernel_implINS0_11FillFunctorIhEEEEvRNS_18TensorIteratorBaseERKT_EUlibE0_EEviT1_
	.globl	_ZN2at6native32elementwise_kernel_manual_unrollILi128ELi4EZNS0_15gpu_kernel_implINS0_11FillFunctorIhEEEEvRNS_18TensorIteratorBaseERKT_EUlibE0_EEviT1_
	.p2align	8
	.type	_ZN2at6native32elementwise_kernel_manual_unrollILi128ELi4EZNS0_15gpu_kernel_implINS0_11FillFunctorIhEEEEvRNS_18TensorIteratorBaseERKT_EUlibE0_EEviT1_,@function
_ZN2at6native32elementwise_kernel_manual_unrollILi128ELi4EZNS0_15gpu_kernel_implINS0_11FillFunctorIhEEEEvRNS_18TensorIteratorBaseERKT_EUlibE0_EEviT1_: ; @_ZN2at6native32elementwise_kernel_manual_unrollILi128ELi4EZNS0_15gpu_kernel_implINS0_11FillFunctorIhEEEEvRNS_18TensorIteratorBaseERKT_EUlibE0_EEviT1_
; %bb.0:
	s_load_dword s82, s[4:5], 0x0
	s_load_dword s33, s[4:5], 0x8
	s_or_b32 s4, s4, 8
	v_lshl_or_b32 v11, s6, 9, v0
	v_or_b32_e32 v9, 0x180, v11
	s_waitcnt lgkmcnt(0)
	v_cmp_le_i32_e32 vcc, s82, v9
	s_add_i32 s80, s33, -1
	s_cmp_gt_u32 s80, 1
	s_cselect_b64 s[44:45], -1, 0
	s_mov_b64 s[34:35], 0
	s_mov_b64 s[6:7], 0
	s_and_saveexec_b64 s[0:1], vcc
	s_xor_b64 s[46:47], exec, s[0:1]
	s_cbranch_execz .LBB7_462
; %bb.1:
	s_load_dwordx2 s[56:57], s[4:5], 0xc4
	s_load_dwordx2 s[54:55], s[4:5], 0x108
	s_load_dword s81, s[4:5], 0x110
	s_load_dwordx4 s[28:31], s[4:5], 0x4
	s_load_dwordx2 s[58:59], s[4:5], 0x14
	v_mov_b32_e32 v0, 0xff
	s_cmp_lg_u32 s33, 0
	s_waitcnt lgkmcnt(0)
	v_and_b32_e32 v9, s81, v0
	v_and_b32_e32 v0, 0xffff, v9
	v_cvt_f32_ubyte0_e32 v4, v0
	v_and_b32_e32 v2, 0x400000, v4
	s_cselect_b64 s[64:65], -1, 0
	s_add_u32 s62, s4, 0xc4
	v_lshrrev_b32_e32 v1, 23, v4
	v_cmp_ne_u32_e32 vcc, 0, v2
	v_and_b32_e32 v2, 0x3fffff, v4
	s_addc_u32 s63, s5, 0
	s_min_u32 s83, s80, 15
	s_movk_i32 s0, 0xff
	v_or_b32_e32 v2, v1, v2
	s_cmp_gt_u32 s33, 1
	v_cmp_eq_u32_e64 s[18:19], s0, v1
	v_cmp_ne_u32_e64 s[0:1], 0, v2
	s_cselect_b64 s[60:61], -1, 0
	s_and_b64 s[0:1], vcc, s[0:1]
	v_cndmask_b32_e64 v2, 0, 1, s[0:1]
	s_mov_b32 s0, 0x43800000
	v_cmp_gt_u32_e64 s[16:17], s0, v4
	s_mov_b32 s0, 0x3bffffff
	v_add_f32_e32 v23, 0x46000000, v4
	v_add_u32_e32 v24, v1, v2
	v_cmp_lt_u32_e64 s[14:15], s0, v4
	v_bfe_u32 v1, v4, 20, 1
	v_readfirstlane_b32 s0, v23
	s_mov_b32 s2, 0x47800000
	s_and_b32 s48, s81, 0xff
	v_add_u32_e32 v1, v4, v1
	s_and_b32 s0, s0, 0xff
	v_cmp_gt_u32_e64 s[12:13], s2, v4
	s_mov_b32 s2, 0x37ffffff
	v_add_f32_e32 v20, 0x42800000, v4
	v_add_u32_e32 v2, 0x487ffff, v1
	s_cmp_lg_u32 s0, 0
	v_cmp_lt_u32_e64 s[10:11], s2, v4
	v_readfirstlane_b32 s2, v20
	v_lshrrev_b32_e32 v22, 20, v2
	s_cselect_b64 s[52:53], -1, 0
	v_bfe_u32 v2, v4, 21, 1
	s_and_b32 s2, s2, 0xff
	v_add_u32_e32 v2, v4, v2
	s_cmp_lg_u32 s2, 0
	s_mov_b32 s2, 0x43efffff
	v_add_u32_e32 v3, 0x88fffff, v2
	v_cmp_lt_u32_e64 s[6:7], s2, v4
	s_mov_b32 s2, 0x3c800000
	v_add_u32_e32 v1, 0x407ffff, v1
	v_lshrrev_b32_e32 v19, 21, v3
	v_cmp_gt_u32_e64 s[8:9], s2, v4
	v_lshrrev_b32_e32 v3, 20, v1
	v_and_b32_e32 v1, 0xff00000, v1
	s_mov_b32 s2, 0x7f00000
	v_mov_b32_e32 v5, 0x7e
	v_cmp_ne_u32_e32 vcc, s2, v1
	v_add_u32_e32 v1, 0x80fffff, v2
	s_mov_b32 s20, 0x7f800000
	v_cndmask_b32_e32 v17, v5, v3, vcc
	v_lshrrev_b32_e32 v14, 21, v1
	v_mov_b32_e32 v1, 0x7f
	v_cmp_lt_u32_e32 vcc, s20, v4
	v_mov_b32_e32 v2, 0x7c
	v_cndmask_b32_e32 v21, v5, v1, vcc
	v_cndmask_b32_e32 v16, v2, v1, vcc
	v_bfe_u32 v1, v4, 16, 1
	v_add_u32_e32 v1, v4, v1
	s_mov_b32 s0, 0x477fffff
	s_mov_b32 s2, 0x38800000
	v_add_u32_e32 v1, 0x7fff, v1
	v_cmp_ne_u16_e32 vcc, 0, v9
	s_mov_b32 s49, 0
	v_lshrrev_b16_e64 v8, 8, s81
	v_cmp_lt_u32_e64 s[0:1], s0, v4
	s_cselect_b64 s[50:51], -1, 0
	v_add_f32_e32 v18, 0x46800000, v4
	v_cmp_gt_u32_e64 s[2:3], s2, v4
	v_add_f32_e32 v15, 0x43000000, v4
	v_lshrrev_b32_e32 v13, 16, v1
	v_cndmask_b32_e64 v12, 0, 1, vcc
	v_cvt_f64_u32_e32 v[0:1], v0
	v_cvt_f16_u16_e32 v10, v9
	v_cmp_gt_i32_e32 vcc, s82, v11
	s_mov_b64 s[22:23], -1
	s_mov_b64 s[72:73], 0
	s_mov_b64 s[66:67], 0
	s_and_saveexec_b64 s[68:69], vcc
	s_cbranch_execz .LBB7_114
; %bb.2:
	s_andn2_b64 vcc, exec, s[44:45]
	s_cbranch_vccnz .LBB7_7
; %bb.3:
	s_andn2_b64 vcc, exec, s[64:65]
	s_cbranch_vccnz .LBB7_8
; %bb.4:
	s_add_i32 s75, s83, 1
	s_mov_b32 s74, 0
	s_cmp_eq_u32 s80, 2
	v_mov_b32_e32 v2, 0
	s_cbranch_scc1 .LBB7_9
; %bb.5:
	s_and_b32 s74, s75, 28
	s_mov_b32 s76, 0
	v_mov_b32_e32 v2, 0
	s_mov_b64 s[66:67], s[4:5]
	s_mov_b64 s[70:71], s[62:63]
	v_mov_b32_e32 v5, v11
.LBB7_6:                                ; =>This Inner Loop Header: Depth=1
	s_load_dwordx8 s[20:27], s[66:67], 0x4
	s_load_dwordx4 s[36:39], s[66:67], 0x24
	s_load_dwordx4 s[40:43], s[70:71], 0x0
	s_add_u32 s66, s66, 48
	s_addc_u32 s67, s67, 0
	s_waitcnt lgkmcnt(0)
	v_mul_hi_u32 v3, s21, v5
	v_add_u32_e32 v3, v5, v3
	v_lshrrev_b32_e32 v3, s22, v3
	v_mul_lo_u32 v6, v3, s20
	v_mul_hi_u32 v7, s24, v3
	v_sub_u32_e32 v5, v5, v6
	v_add_u32_e32 v6, v3, v7
	v_lshrrev_b32_e32 v6, s25, v6
	v_mul_lo_u32 v7, v6, s23
	v_mul_hi_u32 v25, s27, v6
	v_sub_u32_e32 v3, v3, v7
	v_add_u32_e32 v7, v6, v25
	v_mul_lo_u32 v5, v5, s40
	v_mul_lo_u32 v3, v3, s41
	v_lshrrev_b32_e32 v7, s36, v7
	v_add3_u32 v2, v5, v2, v3
	v_mul_hi_u32 v5, s38, v7
	v_add_u32_e32 v5, v7, v5
	v_mul_lo_u32 v3, v7, s26
	v_lshrrev_b32_e32 v5, s39, v5
	s_add_i32 s76, s76, 4
	v_sub_u32_e32 v3, v6, v3
	v_mul_lo_u32 v6, v5, s37
	s_add_u32 s70, s70, 16
	v_sub_u32_e32 v6, v7, v6
	s_addc_u32 s71, s71, 0
	v_mul_lo_u32 v3, v3, s42
	v_mul_lo_u32 v6, v6, s43
	s_cmp_lg_u32 s74, s76
	v_add3_u32 v2, v3, v2, v6
	s_cbranch_scc1 .LBB7_6
	s_branch .LBB7_10
.LBB7_7:
                                        ; implicit-def: $vgpr2
	s_branch .LBB7_14
.LBB7_8:
	v_mov_b32_e32 v2, 0
	s_branch .LBB7_13
.LBB7_9:
	v_mov_b32_e32 v5, v11
.LBB7_10:
	s_and_b32 s24, s75, 3
	s_cmp_eq_u32 s24, 0
	s_cbranch_scc1 .LBB7_13
; %bb.11:
	s_lshl_b32 s20, s74, 2
	s_add_u32 s20, s20, s4
	s_addc_u32 s21, s5, 0
	s_add_u32 s20, s20, 0xc4
	s_addc_u32 s21, s21, 0
	s_mul_i32 s22, s74, 12
	s_add_u32 s22, s4, s22
	s_addc_u32 s23, s5, 0
.LBB7_12:                               ; =>This Inner Loop Header: Depth=1
	s_load_dwordx2 s[26:27], s[22:23], 0x4
	s_load_dword s25, s[22:23], 0xc
	s_load_dword s36, s[20:21], 0x0
	s_add_u32 s22, s22, 12
	s_addc_u32 s23, s23, 0
	s_waitcnt lgkmcnt(0)
	v_mul_hi_u32 v3, s27, v5
	v_add_u32_e32 v3, v5, v3
	v_lshrrev_b32_e32 v3, s25, v3
	s_add_u32 s20, s20, 4
	v_mul_lo_u32 v6, v3, s26
	s_addc_u32 s21, s21, 0
	s_add_i32 s24, s24, -1
	v_sub_u32_e32 v6, v5, v6
	s_cmp_lg_u32 s24, 0
	v_mov_b32_e32 v5, v3
	v_mad_u64_u32 v[2:3], s[26:27], v6, s36, v[2:3]
	s_cbranch_scc1 .LBB7_12
.LBB7_13:
	s_cbranch_execnz .LBB7_16
.LBB7_14:
	v_mul_hi_u32 v2, s29, v11
	v_add_u32_e32 v2, v11, v2
	v_lshrrev_b32_e32 v3, s30, v2
	v_mul_lo_u32 v2, v3, s28
	v_sub_u32_e32 v2, v11, v2
	s_andn2_b64 vcc, exec, s[60:61]
	v_mul_lo_u32 v2, v2, s56
	s_cbranch_vccnz .LBB7_16
; %bb.15:
	v_mul_hi_u32 v5, s58, v3
	v_add_u32_e32 v5, v3, v5
	v_lshrrev_b32_e32 v5, s59, v5
	v_mul_lo_u32 v5, v5, s31
	v_sub_u32_e32 v3, v3, v5
	v_mad_u64_u32 v[2:3], s[20:21], v3, s57, v[2:3]
.LBB7_16:
	v_mov_b32_e32 v3, s55
	v_add_co_u32_e32 v6, vcc, s54, v2
	v_addc_co_u32_e32 v7, vcc, 0, v3, vcc
	v_cmp_gt_i16_e32 vcc, 11, v8
	s_cbranch_vccnz .LBB7_23
; %bb.17:
	v_cmp_lt_i16_e32 vcc, 25, v8
	s_cbranch_vccz .LBB7_26
; %bb.18:
	v_cmp_lt_i16_e32 vcc, 28, v8
	s_cbranch_vccz .LBB7_27
	;; [unrolled: 3-line block ×4, first 2 shown]
; %bb.21:
	v_cmp_eq_u16_e32 vcc, 46, v8
	s_mov_b64 s[24:25], 0
	s_mov_b64 s[20:21], -1
	s_mov_b64 s[22:23], 0
	s_cbranch_vccz .LBB7_30
; %bb.22:
	global_store_dword v[6:7], v13, off
	s_mov_b64 s[22:23], -1
	s_mov_b64 s[20:21], 0
	s_branch .LBB7_30
.LBB7_23:
	s_mov_b64 s[20:21], 0
	s_mov_b64 s[22:23], 0
	s_cbranch_execnz .LBB7_74
.LBB7_24:
	s_andn2_b64 vcc, exec, s[22:23]
	s_cbranch_vccnz .LBB7_112
.LBB7_25:
	v_add_u32_e32 v11, 0x80, v11
	s_mov_b64 s[22:23], -1
	s_branch .LBB7_113
.LBB7_26:
	s_mov_b64 s[20:21], 0
	s_mov_b64 s[22:23], 0
	s_cbranch_execnz .LBB7_52
	s_branch .LBB7_73
.LBB7_27:
	s_mov_b64 s[24:25], -1
	s_mov_b64 s[20:21], 0
	s_mov_b64 s[22:23], 0
	s_branch .LBB7_38
.LBB7_28:
	s_mov_b64 s[24:25], -1
	s_mov_b64 s[20:21], 0
	s_mov_b64 s[22:23], 0
	s_branch .LBB7_34
.LBB7_29:
	s_mov_b64 s[24:25], -1
	s_mov_b64 s[20:21], 0
	s_mov_b64 s[22:23], 0
.LBB7_30:
	s_and_b64 vcc, exec, s[24:25]
	s_cbranch_vccz .LBB7_33
; %bb.31:
	v_cmp_eq_u16_e32 vcc, 44, v8
	s_mov_b64 s[20:21], -1
	s_cbranch_vccz .LBB7_33
; %bb.32:
	v_mov_b32_e32 v2, 0xff
	v_cndmask_b32_e64 v2, v24, v2, s[18:19]
	global_store_byte v[6:7], v2, off
	s_mov_b64 s[22:23], -1
	s_mov_b64 s[20:21], 0
.LBB7_33:
	s_mov_b64 s[24:25], 0
.LBB7_34:
	s_and_b64 vcc, exec, s[24:25]
	s_cbranch_vccz .LBB7_37
; %bb.35:
	v_cmp_eq_u16_e32 vcc, 29, v8
	s_mov_b64 s[20:21], -1
	s_cbranch_vccz .LBB7_37
; %bb.36:
	v_pk_mov_b32 v[2:3], s[48:49], s[48:49] op_sel:[0,1]
	global_store_dwordx2 v[6:7], v[2:3], off
	s_mov_b64 s[22:23], -1
	s_mov_b64 s[20:21], 0
.LBB7_37:
	s_mov_b64 s[24:25], 0
.LBB7_38:
	s_and_b64 vcc, exec, s[24:25]
	s_cbranch_vccz .LBB7_51
; %bb.39:
	v_cmp_gt_i16_e32 vcc, 27, v8
	s_mov_b64 s[22:23], -1
	s_cbranch_vccnz .LBB7_45
; %bb.40:
	v_cmp_lt_i16_e32 vcc, 27, v8
	s_cbranch_vccz .LBB7_42
; %bb.41:
	v_mov_b32_e32 v2, s48
	s_mov_b64 s[22:23], 0
	global_store_dword v[6:7], v2, off
.LBB7_42:
	s_andn2_b64 vcc, exec, s[22:23]
	s_cbranch_vccnz .LBB7_44
; %bb.43:
	global_store_short v[6:7], v9, off
.LBB7_44:
	s_mov_b64 s[22:23], 0
.LBB7_45:
	s_andn2_b64 vcc, exec, s[22:23]
	s_cbranch_vccnz .LBB7_50
; %bb.46:
	s_andn2_b64 vcc, exec, s[16:17]
	v_mov_b32_e32 v2, 0x80
	s_cbranch_vccnz .LBB7_49
; %bb.47:
	s_or_b64 s[22:23], s[14:15], s[52:53]
	s_andn2_b64 vcc, exec, s[22:23]
	v_mov_b32_e32 v2, 0
	s_cbranch_vccnz .LBB7_49
; %bb.48:
	v_cndmask_b32_e64 v2, v23, v22, s[14:15]
.LBB7_49:
	global_store_byte v[6:7], v2, off
.LBB7_50:
	s_mov_b64 s[22:23], -1
.LBB7_51:
	s_branch .LBB7_73
.LBB7_52:
	v_cmp_lt_i16_e32 vcc, 22, v8
	s_mov_b64 s[24:25], -1
	s_cbranch_vccz .LBB7_65
; %bb.53:
	v_cmp_gt_i16_e32 vcc, 24, v8
	s_mov_b64 s[22:23], -1
	s_cbranch_vccnz .LBB7_62
; %bb.54:
	v_cmp_lt_i16_e32 vcc, 24, v8
	s_cbranch_vccz .LBB7_59
; %bb.55:
	s_andn2_b64 vcc, exec, s[12:13]
	v_mov_b32_e32 v2, 0x80
	s_cbranch_vccnz .LBB7_58
; %bb.56:
	s_or_b64 s[22:23], s[10:11], s[50:51]
	s_andn2_b64 vcc, exec, s[22:23]
	v_mov_b32_e32 v2, 0
	s_cbranch_vccnz .LBB7_58
; %bb.57:
	v_cndmask_b32_e64 v2, v20, v19, s[10:11]
.LBB7_58:
	s_mov_b64 s[22:23], 0
	global_store_byte v[6:7], v2, off
.LBB7_59:
	s_and_b64 vcc, exec, s[22:23]
	s_cbranch_vccz .LBB7_61
; %bb.60:
	v_cndmask_b32_e64 v2, v17, v18, s[8:9]
	v_cndmask_b32_e64 v2, v2, v21, s[6:7]
	global_store_byte v[6:7], v2, off
.LBB7_61:
	s_mov_b64 s[22:23], 0
.LBB7_62:
	s_andn2_b64 vcc, exec, s[22:23]
	s_cbranch_vccnz .LBB7_64
; %bb.63:
	v_cndmask_b32_e64 v2, v14, v15, s[2:3]
	v_cndmask_b32_e64 v2, v2, v16, s[0:1]
	global_store_byte v[6:7], v2, off
.LBB7_64:
	s_mov_b64 s[24:25], 0
	s_mov_b64 s[22:23], -1
.LBB7_65:
	s_andn2_b64 vcc, exec, s[24:25]
	s_cbranch_vccnz .LBB7_73
; %bb.66:
	v_cmp_lt_i16_e32 vcc, 14, v8
	s_mov_b64 s[24:25], -1
	s_cbranch_vccz .LBB7_70
; %bb.67:
	v_cmp_eq_u16_e32 vcc, 15, v8
	s_mov_b64 s[20:21], -1
	s_cbranch_vccz .LBB7_69
; %bb.68:
	global_store_short v[6:7], v13, off
	s_mov_b64 s[22:23], -1
	s_mov_b64 s[20:21], 0
.LBB7_69:
	s_mov_b64 s[24:25], 0
.LBB7_70:
	s_and_b64 vcc, exec, s[24:25]
	s_cbranch_vccz .LBB7_73
; %bb.71:
	v_cmp_eq_u16_e32 vcc, 11, v8
	s_mov_b64 s[20:21], -1
	s_cbranch_vccz .LBB7_73
; %bb.72:
	s_mov_b64 s[22:23], -1
	s_mov_b64 s[20:21], 0
	global_store_byte v[6:7], v12, off
.LBB7_73:
	s_branch .LBB7_24
.LBB7_74:
	v_cmp_gt_i16_e32 vcc, 5, v8
	s_mov_b64 s[22:23], -1
	s_cbranch_vccnz .LBB7_95
; %bb.75:
	v_cmp_gt_i16_e32 vcc, 8, v8
	s_cbranch_vccnz .LBB7_85
; %bb.76:
	v_cmp_gt_i16_e32 vcc, 9, v8
	s_cbranch_vccnz .LBB7_82
; %bb.77:
	v_cmp_lt_i16_e32 vcc, 9, v8
	s_cbranch_vccz .LBB7_79
; %bb.78:
	v_mov_b32_e32 v2, 0
	v_mov_b32_e32 v3, v2
	global_store_dwordx4 v[6:7], v[0:3], off
	s_mov_b64 s[22:23], 0
.LBB7_79:
	s_andn2_b64 vcc, exec, s[22:23]
	s_cbranch_vccnz .LBB7_81
; %bb.80:
	v_mov_b32_e32 v5, 0
	global_store_dwordx2 v[6:7], v[4:5], off
.LBB7_81:
	s_mov_b64 s[22:23], 0
.LBB7_82:
	s_andn2_b64 vcc, exec, s[22:23]
	s_cbranch_vccnz .LBB7_84
; %bb.83:
	global_store_dword v[6:7], v10, off
.LBB7_84:
	s_mov_b64 s[22:23], 0
.LBB7_85:
	s_andn2_b64 vcc, exec, s[22:23]
	s_cbranch_vccnz .LBB7_94
; %bb.86:
	v_cmp_gt_i16_e32 vcc, 6, v8
	s_mov_b64 s[22:23], -1
	s_cbranch_vccnz .LBB7_92
; %bb.87:
	v_cmp_lt_i16_e32 vcc, 6, v8
	s_cbranch_vccz .LBB7_89
; %bb.88:
	global_store_dwordx2 v[6:7], v[0:1], off
	s_mov_b64 s[22:23], 0
.LBB7_89:
	s_andn2_b64 vcc, exec, s[22:23]
	s_cbranch_vccnz .LBB7_91
; %bb.90:
	global_store_dword v[6:7], v4, off
.LBB7_91:
	s_mov_b64 s[22:23], 0
.LBB7_92:
	s_andn2_b64 vcc, exec, s[22:23]
	s_cbranch_vccnz .LBB7_94
; %bb.93:
	global_store_short v[6:7], v10, off
.LBB7_94:
	s_mov_b64 s[22:23], 0
.LBB7_95:
	s_andn2_b64 vcc, exec, s[22:23]
	s_cbranch_vccnz .LBB7_111
; %bb.96:
	v_cmp_gt_i16_e32 vcc, 2, v8
	s_mov_b64 s[22:23], -1
	s_cbranch_vccnz .LBB7_106
; %bb.97:
	v_cmp_gt_i16_e32 vcc, 3, v8
	s_cbranch_vccnz .LBB7_103
; %bb.98:
	v_cmp_lt_i16_e32 vcc, 3, v8
	s_cbranch_vccz .LBB7_100
; %bb.99:
	v_pk_mov_b32 v[2:3], s[48:49], s[48:49] op_sel:[0,1]
	global_store_dwordx2 v[6:7], v[2:3], off
	s_mov_b64 s[22:23], 0
.LBB7_100:
	s_andn2_b64 vcc, exec, s[22:23]
	s_cbranch_vccnz .LBB7_102
; %bb.101:
	v_mov_b32_e32 v2, s48
	global_store_dword v[6:7], v2, off
.LBB7_102:
	s_mov_b64 s[22:23], 0
.LBB7_103:
	s_andn2_b64 vcc, exec, s[22:23]
	s_cbranch_vccnz .LBB7_105
; %bb.104:
	global_store_short v[6:7], v9, off
.LBB7_105:
	s_mov_b64 s[22:23], 0
.LBB7_106:
	s_andn2_b64 vcc, exec, s[22:23]
	s_cbranch_vccnz .LBB7_111
; %bb.107:
	v_cmp_lt_i16_e32 vcc, 0, v8
	s_mov_b64 s[22:23], -1
	s_cbranch_vccz .LBB7_109
; %bb.108:
	v_mov_b32_e32 v2, s81
	global_store_byte v[6:7], v2, off
	s_mov_b64 s[22:23], 0
.LBB7_109:
	s_andn2_b64 vcc, exec, s[22:23]
	s_cbranch_vccnz .LBB7_111
; %bb.110:
	v_mov_b32_e32 v2, s81
	global_store_byte v[6:7], v2, off
.LBB7_111:
	s_branch .LBB7_25
.LBB7_112:
	s_mov_b64 s[22:23], 0
                                        ; implicit-def: $vgpr11
.LBB7_113:
	s_and_b64 s[66:67], s[20:21], exec
	s_orn2_b64 s[22:23], s[22:23], exec
.LBB7_114:
	s_or_b64 exec, exec, s[68:69]
	s_mov_b64 s[20:21], 0
                                        ; implicit-def: $vgpr6_vgpr7
	s_and_saveexec_b64 s[68:69], s[22:23]
	s_cbranch_execz .LBB7_121
; %bb.115:
	v_cmp_gt_i32_e32 vcc, s82, v11
	s_mov_b64 s[20:21], -1
	s_mov_b64 s[70:71], s[66:67]
	s_and_saveexec_b64 s[72:73], vcc
	s_cbranch_execz .LBB7_232
; %bb.116:
	s_andn2_b64 vcc, exec, s[44:45]
	s_cbranch_vccnz .LBB7_124
; %bb.117:
	s_andn2_b64 vcc, exec, s[64:65]
	s_cbranch_vccnz .LBB7_125
; %bb.118:
	s_add_i32 s77, s83, 1
	s_mov_b32 s76, 0
	s_cmp_eq_u32 s80, 2
	v_mov_b32_e32 v2, 0
	s_cbranch_scc1 .LBB7_126
; %bb.119:
	s_and_b32 s76, s77, 28
	s_mov_b32 s78, 0
	v_mov_b32_e32 v2, 0
	s_mov_b64 s[70:71], s[4:5]
	s_mov_b64 s[74:75], s[62:63]
	v_mov_b32_e32 v5, v11
.LBB7_120:                              ; =>This Inner Loop Header: Depth=1
	s_load_dwordx8 s[20:27], s[70:71], 0x4
	s_load_dwordx4 s[36:39], s[70:71], 0x24
	s_load_dwordx4 s[40:43], s[74:75], 0x0
	s_add_u32 s70, s70, 48
	s_addc_u32 s71, s71, 0
	s_waitcnt lgkmcnt(0)
	v_mul_hi_u32 v3, s21, v5
	v_add_u32_e32 v3, v5, v3
	v_lshrrev_b32_e32 v3, s22, v3
	v_mul_lo_u32 v6, v3, s20
	v_mul_hi_u32 v7, s24, v3
	v_sub_u32_e32 v5, v5, v6
	v_add_u32_e32 v6, v3, v7
	v_lshrrev_b32_e32 v6, s25, v6
	v_mul_lo_u32 v7, v6, s23
	v_mul_hi_u32 v25, s27, v6
	v_sub_u32_e32 v3, v3, v7
	v_add_u32_e32 v7, v6, v25
	v_mul_lo_u32 v5, v5, s40
	v_mul_lo_u32 v3, v3, s41
	v_lshrrev_b32_e32 v7, s36, v7
	v_add3_u32 v2, v5, v2, v3
	v_mul_hi_u32 v5, s38, v7
	v_add_u32_e32 v5, v7, v5
	v_mul_lo_u32 v3, v7, s26
	v_lshrrev_b32_e32 v5, s39, v5
	s_add_i32 s78, s78, 4
	v_sub_u32_e32 v3, v6, v3
	v_mul_lo_u32 v6, v5, s37
	s_add_u32 s74, s74, 16
	v_sub_u32_e32 v6, v7, v6
	s_addc_u32 s75, s75, 0
	v_mul_lo_u32 v3, v3, s42
	v_mul_lo_u32 v6, v6, s43
	s_cmp_eq_u32 s76, s78
	v_add3_u32 v2, v3, v2, v6
	s_cbranch_scc0 .LBB7_120
	s_branch .LBB7_127
.LBB7_121:
	s_or_b64 exec, exec, s[68:69]
	s_mov_b64 s[0:1], 0
	s_and_saveexec_b64 s[2:3], s[66:67]
	s_cbranch_execnz .LBB7_422
.LBB7_122:
	s_or_b64 exec, exec, s[2:3]
	s_and_saveexec_b64 s[2:3], s[72:73]
	s_xor_b64 s[2:3], exec, s[2:3]
	s_cbranch_execz .LBB7_423
.LBB7_123:
	global_store_byte v[6:7], v12, off
	s_or_b64 exec, exec, s[2:3]
	s_and_saveexec_b64 s[2:3], s[20:21]
	s_xor_b64 s[2:3], exec, s[2:3]
	s_cbranch_execz .LBB7_461
	s_branch .LBB7_424
.LBB7_124:
                                        ; implicit-def: $vgpr2
	s_andn2_b64 vcc, exec, s[20:21]
	s_cbranch_vccz .LBB7_131
	s_branch .LBB7_133
.LBB7_125:
	v_mov_b32_e32 v2, 0
	s_branch .LBB7_130
.LBB7_126:
	v_mov_b32_e32 v5, v11
.LBB7_127:
	s_and_b32 s24, s77, 3
	s_cmp_eq_u32 s24, 0
	s_cbranch_scc1 .LBB7_130
; %bb.128:
	s_lshl_b32 s20, s76, 2
	s_add_u32 s20, s20, s4
	s_addc_u32 s21, s5, 0
	s_add_u32 s20, s20, 0xc4
	s_addc_u32 s21, s21, 0
	s_mul_i32 s22, s76, 12
	s_add_u32 s22, s4, s22
	s_addc_u32 s23, s5, 0
.LBB7_129:                              ; =>This Inner Loop Header: Depth=1
	s_load_dwordx2 s[26:27], s[22:23], 0x4
	s_load_dword s25, s[22:23], 0xc
	s_load_dword s36, s[20:21], 0x0
	s_add_u32 s22, s22, 12
	s_addc_u32 s23, s23, 0
	s_waitcnt lgkmcnt(0)
	v_mul_hi_u32 v3, s27, v5
	v_add_u32_e32 v3, v5, v3
	v_lshrrev_b32_e32 v3, s25, v3
	s_add_u32 s20, s20, 4
	v_mul_lo_u32 v6, v3, s26
	s_addc_u32 s21, s21, 0
	s_add_i32 s24, s24, -1
	v_sub_u32_e32 v6, v5, v6
	s_cmp_lg_u32 s24, 0
	v_mov_b32_e32 v5, v3
	v_mad_u64_u32 v[2:3], s[26:27], v6, s36, v[2:3]
	s_cbranch_scc1 .LBB7_129
.LBB7_130:
	s_cbranch_execnz .LBB7_133
.LBB7_131:
	v_mul_hi_u32 v2, s29, v11
	v_add_u32_e32 v2, v11, v2
	v_lshrrev_b32_e32 v3, s30, v2
	v_mul_lo_u32 v2, v3, s28
	v_sub_u32_e32 v2, v11, v2
	s_andn2_b64 vcc, exec, s[60:61]
	v_mul_lo_u32 v2, v2, s56
	s_cbranch_vccnz .LBB7_133
; %bb.132:
	v_mul_hi_u32 v5, s58, v3
	v_add_u32_e32 v5, v3, v5
	v_lshrrev_b32_e32 v5, s59, v5
	v_mul_lo_u32 v5, v5, s31
	v_sub_u32_e32 v3, v3, v5
	v_mad_u64_u32 v[2:3], s[20:21], v3, s57, v[2:3]
.LBB7_133:
	v_mov_b32_e32 v3, s55
	v_add_co_u32_e32 v6, vcc, s54, v2
	v_addc_co_u32_e32 v7, vcc, 0, v3, vcc
	v_cmp_gt_i16_e32 vcc, 11, v8
	s_cbranch_vccnz .LBB7_140
; %bb.134:
	v_cmp_lt_i16_e32 vcc, 25, v8
	s_cbranch_vccz .LBB7_143
; %bb.135:
	v_cmp_lt_i16_e32 vcc, 28, v8
	s_cbranch_vccz .LBB7_144
	;; [unrolled: 3-line block ×4, first 2 shown]
; %bb.138:
	v_cmp_eq_u16_e32 vcc, 46, v8
	s_mov_b64 s[24:25], 0
	s_mov_b64 s[20:21], -1
	s_mov_b64 s[22:23], 0
	s_cbranch_vccz .LBB7_147
; %bb.139:
	global_store_dword v[6:7], v13, off
	s_mov_b64 s[22:23], -1
	s_mov_b64 s[20:21], 0
	s_branch .LBB7_147
.LBB7_140:
	s_mov_b64 s[22:23], 0
	s_mov_b64 s[20:21], s[66:67]
	s_cbranch_execnz .LBB7_192
.LBB7_141:
	s_andn2_b64 vcc, exec, s[22:23]
	s_cbranch_vccnz .LBB7_230
.LBB7_142:
	v_add_u32_e32 v11, 0x80, v11
	s_mov_b64 s[22:23], -1
	s_branch .LBB7_231
.LBB7_143:
	s_mov_b64 s[24:25], -1
	s_mov_b64 s[22:23], 0
	s_mov_b64 s[20:21], s[66:67]
	s_branch .LBB7_169
.LBB7_144:
	s_mov_b64 s[24:25], -1
	s_mov_b64 s[22:23], 0
	s_mov_b64 s[20:21], s[66:67]
	s_branch .LBB7_155
.LBB7_145:
	s_mov_b64 s[24:25], -1
	s_mov_b64 s[22:23], 0
	s_mov_b64 s[20:21], s[66:67]
	s_branch .LBB7_151
.LBB7_146:
	s_mov_b64 s[24:25], -1
	s_mov_b64 s[22:23], 0
	s_mov_b64 s[20:21], s[66:67]
.LBB7_147:
	s_and_b64 vcc, exec, s[24:25]
	s_cbranch_vccz .LBB7_150
; %bb.148:
	v_cmp_eq_u16_e32 vcc, 44, v8
	s_mov_b64 s[20:21], -1
	s_cbranch_vccz .LBB7_150
; %bb.149:
	v_mov_b32_e32 v2, 0xff
	v_cndmask_b32_e64 v2, v24, v2, s[18:19]
	s_mov_b64 s[22:23], -1
	s_mov_b64 s[20:21], 0
	global_store_byte v[6:7], v2, off
.LBB7_150:
	s_mov_b64 s[24:25], 0
.LBB7_151:
	s_and_b64 vcc, exec, s[24:25]
	s_cbranch_vccz .LBB7_154
; %bb.152:
	v_cmp_eq_u16_e32 vcc, 29, v8
	s_mov_b64 s[20:21], -1
	s_cbranch_vccz .LBB7_154
; %bb.153:
	v_pk_mov_b32 v[2:3], s[48:49], s[48:49] op_sel:[0,1]
	global_store_dwordx2 v[6:7], v[2:3], off
	s_mov_b64 s[22:23], -1
	s_mov_b64 s[20:21], 0
.LBB7_154:
	s_mov_b64 s[24:25], 0
.LBB7_155:
	s_and_b64 vcc, exec, s[24:25]
	s_cbranch_vccz .LBB7_168
; %bb.156:
	v_cmp_gt_i16_e32 vcc, 27, v8
	s_mov_b64 s[22:23], -1
	s_cbranch_vccnz .LBB7_162
; %bb.157:
	v_cmp_lt_i16_e32 vcc, 27, v8
	s_cbranch_vccz .LBB7_159
; %bb.158:
	v_mov_b32_e32 v2, s48
	s_mov_b64 s[22:23], 0
	global_store_dword v[6:7], v2, off
.LBB7_159:
	s_andn2_b64 vcc, exec, s[22:23]
	s_cbranch_vccnz .LBB7_161
; %bb.160:
	global_store_short v[6:7], v9, off
.LBB7_161:
	s_mov_b64 s[22:23], 0
.LBB7_162:
	s_andn2_b64 vcc, exec, s[22:23]
	s_cbranch_vccnz .LBB7_167
; %bb.163:
	s_andn2_b64 vcc, exec, s[16:17]
	v_mov_b32_e32 v2, 0x80
	s_cbranch_vccnz .LBB7_166
; %bb.164:
	s_or_b64 s[22:23], s[14:15], s[52:53]
	s_andn2_b64 vcc, exec, s[22:23]
	v_mov_b32_e32 v2, 0
	s_cbranch_vccnz .LBB7_166
; %bb.165:
	v_cndmask_b32_e64 v2, v23, v22, s[14:15]
.LBB7_166:
	global_store_byte v[6:7], v2, off
.LBB7_167:
	s_mov_b64 s[22:23], -1
.LBB7_168:
	s_mov_b64 s[24:25], 0
.LBB7_169:
	s_and_b64 vcc, exec, s[24:25]
	s_cbranch_vccz .LBB7_191
; %bb.170:
	v_cmp_lt_i16_e32 vcc, 22, v8
	s_mov_b64 s[24:25], -1
	s_cbranch_vccz .LBB7_183
; %bb.171:
	v_cmp_gt_i16_e32 vcc, 24, v8
	s_mov_b64 s[22:23], -1
	s_cbranch_vccnz .LBB7_180
; %bb.172:
	v_cmp_lt_i16_e32 vcc, 24, v8
	s_cbranch_vccz .LBB7_177
; %bb.173:
	s_andn2_b64 vcc, exec, s[12:13]
	v_mov_b32_e32 v2, 0x80
	s_cbranch_vccnz .LBB7_176
; %bb.174:
	s_or_b64 s[22:23], s[10:11], s[50:51]
	s_andn2_b64 vcc, exec, s[22:23]
	v_mov_b32_e32 v2, 0
	s_cbranch_vccnz .LBB7_176
; %bb.175:
	v_cndmask_b32_e64 v2, v20, v19, s[10:11]
.LBB7_176:
	s_mov_b64 s[22:23], 0
	global_store_byte v[6:7], v2, off
.LBB7_177:
	s_and_b64 vcc, exec, s[22:23]
	s_cbranch_vccz .LBB7_179
; %bb.178:
	v_cndmask_b32_e64 v2, v17, v18, s[8:9]
	v_cndmask_b32_e64 v2, v2, v21, s[6:7]
	global_store_byte v[6:7], v2, off
.LBB7_179:
	s_mov_b64 s[22:23], 0
.LBB7_180:
	s_andn2_b64 vcc, exec, s[22:23]
	s_cbranch_vccnz .LBB7_182
; %bb.181:
	v_cndmask_b32_e64 v2, v14, v15, s[2:3]
	v_cndmask_b32_e64 v2, v2, v16, s[0:1]
	global_store_byte v[6:7], v2, off
.LBB7_182:
	s_mov_b64 s[24:25], 0
	s_mov_b64 s[22:23], -1
.LBB7_183:
	s_andn2_b64 vcc, exec, s[24:25]
	s_cbranch_vccnz .LBB7_191
; %bb.184:
	v_cmp_lt_i16_e32 vcc, 14, v8
	s_mov_b64 s[24:25], -1
	s_cbranch_vccz .LBB7_188
; %bb.185:
	v_cmp_eq_u16_e32 vcc, 15, v8
	s_mov_b64 s[20:21], -1
	s_cbranch_vccz .LBB7_187
; %bb.186:
	global_store_short v[6:7], v13, off
	s_mov_b64 s[22:23], -1
	s_mov_b64 s[20:21], 0
.LBB7_187:
	s_mov_b64 s[24:25], 0
.LBB7_188:
	s_and_b64 vcc, exec, s[24:25]
	s_cbranch_vccz .LBB7_191
; %bb.189:
	v_cmp_eq_u16_e32 vcc, 11, v8
	s_mov_b64 s[20:21], -1
	s_cbranch_vccz .LBB7_191
; %bb.190:
	s_mov_b64 s[22:23], -1
	s_mov_b64 s[20:21], 0
	global_store_byte v[6:7], v12, off
.LBB7_191:
	s_branch .LBB7_141
.LBB7_192:
	v_cmp_gt_i16_e32 vcc, 5, v8
	s_mov_b64 s[22:23], -1
	s_cbranch_vccnz .LBB7_213
; %bb.193:
	v_cmp_gt_i16_e32 vcc, 8, v8
	s_cbranch_vccnz .LBB7_203
; %bb.194:
	v_cmp_gt_i16_e32 vcc, 9, v8
	s_cbranch_vccnz .LBB7_200
; %bb.195:
	v_cmp_lt_i16_e32 vcc, 9, v8
	s_cbranch_vccz .LBB7_197
; %bb.196:
	v_mov_b32_e32 v2, 0
	v_mov_b32_e32 v3, v2
	s_mov_b64 s[22:23], 0
	global_store_dwordx4 v[6:7], v[0:3], off
.LBB7_197:
	s_andn2_b64 vcc, exec, s[22:23]
	s_cbranch_vccnz .LBB7_199
; %bb.198:
	v_mov_b32_e32 v5, 0
	global_store_dwordx2 v[6:7], v[4:5], off
.LBB7_199:
	s_mov_b64 s[22:23], 0
.LBB7_200:
	s_andn2_b64 vcc, exec, s[22:23]
	s_cbranch_vccnz .LBB7_202
; %bb.201:
	global_store_dword v[6:7], v10, off
.LBB7_202:
	s_mov_b64 s[22:23], 0
.LBB7_203:
	s_andn2_b64 vcc, exec, s[22:23]
	s_cbranch_vccnz .LBB7_212
; %bb.204:
	v_cmp_gt_i16_e32 vcc, 6, v8
	s_mov_b64 s[22:23], -1
	s_cbranch_vccnz .LBB7_210
; %bb.205:
	v_cmp_lt_i16_e32 vcc, 6, v8
	s_cbranch_vccz .LBB7_207
; %bb.206:
	s_mov_b64 s[22:23], 0
	global_store_dwordx2 v[6:7], v[0:1], off
.LBB7_207:
	s_andn2_b64 vcc, exec, s[22:23]
	s_cbranch_vccnz .LBB7_209
; %bb.208:
	global_store_dword v[6:7], v4, off
.LBB7_209:
	s_mov_b64 s[22:23], 0
.LBB7_210:
	s_andn2_b64 vcc, exec, s[22:23]
	s_cbranch_vccnz .LBB7_212
; %bb.211:
	global_store_short v[6:7], v10, off
.LBB7_212:
	s_mov_b64 s[22:23], 0
.LBB7_213:
	s_andn2_b64 vcc, exec, s[22:23]
	s_cbranch_vccnz .LBB7_229
; %bb.214:
	v_cmp_gt_i16_e32 vcc, 2, v8
	s_mov_b64 s[22:23], -1
	s_cbranch_vccnz .LBB7_224
; %bb.215:
	v_cmp_gt_i16_e32 vcc, 3, v8
	s_cbranch_vccnz .LBB7_221
; %bb.216:
	v_cmp_lt_i16_e32 vcc, 3, v8
	s_cbranch_vccz .LBB7_218
; %bb.217:
	v_pk_mov_b32 v[2:3], s[48:49], s[48:49] op_sel:[0,1]
	s_mov_b64 s[22:23], 0
	global_store_dwordx2 v[6:7], v[2:3], off
.LBB7_218:
	s_andn2_b64 vcc, exec, s[22:23]
	s_cbranch_vccnz .LBB7_220
; %bb.219:
	v_mov_b32_e32 v2, s48
	global_store_dword v[6:7], v2, off
.LBB7_220:
	s_mov_b64 s[22:23], 0
.LBB7_221:
	s_andn2_b64 vcc, exec, s[22:23]
	s_cbranch_vccnz .LBB7_223
; %bb.222:
	global_store_short v[6:7], v9, off
.LBB7_223:
	s_mov_b64 s[22:23], 0
.LBB7_224:
	s_andn2_b64 vcc, exec, s[22:23]
	s_cbranch_vccnz .LBB7_229
; %bb.225:
	v_cmp_lt_i16_e32 vcc, 0, v8
	s_mov_b64 s[22:23], -1
	s_cbranch_vccz .LBB7_227
; %bb.226:
	v_mov_b32_e32 v2, s81
	s_mov_b64 s[22:23], 0
	global_store_byte v[6:7], v2, off
.LBB7_227:
	s_andn2_b64 vcc, exec, s[22:23]
	s_cbranch_vccnz .LBB7_229
; %bb.228:
	v_mov_b32_e32 v2, s81
	global_store_byte v[6:7], v2, off
.LBB7_229:
	s_branch .LBB7_142
.LBB7_230:
	s_mov_b64 s[22:23], 0
                                        ; implicit-def: $vgpr11
.LBB7_231:
	s_andn2_b64 s[24:25], s[66:67], exec
	s_and_b64 s[20:21], s[20:21], exec
	s_or_b64 s[70:71], s[24:25], s[20:21]
	s_orn2_b64 s[20:21], s[22:23], exec
.LBB7_232:
	s_or_b64 exec, exec, s[72:73]
	s_mov_b64 s[22:23], 0
	s_mov_b64 s[24:25], 0
                                        ; implicit-def: $vgpr6_vgpr7
	s_and_saveexec_b64 s[72:73], s[20:21]
	s_cbranch_execz .LBB7_421
; %bb.233:
	v_cmp_gt_i32_e32 vcc, s82, v11
	s_mov_b64 s[22:23], -1
	s_mov_b64 s[76:77], s[70:71]
	s_and_saveexec_b64 s[74:75], vcc
	s_cbranch_execz .LBB7_349
; %bb.234:
	s_andn2_b64 vcc, exec, s[44:45]
	s_cbranch_vccnz .LBB7_239
; %bb.235:
	s_andn2_b64 vcc, exec, s[64:65]
	s_cbranch_vccnz .LBB7_240
; %bb.236:
	s_add_i32 s85, s83, 1
	s_mov_b32 s84, 0
	s_cmp_eq_u32 s80, 2
	v_mov_b32_e32 v2, 0
	s_cbranch_scc1 .LBB7_241
; %bb.237:
	s_and_b32 s84, s85, 28
	s_mov_b32 s86, 0
	v_mov_b32_e32 v2, 0
	s_mov_b64 s[76:77], s[4:5]
	s_mov_b64 s[78:79], s[62:63]
	v_mov_b32_e32 v5, v11
.LBB7_238:                              ; =>This Inner Loop Header: Depth=1
	s_load_dwordx8 s[20:27], s[76:77], 0x4
	s_load_dwordx4 s[36:39], s[76:77], 0x24
	s_load_dwordx4 s[40:43], s[78:79], 0x0
	s_add_u32 s76, s76, 48
	s_addc_u32 s77, s77, 0
	s_waitcnt lgkmcnt(0)
	v_mul_hi_u32 v3, s21, v5
	v_add_u32_e32 v3, v5, v3
	v_lshrrev_b32_e32 v3, s22, v3
	v_mul_lo_u32 v6, v3, s20
	v_mul_hi_u32 v7, s24, v3
	v_sub_u32_e32 v5, v5, v6
	v_add_u32_e32 v6, v3, v7
	v_lshrrev_b32_e32 v6, s25, v6
	v_mul_lo_u32 v7, v6, s23
	v_mul_hi_u32 v25, s27, v6
	v_sub_u32_e32 v3, v3, v7
	v_add_u32_e32 v7, v6, v25
	v_mul_lo_u32 v5, v5, s40
	v_mul_lo_u32 v3, v3, s41
	v_lshrrev_b32_e32 v7, s36, v7
	v_add3_u32 v2, v5, v2, v3
	v_mul_hi_u32 v5, s38, v7
	v_add_u32_e32 v5, v7, v5
	v_mul_lo_u32 v3, v7, s26
	v_lshrrev_b32_e32 v5, s39, v5
	s_add_i32 s86, s86, 4
	v_sub_u32_e32 v3, v6, v3
	v_mul_lo_u32 v6, v5, s37
	s_add_u32 s78, s78, 16
	v_sub_u32_e32 v6, v7, v6
	s_addc_u32 s79, s79, 0
	v_mul_lo_u32 v3, v3, s42
	v_mul_lo_u32 v6, v6, s43
	s_cmp_eq_u32 s84, s86
	v_add3_u32 v2, v3, v2, v6
	s_cbranch_scc0 .LBB7_238
	s_branch .LBB7_242
.LBB7_239:
	s_mov_b64 s[20:21], -1
                                        ; implicit-def: $vgpr2
	s_branch .LBB7_246
.LBB7_240:
	v_mov_b32_e32 v2, 0
	s_branch .LBB7_245
.LBB7_241:
	v_mov_b32_e32 v5, v11
.LBB7_242:
	s_and_b32 s24, s85, 3
	s_cmp_eq_u32 s24, 0
	s_cbranch_scc1 .LBB7_245
; %bb.243:
	s_lshl_b32 s20, s84, 2
	s_add_u32 s20, s20, s4
	s_addc_u32 s21, s5, 0
	s_add_u32 s20, s20, 0xc4
	s_addc_u32 s21, s21, 0
	s_mul_i32 s22, s84, 12
	s_add_u32 s22, s4, s22
	s_addc_u32 s23, s5, 0
.LBB7_244:                              ; =>This Inner Loop Header: Depth=1
	s_load_dwordx2 s[26:27], s[22:23], 0x4
	s_load_dword s25, s[22:23], 0xc
	s_load_dword s36, s[20:21], 0x0
	s_add_u32 s22, s22, 12
	s_addc_u32 s23, s23, 0
	s_waitcnt lgkmcnt(0)
	v_mul_hi_u32 v3, s27, v5
	v_add_u32_e32 v3, v5, v3
	v_lshrrev_b32_e32 v3, s25, v3
	s_add_u32 s20, s20, 4
	v_mul_lo_u32 v6, v3, s26
	s_addc_u32 s21, s21, 0
	s_add_i32 s24, s24, -1
	v_sub_u32_e32 v6, v5, v6
	s_cmp_lg_u32 s24, 0
	v_mov_b32_e32 v5, v3
	v_mad_u64_u32 v[2:3], s[26:27], v6, s36, v[2:3]
	s_cbranch_scc1 .LBB7_244
.LBB7_245:
	s_mov_b64 s[20:21], 0
.LBB7_246:
	s_andn2_b64 vcc, exec, s[20:21]
	s_cbranch_vccnz .LBB7_249
; %bb.247:
	v_mul_hi_u32 v2, s29, v11
	v_add_u32_e32 v2, v11, v2
	v_lshrrev_b32_e32 v3, s30, v2
	v_mul_lo_u32 v2, v3, s28
	v_sub_u32_e32 v2, v11, v2
	s_andn2_b64 vcc, exec, s[60:61]
	v_mul_lo_u32 v2, v2, s56
	s_cbranch_vccnz .LBB7_249
; %bb.248:
	v_mul_hi_u32 v5, s58, v3
	v_add_u32_e32 v5, v3, v5
	v_lshrrev_b32_e32 v5, s59, v5
	v_mul_lo_u32 v5, v5, s31
	v_sub_u32_e32 v3, v3, v5
	v_mad_u64_u32 v[2:3], s[20:21], v3, s57, v[2:3]
.LBB7_249:
	v_mov_b32_e32 v3, s55
	v_add_co_u32_e32 v6, vcc, s54, v2
	v_addc_co_u32_e32 v7, vcc, 0, v3, vcc
	v_cmp_gt_i16_e32 vcc, 11, v8
	s_cbranch_vccnz .LBB7_256
; %bb.250:
	v_cmp_lt_i16_e32 vcc, 25, v8
	s_cbranch_vccz .LBB7_257
; %bb.251:
	v_cmp_lt_i16_e32 vcc, 28, v8
	s_cbranch_vccz .LBB7_258
	;; [unrolled: 3-line block ×4, first 2 shown]
; %bb.254:
	v_cmp_eq_u16_e32 vcc, 46, v8
	s_mov_b64 s[24:25], 0
	s_mov_b64 s[20:21], -1
	s_mov_b64 s[22:23], 0
	s_cbranch_vccz .LBB7_261
; %bb.255:
	global_store_dword v[6:7], v13, off
	s_mov_b64 s[22:23], -1
	s_mov_b64 s[20:21], 0
	s_branch .LBB7_261
.LBB7_256:
	s_mov_b64 s[24:25], -1
	s_mov_b64 s[22:23], 0
	s_mov_b64 s[20:21], s[70:71]
	s_branch .LBB7_306
.LBB7_257:
	s_mov_b64 s[24:25], -1
	s_mov_b64 s[22:23], 0
	s_mov_b64 s[20:21], s[70:71]
	s_branch .LBB7_283
.LBB7_258:
	s_mov_b64 s[24:25], -1
	s_mov_b64 s[22:23], 0
	s_mov_b64 s[20:21], s[70:71]
	s_branch .LBB7_269
.LBB7_259:
	s_mov_b64 s[24:25], -1
	s_mov_b64 s[22:23], 0
	s_mov_b64 s[20:21], s[70:71]
	s_branch .LBB7_265
.LBB7_260:
	s_mov_b64 s[24:25], -1
	s_mov_b64 s[22:23], 0
	s_mov_b64 s[20:21], s[70:71]
.LBB7_261:
	s_and_b64 vcc, exec, s[24:25]
	s_cbranch_vccz .LBB7_264
; %bb.262:
	v_cmp_eq_u16_e32 vcc, 44, v8
	s_mov_b64 s[20:21], -1
	s_cbranch_vccz .LBB7_264
; %bb.263:
	v_mov_b32_e32 v2, 0xff
	v_cndmask_b32_e64 v2, v24, v2, s[18:19]
	s_mov_b64 s[22:23], -1
	s_mov_b64 s[20:21], 0
	global_store_byte v[6:7], v2, off
.LBB7_264:
	s_mov_b64 s[24:25], 0
.LBB7_265:
	s_and_b64 vcc, exec, s[24:25]
	s_cbranch_vccz .LBB7_268
; %bb.266:
	v_cmp_eq_u16_e32 vcc, 29, v8
	s_mov_b64 s[20:21], -1
	s_cbranch_vccz .LBB7_268
; %bb.267:
	v_pk_mov_b32 v[2:3], s[48:49], s[48:49] op_sel:[0,1]
	global_store_dwordx2 v[6:7], v[2:3], off
	s_mov_b64 s[22:23], -1
	s_mov_b64 s[20:21], 0
.LBB7_268:
	s_mov_b64 s[24:25], 0
.LBB7_269:
	s_and_b64 vcc, exec, s[24:25]
	s_cbranch_vccz .LBB7_282
; %bb.270:
	v_cmp_gt_i16_e32 vcc, 27, v8
	s_mov_b64 s[22:23], -1
	s_cbranch_vccnz .LBB7_276
; %bb.271:
	v_cmp_lt_i16_e32 vcc, 27, v8
	s_cbranch_vccz .LBB7_273
; %bb.272:
	v_mov_b32_e32 v2, s48
	s_mov_b64 s[22:23], 0
	global_store_dword v[6:7], v2, off
.LBB7_273:
	s_andn2_b64 vcc, exec, s[22:23]
	s_cbranch_vccnz .LBB7_275
; %bb.274:
	global_store_short v[6:7], v9, off
.LBB7_275:
	s_mov_b64 s[22:23], 0
.LBB7_276:
	s_andn2_b64 vcc, exec, s[22:23]
	s_cbranch_vccnz .LBB7_281
; %bb.277:
	s_andn2_b64 vcc, exec, s[16:17]
	v_mov_b32_e32 v2, 0x80
	s_cbranch_vccnz .LBB7_280
; %bb.278:
	s_or_b64 s[22:23], s[14:15], s[52:53]
	s_andn2_b64 vcc, exec, s[22:23]
	v_mov_b32_e32 v2, 0
	s_cbranch_vccnz .LBB7_280
; %bb.279:
	v_cndmask_b32_e64 v2, v23, v22, s[14:15]
.LBB7_280:
	global_store_byte v[6:7], v2, off
.LBB7_281:
	s_mov_b64 s[22:23], -1
.LBB7_282:
	s_mov_b64 s[24:25], 0
.LBB7_283:
	s_and_b64 vcc, exec, s[24:25]
	s_cbranch_vccz .LBB7_305
; %bb.284:
	v_cmp_lt_i16_e32 vcc, 22, v8
	s_mov_b64 s[24:25], -1
	s_cbranch_vccz .LBB7_297
; %bb.285:
	v_cmp_gt_i16_e32 vcc, 24, v8
	s_mov_b64 s[22:23], -1
	s_cbranch_vccnz .LBB7_294
; %bb.286:
	v_cmp_lt_i16_e32 vcc, 24, v8
	s_cbranch_vccz .LBB7_291
; %bb.287:
	s_andn2_b64 vcc, exec, s[12:13]
	v_mov_b32_e32 v2, 0x80
	s_cbranch_vccnz .LBB7_290
; %bb.288:
	s_or_b64 s[22:23], s[10:11], s[50:51]
	s_andn2_b64 vcc, exec, s[22:23]
	v_mov_b32_e32 v2, 0
	s_cbranch_vccnz .LBB7_290
; %bb.289:
	v_cndmask_b32_e64 v2, v20, v19, s[10:11]
.LBB7_290:
	s_mov_b64 s[22:23], 0
	global_store_byte v[6:7], v2, off
.LBB7_291:
	s_and_b64 vcc, exec, s[22:23]
	s_cbranch_vccz .LBB7_293
; %bb.292:
	v_cndmask_b32_e64 v2, v17, v18, s[8:9]
	v_cndmask_b32_e64 v2, v2, v21, s[6:7]
	global_store_byte v[6:7], v2, off
.LBB7_293:
	s_mov_b64 s[22:23], 0
.LBB7_294:
	s_andn2_b64 vcc, exec, s[22:23]
	s_cbranch_vccnz .LBB7_296
; %bb.295:
	v_cndmask_b32_e64 v2, v14, v15, s[2:3]
	v_cndmask_b32_e64 v2, v2, v16, s[0:1]
	global_store_byte v[6:7], v2, off
.LBB7_296:
	s_mov_b64 s[24:25], 0
	s_mov_b64 s[22:23], -1
.LBB7_297:
	s_andn2_b64 vcc, exec, s[24:25]
	s_cbranch_vccnz .LBB7_305
; %bb.298:
	v_cmp_lt_i16_e32 vcc, 14, v8
	s_mov_b64 s[24:25], -1
	s_cbranch_vccz .LBB7_302
; %bb.299:
	v_cmp_eq_u16_e32 vcc, 15, v8
	s_mov_b64 s[20:21], -1
	s_cbranch_vccz .LBB7_301
; %bb.300:
	global_store_short v[6:7], v13, off
	s_mov_b64 s[22:23], -1
	s_mov_b64 s[20:21], 0
.LBB7_301:
	s_mov_b64 s[24:25], 0
.LBB7_302:
	s_and_b64 vcc, exec, s[24:25]
	s_cbranch_vccz .LBB7_305
; %bb.303:
	v_cmp_eq_u16_e32 vcc, 11, v8
	s_mov_b64 s[20:21], -1
	s_cbranch_vccz .LBB7_305
; %bb.304:
	s_mov_b64 s[22:23], -1
	s_mov_b64 s[20:21], 0
	global_store_byte v[6:7], v12, off
.LBB7_305:
	s_mov_b64 s[24:25], 0
.LBB7_306:
	s_and_b64 vcc, exec, s[24:25]
	s_cbranch_vccz .LBB7_345
; %bb.307:
	v_cmp_gt_i16_e32 vcc, 5, v8
	s_mov_b64 s[22:23], -1
	s_cbranch_vccnz .LBB7_328
; %bb.308:
	v_cmp_gt_i16_e32 vcc, 8, v8
	s_cbranch_vccnz .LBB7_318
; %bb.309:
	v_cmp_gt_i16_e32 vcc, 9, v8
	s_cbranch_vccnz .LBB7_315
; %bb.310:
	v_cmp_lt_i16_e32 vcc, 9, v8
	s_cbranch_vccz .LBB7_312
; %bb.311:
	v_mov_b32_e32 v2, 0
	v_mov_b32_e32 v3, v2
	s_mov_b64 s[22:23], 0
	global_store_dwordx4 v[6:7], v[0:3], off
.LBB7_312:
	s_andn2_b64 vcc, exec, s[22:23]
	s_cbranch_vccnz .LBB7_314
; %bb.313:
	v_mov_b32_e32 v5, 0
	global_store_dwordx2 v[6:7], v[4:5], off
.LBB7_314:
	s_mov_b64 s[22:23], 0
.LBB7_315:
	s_andn2_b64 vcc, exec, s[22:23]
	s_cbranch_vccnz .LBB7_317
; %bb.316:
	global_store_dword v[6:7], v10, off
.LBB7_317:
	s_mov_b64 s[22:23], 0
.LBB7_318:
	s_andn2_b64 vcc, exec, s[22:23]
	s_cbranch_vccnz .LBB7_327
; %bb.319:
	v_cmp_gt_i16_e32 vcc, 6, v8
	s_mov_b64 s[22:23], -1
	s_cbranch_vccnz .LBB7_325
; %bb.320:
	v_cmp_lt_i16_e32 vcc, 6, v8
	s_cbranch_vccz .LBB7_322
; %bb.321:
	s_mov_b64 s[22:23], 0
	global_store_dwordx2 v[6:7], v[0:1], off
.LBB7_322:
	s_andn2_b64 vcc, exec, s[22:23]
	s_cbranch_vccnz .LBB7_324
; %bb.323:
	global_store_dword v[6:7], v4, off
.LBB7_324:
	s_mov_b64 s[22:23], 0
.LBB7_325:
	s_andn2_b64 vcc, exec, s[22:23]
	s_cbranch_vccnz .LBB7_327
; %bb.326:
	global_store_short v[6:7], v10, off
.LBB7_327:
	s_mov_b64 s[22:23], 0
.LBB7_328:
	s_andn2_b64 vcc, exec, s[22:23]
	s_cbranch_vccnz .LBB7_344
; %bb.329:
	v_cmp_gt_i16_e32 vcc, 2, v8
	s_mov_b64 s[22:23], -1
	s_cbranch_vccnz .LBB7_339
; %bb.330:
	v_cmp_gt_i16_e32 vcc, 3, v8
	s_cbranch_vccnz .LBB7_336
; %bb.331:
	v_cmp_lt_i16_e32 vcc, 3, v8
	s_cbranch_vccz .LBB7_333
; %bb.332:
	v_pk_mov_b32 v[2:3], s[48:49], s[48:49] op_sel:[0,1]
	s_mov_b64 s[22:23], 0
	global_store_dwordx2 v[6:7], v[2:3], off
.LBB7_333:
	s_andn2_b64 vcc, exec, s[22:23]
	s_cbranch_vccnz .LBB7_335
; %bb.334:
	v_mov_b32_e32 v2, s48
	global_store_dword v[6:7], v2, off
.LBB7_335:
	s_mov_b64 s[22:23], 0
.LBB7_336:
	s_andn2_b64 vcc, exec, s[22:23]
	s_cbranch_vccnz .LBB7_338
; %bb.337:
	global_store_short v[6:7], v9, off
.LBB7_338:
	s_mov_b64 s[22:23], 0
.LBB7_339:
	s_andn2_b64 vcc, exec, s[22:23]
	s_cbranch_vccnz .LBB7_344
; %bb.340:
	v_cmp_lt_i16_e32 vcc, 0, v8
	s_mov_b64 s[22:23], -1
	s_cbranch_vccz .LBB7_342
; %bb.341:
	v_mov_b32_e32 v2, s81
	s_mov_b64 s[22:23], 0
	global_store_byte v[6:7], v2, off
.LBB7_342:
	s_andn2_b64 vcc, exec, s[22:23]
	s_cbranch_vccnz .LBB7_344
; %bb.343:
	v_mov_b32_e32 v2, s81
	global_store_byte v[6:7], v2, off
.LBB7_344:
	s_mov_b64 s[22:23], -1
.LBB7_345:
	s_andn2_b64 vcc, exec, s[22:23]
	s_cbranch_vccnz .LBB7_347
; %bb.346:
	v_add_u32_e32 v11, 0x80, v11
	s_mov_b64 s[22:23], -1
	s_branch .LBB7_348
.LBB7_347:
	s_mov_b64 s[22:23], 0
                                        ; implicit-def: $vgpr11
.LBB7_348:
	s_andn2_b64 s[24:25], s[70:71], exec
	s_and_b64 s[20:21], s[20:21], exec
	s_or_b64 s[76:77], s[24:25], s[20:21]
	s_orn2_b64 s[22:23], s[22:23], exec
.LBB7_349:
	s_or_b64 exec, exec, s[74:75]
	s_mov_b64 s[20:21], 0
	s_mov_b64 s[26:27], 0
                                        ; implicit-def: $vgpr6_vgpr7
	s_and_saveexec_b64 s[74:75], s[22:23]
	s_cbranch_execz .LBB7_420
; %bb.350:
	v_cmp_gt_i32_e32 vcc, s82, v11
	s_mov_b64 s[22:23], 0
	s_mov_b64 s[24:25], s[76:77]
                                        ; implicit-def: $vgpr6_vgpr7
	s_and_saveexec_b64 s[78:79], vcc
	s_cbranch_execz .LBB7_419
; %bb.351:
	s_andn2_b64 vcc, exec, s[44:45]
	s_cbranch_vccnz .LBB7_356
; %bb.352:
	s_andn2_b64 vcc, exec, s[64:65]
	s_cbranch_vccnz .LBB7_357
; %bb.353:
	s_add_i32 s83, s83, 1
	s_mov_b32 s82, 0
	s_cmp_eq_u32 s80, 2
	v_mov_b32_e32 v2, 0
	s_cbranch_scc1 .LBB7_358
; %bb.354:
	s_and_b32 s82, s83, 28
	s_mov_b32 s84, 0
	v_mov_b32_e32 v2, 0
	s_mov_b64 s[64:65], s[4:5]
	v_mov_b32_e32 v5, v11
.LBB7_355:                              ; =>This Inner Loop Header: Depth=1
	s_load_dwordx8 s[20:27], s[64:65], 0x4
	s_load_dwordx4 s[36:39], s[64:65], 0x24
	s_load_dwordx4 s[40:43], s[62:63], 0x0
	s_add_u32 s64, s64, 48
	s_addc_u32 s65, s65, 0
	s_waitcnt lgkmcnt(0)
	v_mul_hi_u32 v3, s21, v5
	v_add_u32_e32 v3, v5, v3
	v_lshrrev_b32_e32 v3, s22, v3
	v_mul_lo_u32 v6, v3, s20
	v_mul_hi_u32 v7, s24, v3
	v_sub_u32_e32 v5, v5, v6
	v_add_u32_e32 v6, v3, v7
	v_lshrrev_b32_e32 v6, s25, v6
	v_mul_lo_u32 v7, v6, s23
	v_mul_hi_u32 v25, s27, v6
	v_sub_u32_e32 v3, v3, v7
	v_add_u32_e32 v7, v6, v25
	v_mul_lo_u32 v5, v5, s40
	v_mul_lo_u32 v3, v3, s41
	v_lshrrev_b32_e32 v7, s36, v7
	v_add3_u32 v2, v5, v2, v3
	v_mul_hi_u32 v5, s38, v7
	v_add_u32_e32 v5, v7, v5
	v_mul_lo_u32 v3, v7, s26
	v_lshrrev_b32_e32 v5, s39, v5
	s_add_i32 s84, s84, 4
	v_sub_u32_e32 v3, v6, v3
	v_mul_lo_u32 v6, v5, s37
	s_add_u32 s62, s62, 16
	v_sub_u32_e32 v6, v7, v6
	s_addc_u32 s63, s63, 0
	v_mul_lo_u32 v3, v3, s42
	v_mul_lo_u32 v6, v6, s43
	s_cmp_eq_u32 s82, s84
	v_add3_u32 v2, v3, v2, v6
	s_cbranch_scc0 .LBB7_355
	s_branch .LBB7_359
.LBB7_356:
	s_mov_b64 s[20:21], -1
                                        ; implicit-def: $vgpr2
	s_branch .LBB7_363
.LBB7_357:
	v_mov_b32_e32 v2, 0
	s_branch .LBB7_362
.LBB7_358:
	v_mov_b32_e32 v5, v11
.LBB7_359:
	s_and_b32 s24, s83, 3
	s_cmp_eq_u32 s24, 0
	s_cbranch_scc1 .LBB7_362
; %bb.360:
	s_lshl_b32 s20, s82, 2
	s_add_u32 s20, s20, s4
	s_addc_u32 s21, s5, 0
	s_add_u32 s20, s20, 0xc4
	s_addc_u32 s21, s21, 0
	s_mul_i32 s22, s82, 12
	s_add_u32 s22, s4, s22
	s_addc_u32 s23, s5, 0
.LBB7_361:                              ; =>This Inner Loop Header: Depth=1
	s_load_dwordx2 s[26:27], s[22:23], 0x4
	s_load_dword s25, s[22:23], 0xc
	s_load_dword s36, s[20:21], 0x0
	s_add_u32 s22, s22, 12
	s_addc_u32 s23, s23, 0
	s_waitcnt lgkmcnt(0)
	v_mul_hi_u32 v3, s27, v5
	v_add_u32_e32 v3, v5, v3
	v_lshrrev_b32_e32 v3, s25, v3
	s_add_u32 s20, s20, 4
	v_mul_lo_u32 v6, v3, s26
	s_addc_u32 s21, s21, 0
	s_add_i32 s24, s24, -1
	v_sub_u32_e32 v6, v5, v6
	s_cmp_lg_u32 s24, 0
	v_mov_b32_e32 v5, v3
	v_mad_u64_u32 v[2:3], s[26:27], v6, s36, v[2:3]
	s_cbranch_scc1 .LBB7_361
.LBB7_362:
	s_mov_b64 s[20:21], 0
.LBB7_363:
	s_andn2_b64 vcc, exec, s[20:21]
	s_cbranch_vccnz .LBB7_366
; %bb.364:
	v_mul_hi_u32 v2, s29, v11
	v_add_u32_e32 v2, v11, v2
	v_lshrrev_b32_e32 v3, s30, v2
	v_mul_lo_u32 v2, v3, s28
	v_sub_u32_e32 v2, v11, v2
	s_andn2_b64 vcc, exec, s[60:61]
	v_mul_lo_u32 v2, v2, s56
	s_cbranch_vccnz .LBB7_366
; %bb.365:
	v_mul_hi_u32 v5, s58, v3
	v_add_u32_e32 v5, v3, v5
	v_lshrrev_b32_e32 v5, s59, v5
	v_mul_lo_u32 v5, v5, s31
	v_sub_u32_e32 v3, v3, v5
	v_mad_u64_u32 v[2:3], s[20:21], v3, s57, v[2:3]
.LBB7_366:
	v_mov_b32_e32 v3, s55
	v_add_co_u32_e32 v6, vcc, s54, v2
	v_addc_co_u32_e32 v7, vcc, 0, v3, vcc
	v_cmp_gt_i16_e32 vcc, 11, v8
	s_cbranch_vccnz .LBB7_416
; %bb.367:
	v_cmp_lt_i16_e32 vcc, 25, v8
	s_mov_b64 s[22:23], -1
	s_mov_b64 s[20:21], s[76:77]
	s_cbranch_vccz .LBB7_395
; %bb.368:
	v_cmp_lt_i16_e32 vcc, 28, v8
	s_mov_b64 s[20:21], s[76:77]
	s_cbranch_vccz .LBB7_382
; %bb.369:
	v_cmp_lt_i16_e32 vcc, 43, v8
	;; [unrolled: 4-line block ×3, first 2 shown]
	s_mov_b64 s[20:21], s[76:77]
	s_cbranch_vccz .LBB7_374
; %bb.371:
	v_cmp_eq_u16_e32 vcc, 46, v8
	s_mov_b64 s[20:21], -1
	s_cbranch_vccz .LBB7_373
; %bb.372:
	global_store_dword v[6:7], v13, off
	s_mov_b64 s[20:21], 0
.LBB7_373:
	s_mov_b64 s[22:23], 0
.LBB7_374:
	s_and_b64 vcc, exec, s[22:23]
	s_cbranch_vccz .LBB7_377
; %bb.375:
	v_cmp_eq_u16_e32 vcc, 44, v8
	s_mov_b64 s[20:21], -1
	s_cbranch_vccz .LBB7_377
; %bb.376:
	v_mov_b32_e32 v2, 0xff
	v_cndmask_b32_e64 v2, v24, v2, s[18:19]
	global_store_byte v[6:7], v2, off
	s_mov_b64 s[20:21], 0
.LBB7_377:
	s_mov_b64 s[22:23], 0
.LBB7_378:
	s_and_b64 vcc, exec, s[22:23]
	s_cbranch_vccz .LBB7_381
; %bb.379:
	v_cmp_eq_u16_e32 vcc, 29, v8
	s_mov_b64 s[20:21], -1
	s_cbranch_vccz .LBB7_381
; %bb.380:
	v_pk_mov_b32 v[2:3], s[48:49], s[48:49] op_sel:[0,1]
	global_store_dwordx2 v[6:7], v[2:3], off
	s_mov_b64 s[20:21], 0
.LBB7_381:
	s_mov_b64 s[22:23], 0
.LBB7_382:
	s_and_b64 vcc, exec, s[22:23]
	s_cbranch_vccz .LBB7_394
; %bb.383:
	v_cmp_gt_i16_e32 vcc, 27, v8
	s_mov_b64 s[18:19], -1
	s_cbranch_vccnz .LBB7_389
; %bb.384:
	v_cmp_lt_i16_e32 vcc, 27, v8
	s_cbranch_vccz .LBB7_386
; %bb.385:
	v_mov_b32_e32 v2, s48
	s_mov_b64 s[18:19], 0
	global_store_dword v[6:7], v2, off
.LBB7_386:
	s_andn2_b64 vcc, exec, s[18:19]
	s_cbranch_vccnz .LBB7_388
; %bb.387:
	global_store_short v[6:7], v9, off
.LBB7_388:
	s_mov_b64 s[18:19], 0
.LBB7_389:
	s_andn2_b64 vcc, exec, s[18:19]
	s_cbranch_vccnz .LBB7_394
; %bb.390:
	s_andn2_b64 vcc, exec, s[16:17]
	v_mov_b32_e32 v2, 0x80
	s_cbranch_vccnz .LBB7_393
; %bb.391:
	s_or_b64 s[16:17], s[14:15], s[52:53]
	s_andn2_b64 vcc, exec, s[16:17]
	v_mov_b32_e32 v2, 0
	s_cbranch_vccnz .LBB7_393
; %bb.392:
	v_cndmask_b32_e64 v2, v23, v22, s[14:15]
.LBB7_393:
	global_store_byte v[6:7], v2, off
.LBB7_394:
	s_mov_b64 s[22:23], 0
.LBB7_395:
	s_mov_b64 s[14:15], 0
	s_and_b64 vcc, exec, s[22:23]
	s_cbranch_vccz .LBB7_417
; %bb.396:
	v_cmp_lt_i16_e32 vcc, 22, v8
	s_mov_b64 s[16:17], -1
	s_cbranch_vccz .LBB7_409
; %bb.397:
	v_cmp_gt_i16_e32 vcc, 24, v8
	s_cbranch_vccnz .LBB7_406
; %bb.398:
	v_cmp_lt_i16_e32 vcc, 24, v8
	s_cbranch_vccz .LBB7_403
; %bb.399:
	s_andn2_b64 vcc, exec, s[12:13]
	v_mov_b32_e32 v2, 0x80
	s_cbranch_vccnz .LBB7_402
; %bb.400:
	s_or_b64 s[12:13], s[10:11], s[50:51]
	s_andn2_b64 vcc, exec, s[12:13]
	v_mov_b32_e32 v2, 0
	s_cbranch_vccnz .LBB7_402
; %bb.401:
	v_cndmask_b32_e64 v2, v20, v19, s[10:11]
.LBB7_402:
	s_mov_b64 s[16:17], 0
	global_store_byte v[6:7], v2, off
.LBB7_403:
	s_and_b64 vcc, exec, s[16:17]
	s_cbranch_vccz .LBB7_405
; %bb.404:
	v_cndmask_b32_e64 v2, v17, v18, s[8:9]
	v_cndmask_b32_e64 v2, v2, v21, s[6:7]
	global_store_byte v[6:7], v2, off
.LBB7_405:
	s_mov_b64 s[16:17], 0
.LBB7_406:
	s_andn2_b64 vcc, exec, s[16:17]
	s_cbranch_vccnz .LBB7_408
; %bb.407:
	v_cndmask_b32_e64 v2, v14, v15, s[2:3]
	v_cndmask_b32_e64 v2, v2, v16, s[0:1]
	global_store_byte v[6:7], v2, off
.LBB7_408:
	s_mov_b64 s[16:17], 0
.LBB7_409:
	s_andn2_b64 vcc, exec, s[16:17]
	s_mov_b64 s[0:1], 0
	s_cbranch_vccnz .LBB7_418
; %bb.410:
	v_cmp_lt_i16_e32 vcc, 14, v8
	s_mov_b64 s[2:3], -1
	s_cbranch_vccz .LBB7_414
; %bb.411:
	v_cmp_eq_u16_e32 vcc, 15, v8
	s_mov_b64 s[20:21], -1
	s_cbranch_vccz .LBB7_413
; %bb.412:
	global_store_short v[6:7], v13, off
	s_mov_b64 s[20:21], 0
.LBB7_413:
	s_mov_b64 s[2:3], 0
.LBB7_414:
	s_and_b64 vcc, exec, s[2:3]
	s_cbranch_vccz .LBB7_418
; %bb.415:
	v_cmp_ne_u16_e32 vcc, 11, v8
	s_andn2_b64 s[2:3], s[20:21], exec
	s_and_b64 s[6:7], vcc, exec
	s_mov_b64 s[0:1], -1
	s_or_b64 s[20:21], s[2:3], s[6:7]
	s_branch .LBB7_418
.LBB7_416:
	s_mov_b64 s[0:1], 0
	s_mov_b64 s[14:15], -1
	s_mov_b64 s[20:21], s[76:77]
	s_branch .LBB7_418
.LBB7_417:
	s_mov_b64 s[0:1], 0
.LBB7_418:
	s_and_b64 s[22:23], s[0:1], exec
	s_andn2_b64 s[0:1], s[76:77], exec
	s_and_b64 s[2:3], s[20:21], exec
	s_and_b64 s[26:27], s[14:15], exec
	s_or_b64 s[24:25], s[0:1], s[2:3]
.LBB7_419:
	s_or_b64 exec, exec, s[78:79]
	s_andn2_b64 s[0:1], s[76:77], exec
	s_and_b64 s[2:3], s[24:25], exec
	s_and_b64 s[26:27], s[26:27], exec
	;; [unrolled: 1-line block ×3, first 2 shown]
	s_or_b64 s[76:77], s[0:1], s[2:3]
.LBB7_420:
	s_or_b64 exec, exec, s[74:75]
	s_andn2_b64 s[0:1], s[70:71], exec
	s_and_b64 s[2:3], s[76:77], exec
	s_and_b64 s[24:25], s[26:27], exec
	;; [unrolled: 1-line block ×3, first 2 shown]
	s_or_b64 s[70:71], s[0:1], s[2:3]
.LBB7_421:
	s_or_b64 exec, exec, s[72:73]
	s_andn2_b64 s[0:1], s[66:67], exec
	s_and_b64 s[2:3], s[70:71], exec
	s_and_b64 s[20:21], s[24:25], exec
	;; [unrolled: 1-line block ×3, first 2 shown]
	s_or_b64 s[66:67], s[0:1], s[2:3]
	s_or_b64 exec, exec, s[68:69]
	s_mov_b64 s[0:1], 0
	s_and_saveexec_b64 s[2:3], s[66:67]
	s_cbranch_execz .LBB7_122
.LBB7_422:
	s_mov_b64 s[0:1], exec
	s_andn2_b64 s[72:73], s[72:73], exec
	s_trap 2
	s_or_b64 exec, exec, s[2:3]
	s_and_saveexec_b64 s[2:3], s[72:73]
	s_xor_b64 s[2:3], exec, s[2:3]
	s_cbranch_execnz .LBB7_123
.LBB7_423:
	s_or_b64 exec, exec, s[2:3]
	s_and_saveexec_b64 s[2:3], s[20:21]
	s_xor_b64 s[2:3], exec, s[2:3]
	s_cbranch_execz .LBB7_461
.LBB7_424:
	v_cmp_gt_i16_e32 vcc, 5, v8
	s_mov_b64 s[6:7], -1
	s_cbranch_vccnz .LBB7_445
; %bb.425:
	v_cmp_gt_i16_e32 vcc, 8, v8
	s_cbranch_vccnz .LBB7_435
; %bb.426:
	v_cmp_gt_i16_e32 vcc, 9, v8
	s_cbranch_vccnz .LBB7_432
; %bb.427:
	v_cmp_lt_i16_e32 vcc, 9, v8
	s_cbranch_vccz .LBB7_429
; %bb.428:
	v_mov_b32_e32 v2, 0
	v_mov_b32_e32 v3, v2
	s_mov_b64 s[6:7], 0
	global_store_dwordx4 v[6:7], v[0:3], off
.LBB7_429:
	s_andn2_b64 vcc, exec, s[6:7]
	s_cbranch_vccnz .LBB7_431
; %bb.430:
	v_mov_b32_e32 v5, 0
	global_store_dwordx2 v[6:7], v[4:5], off
.LBB7_431:
	s_mov_b64 s[6:7], 0
.LBB7_432:
	s_andn2_b64 vcc, exec, s[6:7]
	s_cbranch_vccnz .LBB7_434
; %bb.433:
	global_store_dword v[6:7], v10, off
.LBB7_434:
	s_mov_b64 s[6:7], 0
.LBB7_435:
	s_andn2_b64 vcc, exec, s[6:7]
	s_cbranch_vccnz .LBB7_444
; %bb.436:
	v_cmp_gt_i16_e32 vcc, 6, v8
	s_mov_b64 s[6:7], -1
	s_cbranch_vccnz .LBB7_442
; %bb.437:
	v_cmp_lt_i16_e32 vcc, 6, v8
	s_cbranch_vccz .LBB7_439
; %bb.438:
	s_mov_b64 s[6:7], 0
	global_store_dwordx2 v[6:7], v[0:1], off
.LBB7_439:
	s_andn2_b64 vcc, exec, s[6:7]
	s_cbranch_vccnz .LBB7_441
; %bb.440:
	global_store_dword v[6:7], v4, off
.LBB7_441:
	s_mov_b64 s[6:7], 0
.LBB7_442:
	s_andn2_b64 vcc, exec, s[6:7]
	s_cbranch_vccnz .LBB7_444
; %bb.443:
	global_store_short v[6:7], v10, off
.LBB7_444:
	s_mov_b64 s[6:7], 0
.LBB7_445:
	s_andn2_b64 vcc, exec, s[6:7]
	s_cbranch_vccnz .LBB7_461
; %bb.446:
	v_cmp_gt_i16_e32 vcc, 2, v8
	s_mov_b64 s[6:7], -1
	s_cbranch_vccnz .LBB7_456
; %bb.447:
	v_cmp_gt_i16_e32 vcc, 3, v8
	s_cbranch_vccnz .LBB7_453
; %bb.448:
	v_cmp_lt_i16_e32 vcc, 3, v8
	s_cbranch_vccz .LBB7_450
; %bb.449:
	v_pk_mov_b32 v[0:1], s[48:49], s[48:49] op_sel:[0,1]
	s_mov_b64 s[6:7], 0
	global_store_dwordx2 v[6:7], v[0:1], off
.LBB7_450:
	s_andn2_b64 vcc, exec, s[6:7]
	s_cbranch_vccnz .LBB7_452
; %bb.451:
	v_mov_b32_e32 v0, s48
	global_store_dword v[6:7], v0, off
.LBB7_452:
	s_mov_b64 s[6:7], 0
.LBB7_453:
	s_andn2_b64 vcc, exec, s[6:7]
	s_cbranch_vccnz .LBB7_455
; %bb.454:
	global_store_short v[6:7], v9, off
.LBB7_455:
	s_mov_b64 s[6:7], 0
.LBB7_456:
	s_andn2_b64 vcc, exec, s[6:7]
	s_cbranch_vccnz .LBB7_461
; %bb.457:
	v_cmp_lt_i16_e32 vcc, 0, v8
	s_mov_b64 s[6:7], -1
	s_cbranch_vccz .LBB7_459
; %bb.458:
	v_mov_b32_e32 v0, s81
	s_mov_b64 s[6:7], 0
	global_store_byte v[6:7], v0, off
.LBB7_459:
	s_andn2_b64 vcc, exec, s[6:7]
	s_cbranch_vccnz .LBB7_461
; %bb.460:
	v_mov_b32_e32 v0, s81
	global_store_byte v[6:7], v0, off
.LBB7_461:
	s_or_b64 exec, exec, s[2:3]
	s_and_b64 s[6:7], s[0:1], exec
                                        ; implicit-def: $vgpr9
                                        ; implicit-def: $vgpr11
.LBB7_462:
	s_or_saveexec_b64 s[24:25], s[46:47]
	s_mov_b64 s[0:1], 0
                                        ; implicit-def: $vgpr8
                                        ; implicit-def: $vgpr0_vgpr1
                                        ; implicit-def: $sgpr16
	s_xor_b64 exec, exec, s[24:25]
	s_cbranch_execz .LBB7_941
; %bb.463:
	v_cndmask_b32_e64 v0, 0, 1, s[44:45]
	v_cmp_ne_u32_e64 s[0:1], 1, v0
	s_andn2_b64 vcc, exec, s[44:45]
	s_cbranch_vccnz .LBB7_469
; %bb.464:
	s_mov_b32 s28, 0
	s_cmp_eq_u32 s33, 0
	v_mov_b32_e32 v6, 0
	s_cbranch_scc1 .LBB7_473
; %bb.465:
	s_min_u32 s29, s80, 15
	s_add_i32 s29, s29, 1
	s_cmp_eq_u32 s80, 2
	v_mov_b32_e32 v6, 0
	s_cbranch_scc1 .LBB7_470
; %bb.466:
	s_add_u32 s2, s4, 0xc4
	s_addc_u32 s3, s5, 0
	s_and_b32 s28, s29, 28
	s_mov_b32 s30, 0
	v_mov_b32_e32 v6, 0
	s_mov_b64 s[26:27], s[4:5]
	v_mov_b32_e32 v0, v11
.LBB7_467:                              ; =>This Inner Loop Header: Depth=1
	s_load_dwordx8 s[8:15], s[26:27], 0x4
	s_load_dwordx4 s[16:19], s[26:27], 0x24
	s_load_dwordx4 s[20:23], s[2:3], 0x0
	s_add_u32 s26, s26, 48
	s_addc_u32 s27, s27, 0
	s_waitcnt lgkmcnt(0)
	v_mul_hi_u32 v1, s9, v0
	v_add_u32_e32 v1, v0, v1
	v_lshrrev_b32_e32 v1, s10, v1
	v_mul_lo_u32 v2, v1, s8
	v_mul_hi_u32 v3, s12, v1
	v_sub_u32_e32 v0, v0, v2
	v_add_u32_e32 v2, v1, v3
	v_lshrrev_b32_e32 v2, s13, v2
	v_mul_lo_u32 v3, v2, s11
	v_mul_hi_u32 v4, s15, v2
	v_sub_u32_e32 v1, v1, v3
	v_add_u32_e32 v3, v2, v4
	v_mul_lo_u32 v0, v0, s20
	v_mul_lo_u32 v1, v1, s21
	v_lshrrev_b32_e32 v3, s16, v3
	v_add3_u32 v1, v0, v6, v1
	v_mul_lo_u32 v0, v3, s14
	v_mul_hi_u32 v4, s18, v3
	v_sub_u32_e32 v0, v2, v0
	v_add_u32_e32 v2, v3, v4
	v_mul_lo_u32 v4, v0, s22
	v_lshrrev_b32_e32 v0, s19, v2
	s_add_i32 s30, s30, 4
	v_mul_lo_u32 v2, v0, s17
	s_add_u32 s2, s2, 16
	v_sub_u32_e32 v2, v3, v2
	s_addc_u32 s3, s3, 0
	v_mul_lo_u32 v2, v2, s23
	s_cmp_lg_u32 s28, s30
	v_add3_u32 v6, v4, v1, v2
	s_cbranch_scc1 .LBB7_467
; %bb.468:
	s_and_b32 s10, s29, 3
	s_cmp_eq_u32 s10, 0
	s_cbranch_scc0 .LBB7_471
	s_branch .LBB7_473
.LBB7_469:
                                        ; implicit-def: $vgpr6
	s_branch .LBB7_474
.LBB7_470:
	v_mov_b32_e32 v0, v11
	s_and_b32 s10, s29, 3
	s_cmp_eq_u32 s10, 0
	s_cbranch_scc1 .LBB7_473
.LBB7_471:
	s_lshl_b32 s2, s28, 2
	s_add_u32 s2, s2, s4
	s_addc_u32 s3, 0, s5
	s_add_u32 s2, s2, 0xc4
	s_addc_u32 s3, s3, 0
	s_mul_i32 s8, s28, 12
	s_add_u32 s8, s4, s8
	s_addc_u32 s9, 0, s5
.LBB7_472:                              ; =>This Inner Loop Header: Depth=1
	s_load_dwordx2 s[12:13], s[8:9], 0x4
	s_load_dword s11, s[8:9], 0xc
	s_load_dword s14, s[2:3], 0x0
	s_add_u32 s8, s8, 12
	s_addc_u32 s9, s9, 0
	s_waitcnt lgkmcnt(0)
	v_mul_hi_u32 v1, s13, v0
	v_add_u32_e32 v1, v0, v1
	v_lshrrev_b32_e32 v1, s11, v1
	s_add_u32 s2, s2, 4
	v_mul_lo_u32 v2, v1, s12
	s_addc_u32 s3, s3, 0
	s_add_i32 s10, s10, -1
	v_sub_u32_e32 v2, v0, v2
	s_cmp_lg_u32 s10, 0
	v_mov_b32_e32 v0, v1
	v_mad_u64_u32 v[6:7], s[12:13], v2, s14, v[6:7]
	s_cbranch_scc1 .LBB7_472
.LBB7_473:
	s_cbranch_execnz .LBB7_476
.LBB7_474:
	s_load_dwordx4 s[8:11], s[4:5], 0x4
	s_load_dword s2, s[4:5], 0xc4
	s_cmp_lt_u32 s33, 2
	s_waitcnt lgkmcnt(0)
	v_mul_hi_u32 v0, s9, v11
	v_add_u32_e32 v0, v11, v0
	v_lshrrev_b32_e32 v0, s10, v0
	v_mul_lo_u32 v1, v0, s8
	v_sub_u32_e32 v1, v11, v1
	v_mul_lo_u32 v6, v1, s2
	s_cbranch_scc1 .LBB7_476
; %bb.475:
	s_load_dwordx4 s[8:11], s[4:5], 0x10
	s_load_dword s2, s[4:5], 0xc8
	s_waitcnt lgkmcnt(0)
	v_mul_hi_u32 v1, s9, v0
	v_add_u32_e32 v1, v0, v1
	v_lshrrev_b32_e32 v1, s10, v1
	v_mul_lo_u32 v1, v1, s8
	v_sub_u32_e32 v0, v0, v1
	v_mad_u64_u32 v[6:7], s[2:3], v0, s2, v[6:7]
.LBB7_476:
	s_and_b64 vcc, exec, s[0:1]
	v_add_u32_e32 v0, 0x80, v11
	s_cbranch_vccnz .LBB7_482
; %bb.477:
	s_mov_b32 s28, 0
	s_cmp_eq_u32 s33, 0
	v_mov_b32_e32 v4, 0
	s_cbranch_scc1 .LBB7_486
; %bb.478:
	s_min_u32 s29, s80, 15
	s_add_i32 s29, s29, 1
	s_cmp_eq_u32 s80, 2
	v_mov_b32_e32 v4, 0
	s_cbranch_scc1 .LBB7_483
; %bb.479:
	s_add_u32 s2, s4, 0xc4
	s_addc_u32 s3, s5, 0
	s_and_b32 s28, s29, 28
	s_mov_b32 s30, 0
	v_mov_b32_e32 v4, 0
	s_mov_b64 s[26:27], s[4:5]
	v_mov_b32_e32 v1, v0
.LBB7_480:                              ; =>This Inner Loop Header: Depth=1
	s_load_dwordx8 s[8:15], s[26:27], 0x4
	s_load_dwordx4 s[16:19], s[26:27], 0x24
	s_load_dwordx4 s[20:23], s[2:3], 0x0
	s_add_u32 s26, s26, 48
	s_addc_u32 s27, s27, 0
	s_waitcnt lgkmcnt(0)
	v_mul_hi_u32 v2, s9, v1
	v_add_u32_e32 v2, v1, v2
	v_lshrrev_b32_e32 v2, s10, v2
	v_mul_lo_u32 v3, v2, s8
	v_mul_hi_u32 v5, s12, v2
	v_sub_u32_e32 v1, v1, v3
	v_add_u32_e32 v3, v2, v5
	v_lshrrev_b32_e32 v3, s13, v3
	v_mul_lo_u32 v5, v3, s11
	v_mul_hi_u32 v7, s15, v3
	v_sub_u32_e32 v2, v2, v5
	v_add_u32_e32 v5, v3, v7
	v_mul_lo_u32 v1, v1, s20
	v_mul_lo_u32 v2, v2, s21
	v_lshrrev_b32_e32 v5, s16, v5
	v_add3_u32 v2, v1, v4, v2
	v_mul_lo_u32 v1, v5, s14
	v_mul_hi_u32 v4, s18, v5
	v_sub_u32_e32 v1, v3, v1
	v_add_u32_e32 v3, v5, v4
	v_mul_lo_u32 v4, v1, s22
	v_lshrrev_b32_e32 v1, s19, v3
	s_add_i32 s30, s30, 4
	v_mul_lo_u32 v3, v1, s17
	s_add_u32 s2, s2, 16
	v_sub_u32_e32 v3, v5, v3
	s_addc_u32 s3, s3, 0
	v_mul_lo_u32 v3, v3, s23
	s_cmp_lg_u32 s28, s30
	v_add3_u32 v4, v4, v2, v3
	s_cbranch_scc1 .LBB7_480
; %bb.481:
	s_and_b32 s10, s29, 3
	s_cmp_eq_u32 s10, 0
	s_cbranch_scc0 .LBB7_484
	s_branch .LBB7_486
.LBB7_482:
                                        ; implicit-def: $vgpr4
	s_branch .LBB7_487
.LBB7_483:
	v_mov_b32_e32 v1, v0
	s_and_b32 s10, s29, 3
	s_cmp_eq_u32 s10, 0
	s_cbranch_scc1 .LBB7_486
.LBB7_484:
	s_lshl_b32 s2, s28, 2
	s_add_u32 s2, s2, s4
	s_addc_u32 s3, 0, s5
	s_add_u32 s2, s2, 0xc4
	s_addc_u32 s3, s3, 0
	s_mul_i32 s8, s28, 12
	s_add_u32 s8, s4, s8
	s_addc_u32 s9, 0, s5
.LBB7_485:                              ; =>This Inner Loop Header: Depth=1
	s_load_dwordx2 s[12:13], s[8:9], 0x4
	s_load_dword s11, s[8:9], 0xc
	s_load_dword s14, s[2:3], 0x0
	s_add_u32 s8, s8, 12
	s_addc_u32 s9, s9, 0
	s_waitcnt lgkmcnt(0)
	v_mul_hi_u32 v2, s13, v1
	v_add_u32_e32 v2, v1, v2
	v_lshrrev_b32_e32 v2, s11, v2
	s_add_u32 s2, s2, 4
	v_mul_lo_u32 v3, v2, s12
	s_addc_u32 s3, s3, 0
	s_add_i32 s10, s10, -1
	v_sub_u32_e32 v3, v1, v3
	s_cmp_lg_u32 s10, 0
	v_mov_b32_e32 v1, v2
	v_mad_u64_u32 v[4:5], s[12:13], v3, s14, v[4:5]
	s_cbranch_scc1 .LBB7_485
.LBB7_486:
	s_cbranch_execnz .LBB7_489
.LBB7_487:
	s_load_dwordx4 s[8:11], s[4:5], 0x4
	s_load_dword s2, s[4:5], 0xc4
	s_cmp_lt_u32 s33, 2
	s_waitcnt lgkmcnt(0)
	v_mul_hi_u32 v1, s9, v0
	v_add_u32_e32 v1, v0, v1
	v_lshrrev_b32_e32 v1, s10, v1
	v_mul_lo_u32 v2, v1, s8
	v_sub_u32_e32 v0, v0, v2
	v_mul_lo_u32 v4, v0, s2
	s_cbranch_scc1 .LBB7_489
; %bb.488:
	s_load_dwordx4 s[8:11], s[4:5], 0x10
	s_load_dword s2, s[4:5], 0xc8
	s_waitcnt lgkmcnt(0)
	v_mul_hi_u32 v0, s9, v1
	v_add_u32_e32 v0, v1, v0
	v_lshrrev_b32_e32 v0, s10, v0
	v_mul_lo_u32 v0, v0, s8
	v_sub_u32_e32 v0, v1, v0
	v_mad_u64_u32 v[4:5], s[2:3], v0, s2, v[4:5]
.LBB7_489:
	s_and_b64 vcc, exec, s[0:1]
	v_add_u32_e32 v0, 0x100, v11
	s_cbranch_vccnz .LBB7_495
; %bb.490:
	s_mov_b32 s28, 0
	s_cmp_eq_u32 s33, 0
	v_mov_b32_e32 v2, 0
	s_cbranch_scc1 .LBB7_499
; %bb.491:
	s_min_u32 s29, s80, 15
	s_add_i32 s29, s29, 1
	s_cmp_eq_u32 s80, 2
	v_mov_b32_e32 v2, 0
	s_cbranch_scc1 .LBB7_496
; %bb.492:
	s_add_u32 s2, s4, 0xc4
	s_addc_u32 s3, s5, 0
	s_and_b32 s28, s29, 28
	s_mov_b32 s30, 0
	v_mov_b32_e32 v2, 0
	s_mov_b64 s[26:27], s[4:5]
	v_mov_b32_e32 v1, v0
.LBB7_493:                              ; =>This Inner Loop Header: Depth=1
	s_load_dwordx8 s[8:15], s[26:27], 0x4
	s_load_dwordx4 s[16:19], s[26:27], 0x24
	s_load_dwordx4 s[20:23], s[2:3], 0x0
	s_add_u32 s26, s26, 48
	s_addc_u32 s27, s27, 0
	s_waitcnt lgkmcnt(0)
	v_mul_hi_u32 v3, s9, v1
	v_add_u32_e32 v3, v1, v3
	v_lshrrev_b32_e32 v3, s10, v3
	v_mul_lo_u32 v5, v3, s8
	v_mul_hi_u32 v7, s12, v3
	v_sub_u32_e32 v1, v1, v5
	v_add_u32_e32 v5, v3, v7
	v_lshrrev_b32_e32 v5, s13, v5
	v_mul_lo_u32 v7, v5, s11
	v_mul_hi_u32 v8, s15, v5
	v_sub_u32_e32 v3, v3, v7
	v_add_u32_e32 v7, v5, v8
	v_mul_lo_u32 v1, v1, s20
	v_mul_lo_u32 v3, v3, s21
	v_lshrrev_b32_e32 v7, s16, v7
	v_add3_u32 v2, v1, v2, v3
	v_mul_lo_u32 v1, v7, s14
	v_mul_hi_u32 v3, s18, v7
	v_sub_u32_e32 v1, v5, v1
	v_add_u32_e32 v3, v7, v3
	v_mul_lo_u32 v5, v1, s22
	v_lshrrev_b32_e32 v1, s19, v3
	s_add_i32 s30, s30, 4
	v_mul_lo_u32 v3, v1, s17
	s_add_u32 s2, s2, 16
	v_sub_u32_e32 v3, v7, v3
	s_addc_u32 s3, s3, 0
	v_mul_lo_u32 v3, v3, s23
	s_cmp_lg_u32 s28, s30
	v_add3_u32 v2, v5, v2, v3
	s_cbranch_scc1 .LBB7_493
; %bb.494:
	s_and_b32 s10, s29, 3
	s_cmp_eq_u32 s10, 0
	s_cbranch_scc0 .LBB7_497
	s_branch .LBB7_499
.LBB7_495:
                                        ; implicit-def: $vgpr2
	s_branch .LBB7_500
.LBB7_496:
	v_mov_b32_e32 v1, v0
	s_and_b32 s10, s29, 3
	s_cmp_eq_u32 s10, 0
	s_cbranch_scc1 .LBB7_499
.LBB7_497:
	s_lshl_b32 s2, s28, 2
	s_add_u32 s2, s2, s4
	s_addc_u32 s3, 0, s5
	s_add_u32 s2, s2, 0xc4
	s_addc_u32 s3, s3, 0
	s_mul_i32 s8, s28, 12
	s_add_u32 s8, s4, s8
	s_addc_u32 s9, 0, s5
.LBB7_498:                              ; =>This Inner Loop Header: Depth=1
	s_load_dwordx2 s[12:13], s[8:9], 0x4
	s_load_dword s11, s[8:9], 0xc
	s_load_dword s14, s[2:3], 0x0
	s_add_u32 s8, s8, 12
	s_addc_u32 s9, s9, 0
	s_waitcnt lgkmcnt(0)
	v_mul_hi_u32 v3, s13, v1
	v_add_u32_e32 v3, v1, v3
	v_lshrrev_b32_e32 v3, s11, v3
	s_add_u32 s2, s2, 4
	v_mul_lo_u32 v5, v3, s12
	s_addc_u32 s3, s3, 0
	s_add_i32 s10, s10, -1
	v_sub_u32_e32 v5, v1, v5
	s_cmp_lg_u32 s10, 0
	v_mov_b32_e32 v1, v3
	v_mad_u64_u32 v[2:3], s[12:13], v5, s14, v[2:3]
	s_cbranch_scc1 .LBB7_498
.LBB7_499:
	s_cbranch_execnz .LBB7_502
.LBB7_500:
	s_load_dwordx4 s[8:11], s[4:5], 0x4
	s_load_dword s2, s[4:5], 0xc4
	s_cmp_lt_u32 s33, 2
	s_waitcnt lgkmcnt(0)
	v_mul_hi_u32 v1, s9, v0
	v_add_u32_e32 v1, v0, v1
	v_lshrrev_b32_e32 v1, s10, v1
	v_mul_lo_u32 v2, v1, s8
	v_sub_u32_e32 v0, v0, v2
	v_mul_lo_u32 v2, v0, s2
	s_cbranch_scc1 .LBB7_502
; %bb.501:
	s_load_dwordx4 s[8:11], s[4:5], 0x10
	s_load_dword s2, s[4:5], 0xc8
	s_waitcnt lgkmcnt(0)
	v_mul_hi_u32 v0, s9, v1
	v_add_u32_e32 v0, v1, v0
	v_lshrrev_b32_e32 v0, s10, v0
	v_mul_lo_u32 v0, v0, s8
	v_sub_u32_e32 v0, v1, v0
	v_mad_u64_u32 v[2:3], s[2:3], v0, s2, v[2:3]
.LBB7_502:
	s_and_b64 vcc, exec, s[0:1]
	s_cbranch_vccnz .LBB7_508
; %bb.503:
	s_mov_b32 s26, 0
	s_cmp_eq_u32 s33, 0
	v_mov_b32_e32 v0, 0
	s_cbranch_scc1 .LBB7_512
; %bb.504:
	s_min_u32 s27, s80, 15
	s_add_i32 s27, s27, 1
	s_cmp_eq_u32 s80, 2
	v_mov_b32_e32 v0, 0
	s_cbranch_scc1 .LBB7_509
; %bb.505:
	s_add_u32 s20, s4, 0xc4
	s_addc_u32 s21, s5, 0
	s_and_b32 s26, s27, 28
	s_mov_b32 s28, 0
	v_mov_b32_e32 v0, 0
	s_mov_b64 s[22:23], s[4:5]
	v_mov_b32_e32 v3, v9
.LBB7_506:                              ; =>This Inner Loop Header: Depth=1
	s_load_dwordx8 s[8:15], s[22:23], 0x4
	s_load_dwordx4 s[0:3], s[22:23], 0x24
	s_load_dwordx4 s[16:19], s[20:21], 0x0
	s_add_u32 s22, s22, 48
	s_addc_u32 s23, s23, 0
	s_waitcnt lgkmcnt(0)
	v_mul_hi_u32 v1, s9, v3
	v_add_u32_e32 v1, v3, v1
	v_lshrrev_b32_e32 v1, s10, v1
	v_mul_lo_u32 v5, v1, s8
	v_mul_hi_u32 v7, s12, v1
	v_sub_u32_e32 v3, v3, v5
	v_add_u32_e32 v5, v1, v7
	v_lshrrev_b32_e32 v5, s13, v5
	v_mul_lo_u32 v7, v5, s11
	v_mul_hi_u32 v8, s15, v5
	v_sub_u32_e32 v1, v1, v7
	v_add_u32_e32 v7, v5, v8
	v_mul_lo_u32 v3, v3, s16
	v_mul_lo_u32 v1, v1, s17
	v_lshrrev_b32_e32 v7, s0, v7
	v_add3_u32 v0, v3, v0, v1
	v_mul_hi_u32 v3, s2, v7
	v_add_u32_e32 v3, v7, v3
	v_mul_lo_u32 v1, v7, s14
	v_lshrrev_b32_e32 v3, s3, v3
	s_add_i32 s28, s28, 4
	v_sub_u32_e32 v1, v5, v1
	v_mul_lo_u32 v5, v3, s1
	s_add_u32 s20, s20, 16
	v_sub_u32_e32 v5, v7, v5
	s_addc_u32 s21, s21, 0
	v_mul_lo_u32 v1, v1, s18
	v_mul_lo_u32 v5, v5, s19
	s_cmp_lg_u32 s26, s28
	v_add3_u32 v0, v1, v0, v5
	s_cbranch_scc1 .LBB7_506
; %bb.507:
	s_and_b32 s8, s27, 3
	s_cmp_eq_u32 s8, 0
	s_cbranch_scc0 .LBB7_510
	s_branch .LBB7_512
.LBB7_508:
                                        ; implicit-def: $vgpr0
	s_branch .LBB7_513
.LBB7_509:
	v_mov_b32_e32 v3, v9
	s_and_b32 s8, s27, 3
	s_cmp_eq_u32 s8, 0
	s_cbranch_scc1 .LBB7_512
.LBB7_510:
	s_lshl_b32 s0, s26, 2
	s_add_u32 s0, s0, s4
	s_addc_u32 s1, 0, s5
	s_add_u32 s0, s0, 0xc4
	s_addc_u32 s1, s1, 0
	s_mul_i32 s2, s26, 12
	s_add_u32 s2, s4, s2
	s_addc_u32 s3, 0, s5
.LBB7_511:                              ; =>This Inner Loop Header: Depth=1
	s_load_dwordx2 s[10:11], s[2:3], 0x4
	s_load_dword s9, s[2:3], 0xc
	s_load_dword s12, s[0:1], 0x0
	s_add_u32 s2, s2, 12
	s_addc_u32 s3, s3, 0
	s_waitcnt lgkmcnt(0)
	v_mul_hi_u32 v1, s11, v3
	v_add_u32_e32 v1, v3, v1
	v_lshrrev_b32_e32 v1, s9, v1
	s_add_u32 s0, s0, 4
	v_mul_lo_u32 v5, v1, s10
	s_addc_u32 s1, s1, 0
	s_add_i32 s8, s8, -1
	v_sub_u32_e32 v5, v3, v5
	s_cmp_lg_u32 s8, 0
	v_mov_b32_e32 v3, v1
	v_mad_u64_u32 v[0:1], s[10:11], v5, s12, v[0:1]
	s_cbranch_scc1 .LBB7_511
.LBB7_512:
	s_cbranch_execnz .LBB7_515
.LBB7_513:
	s_load_dwordx4 s[0:3], s[4:5], 0x4
	s_waitcnt lgkmcnt(0)
	s_load_dword s3, s[4:5], 0xc4
	s_cmp_lt_u32 s33, 2
	v_mul_hi_u32 v0, s1, v9
	v_add_u32_e32 v0, v9, v0
	v_lshrrev_b32_e32 v1, s2, v0
	v_mul_lo_u32 v0, v1, s0
	v_sub_u32_e32 v0, v9, v0
	s_waitcnt lgkmcnt(0)
	v_mul_lo_u32 v0, v0, s3
	s_cbranch_scc1 .LBB7_515
; %bb.514:
	s_load_dwordx4 s[0:3], s[4:5], 0x10
	s_waitcnt lgkmcnt(0)
	s_load_dword s3, s[4:5], 0xc8
	v_mul_hi_u32 v3, s1, v1
	v_add_u32_e32 v3, v1, v3
	v_lshrrev_b32_e32 v3, s2, v3
	v_mul_lo_u32 v3, v3, s0
	v_sub_u32_e32 v1, v1, v3
	s_waitcnt lgkmcnt(0)
	v_mad_u64_u32 v[0:1], s[0:1], v1, s3, v[0:1]
.LBB7_515:
	s_load_dwordx2 s[8:9], s[4:5], 0x108
	s_load_dword s16, s[4:5], 0x110
	s_waitcnt lgkmcnt(0)
	v_mov_b32_e32 v1, s9
	v_add_co_u32_e32 v6, vcc, s8, v6
	v_lshrrev_b16_e64 v8, 8, s16
	v_addc_co_u32_e32 v7, vcc, 0, v1, vcc
	v_cmp_gt_i16_e64 s[0:1], 11, v8
	s_and_b64 vcc, exec, s[0:1]
	s_cbranch_vccnz .LBB7_543
; %bb.516:
	v_cmp_lt_i16_e32 vcc, 25, v8
	s_mov_b64 s[12:13], -1
	s_mov_b64 s[4:5], 0
	s_mov_b64 s[10:11], 0
	;; [unrolled: 1-line block ×3, first 2 shown]
	s_cbranch_vccz .LBB7_553
; %bb.517:
	v_cmp_lt_i16_e32 vcc, 28, v8
	s_cbranch_vccz .LBB7_532
; %bb.518:
	v_cmp_lt_i16_e32 vcc, 43, v8
	;; [unrolled: 3-line block ×3, first 2 shown]
	s_cbranch_vccz .LBB7_522
; %bb.520:
	v_cmp_eq_u16_e32 vcc, 46, v8
	s_mov_b64 s[2:3], -1
	s_mov_b64 s[12:13], 0
	s_cbranch_vccz .LBB7_522
; %bb.521:
	v_cvt_f32_ubyte0_e32 v1, s16
	v_bfe_u32 v3, v1, 16, 1
	v_add_u32_e32 v1, v1, v3
	v_add_u32_e32 v1, 0x7fff, v1
	v_lshrrev_b32_e32 v1, 16, v1
	global_store_dword v[6:7], v1, off
	s_mov_b64 s[2:3], 0
	s_mov_b64 s[10:11], -1
.LBB7_522:
	s_and_b64 vcc, exec, s[12:13]
	s_cbranch_vccz .LBB7_527
; %bb.523:
	v_cmp_eq_u16_e32 vcc, 44, v8
	s_mov_b64 s[2:3], -1
	s_cbranch_vccz .LBB7_527
; %bb.524:
	v_cvt_f32_ubyte0_e32 v1, s16
	v_readfirstlane_b32 s3, v1
	s_lshr_b32 s2, s3, 23
	s_cmpk_eq_i32 s2, 0xff
	v_mov_b32_e32 v1, 0xff
	s_cbranch_scc1 .LBB7_526
; %bb.525:
	s_bitcmp1_b32 s3, 22
	s_cselect_b64 s[10:11], -1, 0
	s_and_b32 s3, s3, 0x3fffff
	s_or_b32 s3, s2, s3
	s_cmp_lg_u32 s3, 0
	s_cselect_b64 s[12:13], -1, 0
	s_and_b64 s[10:11], s[10:11], s[12:13]
	v_cndmask_b32_e64 v1, 0, 1, s[10:11]
	v_add_u32_e32 v1, s2, v1
.LBB7_526:
	s_mov_b64 s[2:3], 0
	s_mov_b64 s[10:11], -1
	global_store_byte v[6:7], v1, off
.LBB7_527:
	s_mov_b64 s[12:13], 0
.LBB7_528:
	s_and_b64 vcc, exec, s[12:13]
	s_cbranch_vccz .LBB7_531
; %bb.529:
	v_cmp_eq_u16_e32 vcc, 29, v8
	s_mov_b64 s[2:3], -1
	s_cbranch_vccz .LBB7_531
; %bb.530:
	s_and_b32 s2, s16, 0xff
	v_mov_b32_e32 v10, s2
	v_mov_b32_e32 v11, 0
	global_store_dwordx2 v[6:7], v[10:11], off
	s_mov_b64 s[2:3], 0
	s_mov_b64 s[10:11], -1
.LBB7_531:
	s_mov_b64 s[12:13], 0
.LBB7_532:
	s_and_b64 vcc, exec, s[12:13]
	s_cbranch_vccz .LBB7_552
; %bb.533:
	v_cmp_gt_i16_e32 vcc, 27, v8
	s_mov_b64 s[10:11], -1
	s_cbranch_vccnz .LBB7_539
; %bb.534:
	v_cmp_lt_i16_e32 vcc, 27, v8
	s_cbranch_vccz .LBB7_536
; %bb.535:
	s_and_b32 s10, s16, 0xff
	v_mov_b32_e32 v1, s10
	s_mov_b64 s[10:11], 0
	global_store_dword v[6:7], v1, off
.LBB7_536:
	s_andn2_b64 vcc, exec, s[10:11]
	s_cbranch_vccnz .LBB7_538
; %bb.537:
	v_mov_b32_e32 v1, 0xff
	v_and_b32_e32 v1, s16, v1
	global_store_short v[6:7], v1, off
.LBB7_538:
	s_mov_b64 s[10:11], 0
.LBB7_539:
	s_andn2_b64 vcc, exec, s[10:11]
	s_cbranch_vccnz .LBB7_551
; %bb.540:
	v_cvt_f32_ubyte0_e32 v1, s16
	s_mov_b32 s11, 0x437fffff
	v_cmp_lt_u32_e32 vcc, s11, v1
	v_readfirstlane_b32 s10, v1
	v_mov_b32_e32 v5, 0x80
	s_cbranch_vccnz .LBB7_550
; %bb.541:
	s_cmp_gt_u32 s10, 0x3bffffff
	s_cbranch_scc0 .LBB7_545
; %bb.542:
	s_bfe_u32 s11, s10, 0x10014
	s_add_i32 s10, s10, s11
	s_add_i32 s10, s10, 0x487ffff
	s_lshr_b32 s14, s10, 20
	s_mov_b64 s[12:13], 0
	s_mov_b64 s[10:11], -1
	s_branch .LBB7_546
.LBB7_543:
	s_mov_b64 s[10:11], 0
	s_mov_b64 s[2:3], s[6:7]
	s_cbranch_execnz .LBB7_603
.LBB7_544:
	s_andn2_b64 vcc, exec, s[10:11]
	s_cbranch_vccz .LBB7_641
	s_branch .LBB7_939
.LBB7_545:
	s_mov_b64 s[12:13], -1
	s_mov_b64 s[10:11], 0
                                        ; implicit-def: $sgpr14
.LBB7_546:
	s_andn2_b64 vcc, exec, s[12:13]
	v_mov_b32_e32 v3, s14
                                        ; implicit-def: $sgpr12
	s_cbranch_vccnz .LBB7_548
; %bb.547:
	v_add_f32_e32 v1, 0x46000000, v1
	v_and_b32_e32 v3, 0xff, v1
	s_mov_b32 s12, 0
	v_cmp_ne_u32_e64 s[10:11], 0, v3
.LBB7_548:
	s_andn2_b64 vcc, exec, s[10:11]
	v_mov_b32_e32 v5, s12
	s_cbranch_vccnz .LBB7_550
; %bb.549:
	v_mov_b32_e32 v5, v3
.LBB7_550:
	global_store_byte v[6:7], v5, off
.LBB7_551:
	s_mov_b64 s[10:11], -1
.LBB7_552:
	s_mov_b64 s[12:13], 0
.LBB7_553:
	s_and_b64 vcc, exec, s[12:13]
	s_cbranch_vccz .LBB7_599
; %bb.554:
	v_cmp_lt_i16_e32 vcc, 22, v8
	s_mov_b64 s[4:5], -1
	s_cbranch_vccz .LBB7_592
; %bb.555:
	v_cmp_gt_i16_e32 vcc, 24, v8
	s_cbranch_vccnz .LBB7_579
; %bb.556:
	v_cmp_lt_i16_e32 vcc, 24, v8
	s_cbranch_vccz .LBB7_566
; %bb.557:
	v_cvt_f32_ubyte0_e32 v1, s16
	s_mov_b32 s5, 0x477fffff
	v_cmp_lt_u32_e32 vcc, s5, v1
	v_readfirstlane_b32 s4, v1
	v_mov_b32_e32 v5, 0x80
	s_cbranch_vccnz .LBB7_565
; %bb.558:
	s_cmp_gt_u32 s4, 0x37ffffff
	s_cbranch_scc0 .LBB7_560
; %bb.559:
	s_bfe_u32 s5, s4, 0x10015
	s_add_i32 s4, s4, s5
	s_add_i32 s4, s4, 0x88fffff
	s_lshr_b32 s12, s4, 21
	s_mov_b64 s[10:11], 0
	s_mov_b64 s[4:5], -1
	s_branch .LBB7_561
.LBB7_560:
	s_mov_b64 s[10:11], -1
	s_mov_b64 s[4:5], 0
                                        ; implicit-def: $sgpr12
.LBB7_561:
	s_andn2_b64 vcc, exec, s[10:11]
	v_mov_b32_e32 v3, s12
                                        ; implicit-def: $sgpr10
	s_cbranch_vccnz .LBB7_563
; %bb.562:
	v_add_f32_e32 v1, 0x42800000, v1
	v_and_b32_e32 v3, 0xff, v1
	s_mov_b32 s10, 0
	v_cmp_ne_u32_e64 s[4:5], 0, v3
.LBB7_563:
	s_andn2_b64 vcc, exec, s[4:5]
	v_mov_b32_e32 v5, s10
	s_cbranch_vccnz .LBB7_565
; %bb.564:
	v_mov_b32_e32 v5, v3
.LBB7_565:
	s_mov_b64 s[4:5], 0
	global_store_byte v[6:7], v5, off
.LBB7_566:
	s_and_b64 vcc, exec, s[4:5]
	s_cbranch_vccz .LBB7_578
; %bb.567:
	v_cvt_f32_ubyte0_e32 v1, s16
	s_mov_b32 s4, 0x43f00000
	v_cmp_gt_u32_e32 vcc, s4, v1
	v_readfirstlane_b32 s10, v1
	s_cbranch_vccz .LBB7_570
; %bb.568:
	s_cmp_gt_u32 s10, 0x3c7fffff
	s_cbranch_scc0 .LBB7_571
; %bb.569:
	s_bfe_u32 s4, s10, 0x10014
	s_add_i32 s4, s10, s4
	s_add_i32 s4, s4, 0x407ffff
	s_lshr_b32 s5, s4, 20
	s_and_b32 s4, s4, 0xff00000
	s_cmp_lg_u32 s4, 0x7f00000
	s_cselect_b32 s11, s5, 0x7e
	s_mov_b64 s[4:5], 0
	s_branch .LBB7_572
.LBB7_570:
	s_mov_b64 s[4:5], -1
                                        ; implicit-def: $vgpr3
	s_branch .LBB7_575
.LBB7_571:
	s_mov_b64 s[4:5], -1
                                        ; implicit-def: $sgpr11
.LBB7_572:
	s_andn2_b64 vcc, exec, s[4:5]
	v_mov_b32_e32 v3, s11
	s_cbranch_vccnz .LBB7_574
; %bb.573:
	v_add_f32_e32 v3, 0x46800000, v1
.LBB7_574:
	s_mov_b64 s[4:5], 0
.LBB7_575:
	s_andn2_b64 vcc, exec, s[4:5]
	s_cbranch_vccnz .LBB7_577
; %bb.576:
	s_cmp_gt_u32 s10, 0x7f800000
	s_movk_i32 s4, 0x7f
	s_cselect_b32 s4, s4, 0x7e
	v_mov_b32_e32 v3, s4
.LBB7_577:
	global_store_byte v[6:7], v3, off
.LBB7_578:
	s_mov_b64 s[4:5], 0
.LBB7_579:
	s_andn2_b64 vcc, exec, s[4:5]
	s_cbranch_vccnz .LBB7_591
; %bb.580:
	v_cvt_f32_ubyte0_e32 v1, s16
	s_mov_b32 s4, 0x47800000
	v_cmp_gt_u32_e32 vcc, s4, v1
	v_readfirstlane_b32 s10, v1
	s_cbranch_vccz .LBB7_583
; %bb.581:
	s_cmp_gt_u32 s10, 0x387fffff
	s_cbranch_scc0 .LBB7_584
; %bb.582:
	s_bfe_u32 s4, s10, 0x10015
	s_add_i32 s4, s10, s4
	s_add_i32 s4, s4, 0x80fffff
	s_lshr_b32 s11, s4, 21
	s_mov_b64 s[4:5], 0
	s_branch .LBB7_585
.LBB7_583:
	s_mov_b64 s[4:5], -1
                                        ; implicit-def: $vgpr3
	s_branch .LBB7_588
.LBB7_584:
	s_mov_b64 s[4:5], -1
                                        ; implicit-def: $sgpr11
.LBB7_585:
	s_andn2_b64 vcc, exec, s[4:5]
	v_mov_b32_e32 v3, s11
	s_cbranch_vccnz .LBB7_587
; %bb.586:
	v_add_f32_e32 v3, 0x43000000, v1
.LBB7_587:
	s_mov_b64 s[4:5], 0
.LBB7_588:
	s_andn2_b64 vcc, exec, s[4:5]
	s_cbranch_vccnz .LBB7_590
; %bb.589:
	s_cmp_gt_u32 s10, 0x7f800000
	s_movk_i32 s4, 0x7f
	s_cselect_b32 s4, s4, 0x7c
	v_mov_b32_e32 v3, s4
.LBB7_590:
	global_store_byte v[6:7], v3, off
.LBB7_591:
	s_mov_b64 s[4:5], 0
	s_mov_b64 s[10:11], -1
.LBB7_592:
	s_andn2_b64 vcc, exec, s[4:5]
	s_mov_b64 s[4:5], 0
	s_cbranch_vccnz .LBB7_599
; %bb.593:
	v_cmp_lt_i16_e32 vcc, 14, v8
	s_mov_b64 s[12:13], -1
	s_cbranch_vccz .LBB7_597
; %bb.594:
	v_cmp_eq_u16_e32 vcc, 15, v8
	s_mov_b64 s[2:3], -1
	s_cbranch_vccz .LBB7_596
; %bb.595:
	v_cvt_f32_ubyte0_e32 v1, s16
	v_bfe_u32 v3, v1, 16, 1
	v_add_u32_e32 v1, v1, v3
	v_add_u32_e32 v1, 0x7fff, v1
	global_store_short_d16_hi v[6:7], v1, off
	s_mov_b64 s[2:3], 0
	s_mov_b64 s[10:11], -1
.LBB7_596:
	s_mov_b64 s[12:13], 0
.LBB7_597:
	s_and_b64 vcc, exec, s[12:13]
	s_cbranch_vccz .LBB7_599
; %bb.598:
	v_cmp_ne_u16_e64 s[2:3], 11, v8
	s_mov_b64 s[4:5], -1
.LBB7_599:
	s_and_b64 vcc, exec, s[2:3]
	s_mov_b64 s[2:3], s[6:7]
	s_cbranch_vccnz .LBB7_671
; %bb.600:
	s_andn2_b64 vcc, exec, s[4:5]
	s_cbranch_vccnz .LBB7_602
.LBB7_601:
	v_mov_b32_e32 v1, 0
	v_cmp_ne_u16_sdwa s[4:5], s16, v1 src0_sel:BYTE_0 src1_sel:DWORD
	v_cndmask_b32_e64 v1, 0, 1, s[4:5]
	global_store_byte v[6:7], v1, off
	s_mov_b64 s[10:11], -1
.LBB7_602:
	s_branch .LBB7_544
.LBB7_603:
	v_cmp_gt_i16_e32 vcc, 5, v8
	s_mov_b64 s[4:5], -1
	s_cbranch_vccnz .LBB7_624
; %bb.604:
	v_cmp_gt_i16_e32 vcc, 8, v8
	s_cbranch_vccnz .LBB7_614
; %bb.605:
	v_cmp_gt_i16_e32 vcc, 9, v8
	s_cbranch_vccnz .LBB7_611
; %bb.606:
	v_cmp_lt_i16_e32 vcc, 9, v8
	s_cbranch_vccz .LBB7_608
; %bb.607:
	s_mov_b32 s4, 0xffff
	v_mov_b32_e32 v1, s16
	v_and_b32_sdwa v1, s4, v1 dst_sel:DWORD dst_unused:UNUSED_PAD src0_sel:DWORD src1_sel:BYTE_0
	v_mov_b32_e32 v12, 0
	v_cvt_f64_u32_e32 v[10:11], v1
	v_mov_b32_e32 v13, v12
	global_store_dwordx4 v[6:7], v[10:13], off
	s_mov_b64 s[4:5], 0
.LBB7_608:
	s_andn2_b64 vcc, exec, s[4:5]
	s_cbranch_vccnz .LBB7_610
; %bb.609:
	v_cvt_f32_ubyte0_e32 v10, s16
	v_mov_b32_e32 v11, 0
	global_store_dwordx2 v[6:7], v[10:11], off
.LBB7_610:
	s_mov_b64 s[4:5], 0
.LBB7_611:
	s_andn2_b64 vcc, exec, s[4:5]
	s_cbranch_vccnz .LBB7_613
; %bb.612:
	v_cvt_f16_u16_sdwa v1, s16 dst_sel:DWORD dst_unused:UNUSED_PAD src0_sel:BYTE_0
	global_store_dword v[6:7], v1, off
.LBB7_613:
	s_mov_b64 s[4:5], 0
.LBB7_614:
	s_andn2_b64 vcc, exec, s[4:5]
	s_cbranch_vccnz .LBB7_623
; %bb.615:
	v_cmp_gt_i16_e32 vcc, 6, v8
	s_mov_b64 s[4:5], -1
	s_cbranch_vccnz .LBB7_621
; %bb.616:
	v_cmp_lt_i16_e32 vcc, 6, v8
	s_cbranch_vccz .LBB7_618
; %bb.617:
	s_mov_b32 s4, 0xffff
	v_mov_b32_e32 v1, s16
	v_and_b32_sdwa v1, s4, v1 dst_sel:DWORD dst_unused:UNUSED_PAD src0_sel:DWORD src1_sel:BYTE_0
	v_cvt_f64_u32_e32 v[10:11], v1
	global_store_dwordx2 v[6:7], v[10:11], off
	s_mov_b64 s[4:5], 0
.LBB7_618:
	s_andn2_b64 vcc, exec, s[4:5]
	s_cbranch_vccnz .LBB7_620
; %bb.619:
	v_cvt_f32_ubyte0_e32 v1, s16
	global_store_dword v[6:7], v1, off
.LBB7_620:
	s_mov_b64 s[4:5], 0
.LBB7_621:
	s_andn2_b64 vcc, exec, s[4:5]
	s_cbranch_vccnz .LBB7_623
; %bb.622:
	v_cvt_f16_u16_sdwa v1, s16 dst_sel:DWORD dst_unused:UNUSED_PAD src0_sel:BYTE_0
	global_store_short v[6:7], v1, off
.LBB7_623:
	s_mov_b64 s[4:5], 0
.LBB7_624:
	s_andn2_b64 vcc, exec, s[4:5]
	s_cbranch_vccnz .LBB7_640
; %bb.625:
	v_cmp_gt_i16_e32 vcc, 2, v8
	s_mov_b64 s[4:5], -1
	s_cbranch_vccnz .LBB7_635
; %bb.626:
	v_cmp_gt_i16_e32 vcc, 3, v8
	s_cbranch_vccnz .LBB7_632
; %bb.627:
	v_cmp_lt_i16_e32 vcc, 3, v8
	s_cbranch_vccz .LBB7_629
; %bb.628:
	s_and_b32 s4, s16, 0xff
	v_mov_b32_e32 v10, s4
	v_mov_b32_e32 v11, 0
	global_store_dwordx2 v[6:7], v[10:11], off
	s_mov_b64 s[4:5], 0
.LBB7_629:
	s_andn2_b64 vcc, exec, s[4:5]
	s_cbranch_vccnz .LBB7_631
; %bb.630:
	s_and_b32 s4, s16, 0xff
	v_mov_b32_e32 v1, s4
	global_store_dword v[6:7], v1, off
.LBB7_631:
	s_mov_b64 s[4:5], 0
.LBB7_632:
	s_andn2_b64 vcc, exec, s[4:5]
	s_cbranch_vccnz .LBB7_634
; %bb.633:
	v_mov_b32_e32 v1, 0xff
	v_and_b32_e32 v1, s16, v1
	global_store_short v[6:7], v1, off
.LBB7_634:
	s_mov_b64 s[4:5], 0
.LBB7_635:
	s_andn2_b64 vcc, exec, s[4:5]
	s_cbranch_vccnz .LBB7_640
; %bb.636:
	v_cmp_lt_i16_e32 vcc, 0, v8
	s_mov_b64 s[4:5], -1
	s_cbranch_vccz .LBB7_638
; %bb.637:
	v_mov_b32_e32 v1, s16
	global_store_byte v[6:7], v1, off
	s_mov_b64 s[4:5], 0
.LBB7_638:
	s_andn2_b64 vcc, exec, s[4:5]
	s_cbranch_vccnz .LBB7_640
; %bb.639:
	v_mov_b32_e32 v1, s16
	global_store_byte v[6:7], v1, off
.LBB7_640:
.LBB7_641:
	v_mov_b32_e32 v1, s9
	v_add_co_u32_e32 v4, vcc, s8, v4
	v_addc_co_u32_e32 v5, vcc, 0, v1, vcc
	s_and_b64 vcc, exec, s[0:1]
	s_cbranch_vccnz .LBB7_669
; %bb.642:
	v_cmp_lt_i16_e32 vcc, 25, v8
	s_mov_b64 s[14:15], -1
	s_mov_b64 s[10:11], 0
	s_mov_b64 s[12:13], 0
	;; [unrolled: 1-line block ×3, first 2 shown]
	s_cbranch_vccz .LBB7_680
; %bb.643:
	v_cmp_lt_i16_e32 vcc, 28, v8
	s_cbranch_vccz .LBB7_658
; %bb.644:
	v_cmp_lt_i16_e32 vcc, 43, v8
	s_cbranch_vccz .LBB7_654
; %bb.645:
	v_cmp_lt_i16_e32 vcc, 45, v8
	s_cbranch_vccz .LBB7_648
; %bb.646:
	v_cmp_eq_u16_e32 vcc, 46, v8
	s_mov_b64 s[4:5], -1
	s_mov_b64 s[14:15], 0
	s_cbranch_vccz .LBB7_648
; %bb.647:
	v_cvt_f32_ubyte0_e32 v1, s16
	v_bfe_u32 v3, v1, 16, 1
	v_add_u32_e32 v1, v1, v3
	v_add_u32_e32 v1, 0x7fff, v1
	v_lshrrev_b32_e32 v1, 16, v1
	global_store_dword v[4:5], v1, off
	s_mov_b64 s[4:5], 0
	s_mov_b64 s[12:13], -1
.LBB7_648:
	s_and_b64 vcc, exec, s[14:15]
	s_cbranch_vccz .LBB7_653
; %bb.649:
	v_cmp_eq_u16_e32 vcc, 44, v8
	s_mov_b64 s[4:5], -1
	s_cbranch_vccz .LBB7_653
; %bb.650:
	v_cvt_f32_ubyte0_e32 v1, s16
	v_readfirstlane_b32 s5, v1
	s_lshr_b32 s4, s5, 23
	s_cmpk_eq_i32 s4, 0xff
	v_mov_b32_e32 v1, 0xff
	s_cbranch_scc1 .LBB7_652
; %bb.651:
	s_bitcmp1_b32 s5, 22
	s_cselect_b64 s[12:13], -1, 0
	s_and_b32 s5, s5, 0x3fffff
	s_or_b32 s5, s4, s5
	s_cmp_lg_u32 s5, 0
	s_cselect_b64 s[14:15], -1, 0
	s_and_b64 s[12:13], s[12:13], s[14:15]
	v_cndmask_b32_e64 v1, 0, 1, s[12:13]
	v_add_u32_e32 v1, s4, v1
.LBB7_652:
	s_mov_b64 s[4:5], 0
	s_mov_b64 s[12:13], -1
	global_store_byte v[4:5], v1, off
.LBB7_653:
	s_mov_b64 s[14:15], 0
.LBB7_654:
	s_and_b64 vcc, exec, s[14:15]
	s_cbranch_vccz .LBB7_657
; %bb.655:
	v_cmp_eq_u16_e32 vcc, 29, v8
	s_mov_b64 s[4:5], -1
	s_cbranch_vccz .LBB7_657
; %bb.656:
	s_and_b32 s4, s16, 0xff
	v_mov_b32_e32 v6, s4
	v_mov_b32_e32 v7, 0
	global_store_dwordx2 v[4:5], v[6:7], off
	s_mov_b64 s[4:5], 0
	s_mov_b64 s[12:13], -1
.LBB7_657:
	s_mov_b64 s[14:15], 0
.LBB7_658:
	s_and_b64 vcc, exec, s[14:15]
	s_cbranch_vccz .LBB7_679
; %bb.659:
	v_cmp_gt_i16_e32 vcc, 27, v8
	s_mov_b64 s[12:13], -1
	s_cbranch_vccnz .LBB7_665
; %bb.660:
	v_cmp_lt_i16_e32 vcc, 27, v8
	s_cbranch_vccz .LBB7_662
; %bb.661:
	s_and_b32 s12, s16, 0xff
	v_mov_b32_e32 v1, s12
	s_mov_b64 s[12:13], 0
	global_store_dword v[4:5], v1, off
.LBB7_662:
	s_andn2_b64 vcc, exec, s[12:13]
	s_cbranch_vccnz .LBB7_664
; %bb.663:
	v_mov_b32_e32 v1, 0xff
	v_and_b32_e32 v1, s16, v1
	global_store_short v[4:5], v1, off
.LBB7_664:
	s_mov_b64 s[12:13], 0
.LBB7_665:
	s_andn2_b64 vcc, exec, s[12:13]
	s_cbranch_vccnz .LBB7_678
; %bb.666:
	v_cvt_f32_ubyte0_e32 v1, s16
	s_mov_b32 s13, 0x437fffff
	v_cmp_lt_u32_e32 vcc, s13, v1
	v_readfirstlane_b32 s12, v1
	v_mov_b32_e32 v6, 0x80
	s_cbranch_vccnz .LBB7_677
; %bb.667:
	s_cmp_gt_u32 s12, 0x3bffffff
	s_cbranch_scc0 .LBB7_672
; %bb.668:
	s_bfe_u32 s13, s12, 0x10014
	s_add_i32 s12, s12, s13
	s_add_i32 s12, s12, 0x487ffff
	s_lshr_b32 s17, s12, 20
	s_mov_b64 s[14:15], 0
	s_mov_b64 s[12:13], -1
	s_branch .LBB7_673
.LBB7_669:
	s_mov_b64 s[12:13], 0
	s_cbranch_execnz .LBB7_730
.LBB7_670:
	s_andn2_b64 vcc, exec, s[12:13]
	s_cbranch_vccz .LBB7_768
	s_branch .LBB7_939
.LBB7_671:
	s_or_b64 s[2:3], s[6:7], exec
	s_trap 2
	s_cbranch_execz .LBB7_601
	s_branch .LBB7_602
.LBB7_672:
	s_mov_b64 s[14:15], -1
	s_mov_b64 s[12:13], 0
                                        ; implicit-def: $sgpr17
.LBB7_673:
	s_andn2_b64 vcc, exec, s[14:15]
	v_mov_b32_e32 v3, s17
                                        ; implicit-def: $sgpr14
	s_cbranch_vccnz .LBB7_675
; %bb.674:
	v_add_f32_e32 v1, 0x46000000, v1
	v_and_b32_e32 v3, 0xff, v1
	s_mov_b32 s14, 0
	v_cmp_ne_u32_e64 s[12:13], 0, v3
.LBB7_675:
	s_andn2_b64 vcc, exec, s[12:13]
	v_mov_b32_e32 v6, s14
	s_cbranch_vccnz .LBB7_677
; %bb.676:
	v_mov_b32_e32 v6, v3
.LBB7_677:
	global_store_byte v[4:5], v6, off
.LBB7_678:
	s_mov_b64 s[12:13], -1
.LBB7_679:
	s_mov_b64 s[14:15], 0
.LBB7_680:
	s_and_b64 vcc, exec, s[14:15]
	s_cbranch_vccz .LBB7_726
; %bb.681:
	v_cmp_lt_i16_e32 vcc, 22, v8
	s_mov_b64 s[10:11], -1
	s_cbranch_vccz .LBB7_719
; %bb.682:
	v_cmp_gt_i16_e32 vcc, 24, v8
	s_cbranch_vccnz .LBB7_706
; %bb.683:
	v_cmp_lt_i16_e32 vcc, 24, v8
	s_cbranch_vccz .LBB7_693
; %bb.684:
	v_cvt_f32_ubyte0_e32 v1, s16
	s_mov_b32 s11, 0x477fffff
	v_cmp_lt_u32_e32 vcc, s11, v1
	v_readfirstlane_b32 s10, v1
	v_mov_b32_e32 v6, 0x80
	s_cbranch_vccnz .LBB7_692
; %bb.685:
	s_cmp_gt_u32 s10, 0x37ffffff
	s_cbranch_scc0 .LBB7_687
; %bb.686:
	s_bfe_u32 s11, s10, 0x10015
	s_add_i32 s10, s10, s11
	s_add_i32 s10, s10, 0x88fffff
	s_lshr_b32 s14, s10, 21
	s_mov_b64 s[12:13], 0
	s_mov_b64 s[10:11], -1
	s_branch .LBB7_688
.LBB7_687:
	s_mov_b64 s[12:13], -1
	s_mov_b64 s[10:11], 0
                                        ; implicit-def: $sgpr14
.LBB7_688:
	s_andn2_b64 vcc, exec, s[12:13]
	v_mov_b32_e32 v3, s14
                                        ; implicit-def: $sgpr12
	s_cbranch_vccnz .LBB7_690
; %bb.689:
	v_add_f32_e32 v1, 0x42800000, v1
	v_and_b32_e32 v3, 0xff, v1
	s_mov_b32 s12, 0
	v_cmp_ne_u32_e64 s[10:11], 0, v3
.LBB7_690:
	s_andn2_b64 vcc, exec, s[10:11]
	v_mov_b32_e32 v6, s12
	s_cbranch_vccnz .LBB7_692
; %bb.691:
	v_mov_b32_e32 v6, v3
.LBB7_692:
	s_mov_b64 s[10:11], 0
	global_store_byte v[4:5], v6, off
.LBB7_693:
	s_and_b64 vcc, exec, s[10:11]
	s_cbranch_vccz .LBB7_705
; %bb.694:
	v_cvt_f32_ubyte0_e32 v1, s16
	s_mov_b32 s10, 0x43f00000
	v_cmp_gt_u32_e32 vcc, s10, v1
	v_readfirstlane_b32 s12, v1
	s_cbranch_vccz .LBB7_697
; %bb.695:
	s_cmp_gt_u32 s12, 0x3c7fffff
	s_cbranch_scc0 .LBB7_698
; %bb.696:
	s_bfe_u32 s10, s12, 0x10014
	s_add_i32 s10, s12, s10
	s_add_i32 s10, s10, 0x407ffff
	s_lshr_b32 s11, s10, 20
	s_and_b32 s10, s10, 0xff00000
	s_cmp_lg_u32 s10, 0x7f00000
	s_cselect_b32 s13, s11, 0x7e
	s_mov_b64 s[10:11], 0
	s_branch .LBB7_699
.LBB7_697:
	s_mov_b64 s[10:11], -1
                                        ; implicit-def: $vgpr3
	s_branch .LBB7_702
.LBB7_698:
	s_mov_b64 s[10:11], -1
                                        ; implicit-def: $sgpr13
.LBB7_699:
	s_andn2_b64 vcc, exec, s[10:11]
	v_mov_b32_e32 v3, s13
	s_cbranch_vccnz .LBB7_701
; %bb.700:
	v_add_f32_e32 v3, 0x46800000, v1
.LBB7_701:
	s_mov_b64 s[10:11], 0
.LBB7_702:
	s_andn2_b64 vcc, exec, s[10:11]
	s_cbranch_vccnz .LBB7_704
; %bb.703:
	s_cmp_gt_u32 s12, 0x7f800000
	s_movk_i32 s10, 0x7f
	s_cselect_b32 s10, s10, 0x7e
	v_mov_b32_e32 v3, s10
.LBB7_704:
	global_store_byte v[4:5], v3, off
.LBB7_705:
	s_mov_b64 s[10:11], 0
.LBB7_706:
	s_andn2_b64 vcc, exec, s[10:11]
	s_cbranch_vccnz .LBB7_718
; %bb.707:
	v_cvt_f32_ubyte0_e32 v1, s16
	s_mov_b32 s10, 0x47800000
	v_cmp_gt_u32_e32 vcc, s10, v1
	v_readfirstlane_b32 s12, v1
	s_cbranch_vccz .LBB7_710
; %bb.708:
	s_cmp_gt_u32 s12, 0x387fffff
	s_cbranch_scc0 .LBB7_711
; %bb.709:
	s_bfe_u32 s10, s12, 0x10015
	s_add_i32 s10, s12, s10
	s_add_i32 s10, s10, 0x80fffff
	s_lshr_b32 s13, s10, 21
	s_mov_b64 s[10:11], 0
	s_branch .LBB7_712
.LBB7_710:
	s_mov_b64 s[10:11], -1
                                        ; implicit-def: $vgpr3
	s_branch .LBB7_715
.LBB7_711:
	s_mov_b64 s[10:11], -1
                                        ; implicit-def: $sgpr13
.LBB7_712:
	s_andn2_b64 vcc, exec, s[10:11]
	v_mov_b32_e32 v3, s13
	s_cbranch_vccnz .LBB7_714
; %bb.713:
	v_add_f32_e32 v3, 0x43000000, v1
.LBB7_714:
	s_mov_b64 s[10:11], 0
.LBB7_715:
	s_andn2_b64 vcc, exec, s[10:11]
	s_cbranch_vccnz .LBB7_717
; %bb.716:
	s_cmp_gt_u32 s12, 0x7f800000
	s_movk_i32 s10, 0x7f
	s_cselect_b32 s10, s10, 0x7c
	v_mov_b32_e32 v3, s10
.LBB7_717:
	global_store_byte v[4:5], v3, off
.LBB7_718:
	s_mov_b64 s[10:11], 0
	s_mov_b64 s[12:13], -1
.LBB7_719:
	s_andn2_b64 vcc, exec, s[10:11]
	s_mov_b64 s[10:11], 0
	s_cbranch_vccnz .LBB7_726
; %bb.720:
	v_cmp_lt_i16_e32 vcc, 14, v8
	s_mov_b64 s[14:15], -1
	s_cbranch_vccz .LBB7_724
; %bb.721:
	v_cmp_eq_u16_e32 vcc, 15, v8
	s_mov_b64 s[4:5], -1
	s_cbranch_vccz .LBB7_723
; %bb.722:
	v_cvt_f32_ubyte0_e32 v1, s16
	v_bfe_u32 v3, v1, 16, 1
	v_add_u32_e32 v1, v1, v3
	v_add_u32_e32 v1, 0x7fff, v1
	global_store_short_d16_hi v[4:5], v1, off
	s_mov_b64 s[4:5], 0
	s_mov_b64 s[12:13], -1
.LBB7_723:
	s_mov_b64 s[14:15], 0
.LBB7_724:
	s_and_b64 vcc, exec, s[14:15]
	s_cbranch_vccz .LBB7_726
; %bb.725:
	v_cmp_ne_u16_e64 s[4:5], 11, v8
	s_mov_b64 s[10:11], -1
.LBB7_726:
	s_and_b64 vcc, exec, s[4:5]
	s_cbranch_vccnz .LBB7_828
; %bb.727:
	s_andn2_b64 vcc, exec, s[10:11]
	s_cbranch_vccnz .LBB7_729
.LBB7_728:
	v_mov_b32_e32 v1, 0
	v_cmp_ne_u16_sdwa s[4:5], s16, v1 src0_sel:BYTE_0 src1_sel:DWORD
	v_cndmask_b32_e64 v1, 0, 1, s[4:5]
	s_mov_b64 s[12:13], -1
	global_store_byte v[4:5], v1, off
.LBB7_729:
	s_branch .LBB7_670
.LBB7_730:
	v_cmp_gt_i16_e32 vcc, 5, v8
	s_mov_b64 s[4:5], -1
	s_cbranch_vccnz .LBB7_751
; %bb.731:
	v_cmp_gt_i16_e32 vcc, 8, v8
	s_cbranch_vccnz .LBB7_741
; %bb.732:
	v_cmp_gt_i16_e32 vcc, 9, v8
	s_cbranch_vccnz .LBB7_738
; %bb.733:
	v_cmp_lt_i16_e32 vcc, 9, v8
	s_cbranch_vccz .LBB7_735
; %bb.734:
	s_mov_b32 s4, 0xffff
	v_mov_b32_e32 v1, s16
	v_and_b32_sdwa v1, s4, v1 dst_sel:DWORD dst_unused:UNUSED_PAD src0_sel:DWORD src1_sel:BYTE_0
	v_mov_b32_e32 v12, 0
	v_cvt_f64_u32_e32 v[10:11], v1
	v_mov_b32_e32 v13, v12
	global_store_dwordx4 v[4:5], v[10:13], off
	s_mov_b64 s[4:5], 0
.LBB7_735:
	s_andn2_b64 vcc, exec, s[4:5]
	s_cbranch_vccnz .LBB7_737
; %bb.736:
	v_cvt_f32_ubyte0_e32 v6, s16
	v_mov_b32_e32 v7, 0
	global_store_dwordx2 v[4:5], v[6:7], off
.LBB7_737:
	s_mov_b64 s[4:5], 0
.LBB7_738:
	s_andn2_b64 vcc, exec, s[4:5]
	s_cbranch_vccnz .LBB7_740
; %bb.739:
	v_cvt_f16_u16_sdwa v1, s16 dst_sel:DWORD dst_unused:UNUSED_PAD src0_sel:BYTE_0
	global_store_dword v[4:5], v1, off
.LBB7_740:
	s_mov_b64 s[4:5], 0
.LBB7_741:
	s_andn2_b64 vcc, exec, s[4:5]
	s_cbranch_vccnz .LBB7_750
; %bb.742:
	v_cmp_gt_i16_e32 vcc, 6, v8
	s_mov_b64 s[4:5], -1
	s_cbranch_vccnz .LBB7_748
; %bb.743:
	v_cmp_lt_i16_e32 vcc, 6, v8
	s_cbranch_vccz .LBB7_745
; %bb.744:
	s_mov_b32 s4, 0xffff
	v_mov_b32_e32 v1, s16
	v_and_b32_sdwa v1, s4, v1 dst_sel:DWORD dst_unused:UNUSED_PAD src0_sel:DWORD src1_sel:BYTE_0
	v_cvt_f64_u32_e32 v[6:7], v1
	global_store_dwordx2 v[4:5], v[6:7], off
	s_mov_b64 s[4:5], 0
.LBB7_745:
	s_andn2_b64 vcc, exec, s[4:5]
	s_cbranch_vccnz .LBB7_747
; %bb.746:
	v_cvt_f32_ubyte0_e32 v1, s16
	global_store_dword v[4:5], v1, off
.LBB7_747:
	s_mov_b64 s[4:5], 0
.LBB7_748:
	s_andn2_b64 vcc, exec, s[4:5]
	s_cbranch_vccnz .LBB7_750
; %bb.749:
	v_cvt_f16_u16_sdwa v1, s16 dst_sel:DWORD dst_unused:UNUSED_PAD src0_sel:BYTE_0
	global_store_short v[4:5], v1, off
.LBB7_750:
	s_mov_b64 s[4:5], 0
.LBB7_751:
	s_andn2_b64 vcc, exec, s[4:5]
	s_cbranch_vccnz .LBB7_767
; %bb.752:
	v_cmp_gt_i16_e32 vcc, 2, v8
	s_mov_b64 s[4:5], -1
	s_cbranch_vccnz .LBB7_762
; %bb.753:
	v_cmp_gt_i16_e32 vcc, 3, v8
	s_cbranch_vccnz .LBB7_759
; %bb.754:
	v_cmp_lt_i16_e32 vcc, 3, v8
	s_cbranch_vccz .LBB7_756
; %bb.755:
	s_and_b32 s4, s16, 0xff
	v_mov_b32_e32 v6, s4
	v_mov_b32_e32 v7, 0
	global_store_dwordx2 v[4:5], v[6:7], off
	s_mov_b64 s[4:5], 0
.LBB7_756:
	s_andn2_b64 vcc, exec, s[4:5]
	s_cbranch_vccnz .LBB7_758
; %bb.757:
	s_and_b32 s4, s16, 0xff
	v_mov_b32_e32 v1, s4
	global_store_dword v[4:5], v1, off
.LBB7_758:
	s_mov_b64 s[4:5], 0
.LBB7_759:
	s_andn2_b64 vcc, exec, s[4:5]
	s_cbranch_vccnz .LBB7_761
; %bb.760:
	v_mov_b32_e32 v1, 0xff
	v_and_b32_e32 v1, s16, v1
	global_store_short v[4:5], v1, off
.LBB7_761:
	s_mov_b64 s[4:5], 0
.LBB7_762:
	s_andn2_b64 vcc, exec, s[4:5]
	s_cbranch_vccnz .LBB7_767
; %bb.763:
	v_cmp_lt_i16_e32 vcc, 0, v8
	s_mov_b64 s[4:5], -1
	s_cbranch_vccz .LBB7_765
; %bb.764:
	v_mov_b32_e32 v1, s16
	global_store_byte v[4:5], v1, off
	s_mov_b64 s[4:5], 0
.LBB7_765:
	s_andn2_b64 vcc, exec, s[4:5]
	s_cbranch_vccnz .LBB7_767
; %bb.766:
	v_mov_b32_e32 v1, s16
	global_store_byte v[4:5], v1, off
.LBB7_767:
.LBB7_768:
	v_mov_b32_e32 v1, s9
	v_add_co_u32_e32 v2, vcc, s8, v2
	v_addc_co_u32_e32 v3, vcc, 0, v1, vcc
	s_and_b64 vcc, exec, s[0:1]
	s_cbranch_vccnz .LBB7_796
; %bb.769:
	v_cmp_lt_i16_e32 vcc, 25, v8
	s_mov_b64 s[14:15], -1
	s_mov_b64 s[10:11], 0
	s_mov_b64 s[12:13], 0
	;; [unrolled: 1-line block ×3, first 2 shown]
	s_cbranch_vccz .LBB7_837
; %bb.770:
	v_cmp_lt_i16_e32 vcc, 28, v8
	s_cbranch_vccz .LBB7_785
; %bb.771:
	v_cmp_lt_i16_e32 vcc, 43, v8
	;; [unrolled: 3-line block ×3, first 2 shown]
	s_cbranch_vccz .LBB7_775
; %bb.773:
	v_cmp_eq_u16_e32 vcc, 46, v8
	s_mov_b64 s[4:5], -1
	s_mov_b64 s[14:15], 0
	s_cbranch_vccz .LBB7_775
; %bb.774:
	v_cvt_f32_ubyte0_e32 v1, s16
	v_bfe_u32 v4, v1, 16, 1
	v_add_u32_e32 v1, v1, v4
	v_add_u32_e32 v1, 0x7fff, v1
	v_lshrrev_b32_e32 v1, 16, v1
	global_store_dword v[2:3], v1, off
	s_mov_b64 s[4:5], 0
	s_mov_b64 s[12:13], -1
.LBB7_775:
	s_and_b64 vcc, exec, s[14:15]
	s_cbranch_vccz .LBB7_780
; %bb.776:
	v_cmp_eq_u16_e32 vcc, 44, v8
	s_mov_b64 s[4:5], -1
	s_cbranch_vccz .LBB7_780
; %bb.777:
	v_cvt_f32_ubyte0_e32 v1, s16
	v_readfirstlane_b32 s5, v1
	s_lshr_b32 s4, s5, 23
	s_cmpk_eq_i32 s4, 0xff
	v_mov_b32_e32 v1, 0xff
	s_cbranch_scc1 .LBB7_779
; %bb.778:
	s_bitcmp1_b32 s5, 22
	s_cselect_b64 s[12:13], -1, 0
	s_and_b32 s5, s5, 0x3fffff
	s_or_b32 s5, s4, s5
	s_cmp_lg_u32 s5, 0
	s_cselect_b64 s[14:15], -1, 0
	s_and_b64 s[12:13], s[12:13], s[14:15]
	v_cndmask_b32_e64 v1, 0, 1, s[12:13]
	v_add_u32_e32 v1, s4, v1
.LBB7_779:
	s_mov_b64 s[4:5], 0
	s_mov_b64 s[12:13], -1
	global_store_byte v[2:3], v1, off
.LBB7_780:
	s_mov_b64 s[14:15], 0
.LBB7_781:
	s_and_b64 vcc, exec, s[14:15]
	s_cbranch_vccz .LBB7_784
; %bb.782:
	v_cmp_eq_u16_e32 vcc, 29, v8
	s_mov_b64 s[4:5], -1
	s_cbranch_vccz .LBB7_784
; %bb.783:
	s_and_b32 s4, s16, 0xff
	v_mov_b32_e32 v4, s4
	v_mov_b32_e32 v5, 0
	global_store_dwordx2 v[2:3], v[4:5], off
	s_mov_b64 s[4:5], 0
	s_mov_b64 s[12:13], -1
.LBB7_784:
	s_mov_b64 s[14:15], 0
.LBB7_785:
	s_and_b64 vcc, exec, s[14:15]
	s_cbranch_vccz .LBB7_836
; %bb.786:
	v_cmp_gt_i16_e32 vcc, 27, v8
	s_mov_b64 s[12:13], -1
	s_cbranch_vccnz .LBB7_792
; %bb.787:
	v_cmp_lt_i16_e32 vcc, 27, v8
	s_cbranch_vccz .LBB7_789
; %bb.788:
	s_and_b32 s12, s16, 0xff
	v_mov_b32_e32 v1, s12
	s_mov_b64 s[12:13], 0
	global_store_dword v[2:3], v1, off
.LBB7_789:
	s_andn2_b64 vcc, exec, s[12:13]
	s_cbranch_vccnz .LBB7_791
; %bb.790:
	v_mov_b32_e32 v1, 0xff
	v_and_b32_e32 v1, s16, v1
	global_store_short v[2:3], v1, off
.LBB7_791:
	s_mov_b64 s[12:13], 0
.LBB7_792:
	s_andn2_b64 vcc, exec, s[12:13]
	s_cbranch_vccnz .LBB7_835
; %bb.793:
	v_cvt_f32_ubyte0_e32 v1, s16
	s_mov_b32 s13, 0x437fffff
	v_cmp_lt_u32_e32 vcc, s13, v1
	v_readfirstlane_b32 s12, v1
	v_mov_b32_e32 v5, 0x80
	s_cbranch_vccnz .LBB7_834
; %bb.794:
	s_cmp_gt_u32 s12, 0x3bffffff
	s_cbranch_scc0 .LBB7_829
; %bb.795:
	s_bfe_u32 s13, s12, 0x10014
	s_add_i32 s12, s12, s13
	s_add_i32 s12, s12, 0x487ffff
	s_lshr_b32 s17, s12, 20
	s_mov_b64 s[14:15], 0
	s_mov_b64 s[12:13], -1
	s_branch .LBB7_830
.LBB7_796:
	s_mov_b64 s[12:13], 0
	s_cbranch_execnz .LBB7_901
.LBB7_797:
	s_andn2_b64 vcc, exec, s[12:13]
	s_cbranch_vccnz .LBB7_939
.LBB7_798:
	v_mov_b32_e32 v1, s9
	v_add_co_u32_e32 v0, vcc, s8, v0
	v_addc_co_u32_e32 v1, vcc, 0, v1, vcc
	s_and_b64 vcc, exec, s[0:1]
	s_cbranch_vccnz .LBB7_827
; %bb.799:
	v_cmp_lt_i16_e32 vcc, 25, v8
	s_mov_b64 s[8:9], -1
	s_mov_b64 s[4:5], 0
	s_mov_b64 s[0:1], 0
	s_cbranch_vccz .LBB7_851
; %bb.800:
	v_cmp_lt_i16_e32 vcc, 28, v8
	s_cbranch_vccz .LBB7_816
; %bb.801:
	v_cmp_lt_i16_e32 vcc, 43, v8
	;; [unrolled: 3-line block ×3, first 2 shown]
	s_cbranch_vccz .LBB7_806
; %bb.803:
	v_cmp_eq_u16_e32 vcc, 46, v8
	s_mov_b64 s[0:1], -1
	s_cbranch_vccz .LBB7_805
; %bb.804:
	v_cvt_f32_ubyte0_e32 v2, s16
	v_bfe_u32 v3, v2, 16, 1
	v_add_u32_e32 v2, v2, v3
	v_add_u32_e32 v2, 0x7fff, v2
	v_lshrrev_b32_e32 v2, 16, v2
	global_store_dword v[0:1], v2, off
	s_mov_b64 s[0:1], 0
.LBB7_805:
	s_mov_b64 s[8:9], 0
.LBB7_806:
	s_and_b64 vcc, exec, s[8:9]
	s_cbranch_vccz .LBB7_811
; %bb.807:
	v_cmp_eq_u16_e32 vcc, 44, v8
	s_mov_b64 s[0:1], -1
	s_cbranch_vccz .LBB7_811
; %bb.808:
	v_cvt_f32_ubyte0_e32 v2, s16
	v_readfirstlane_b32 s1, v2
	s_lshr_b32 s0, s1, 23
	s_cmpk_eq_i32 s0, 0xff
	v_mov_b32_e32 v2, 0xff
	s_cbranch_scc1 .LBB7_810
; %bb.809:
	s_bitcmp1_b32 s1, 22
	s_cselect_b64 s[8:9], -1, 0
	s_and_b32 s1, s1, 0x3fffff
	s_or_b32 s1, s0, s1
	s_cmp_lg_u32 s1, 0
	s_cselect_b64 s[10:11], -1, 0
	s_and_b64 s[8:9], s[8:9], s[10:11]
	v_cndmask_b32_e64 v2, 0, 1, s[8:9]
	v_add_u32_e32 v2, s0, v2
.LBB7_810:
	s_mov_b64 s[0:1], 0
	global_store_byte v[0:1], v2, off
.LBB7_811:
	s_mov_b64 s[8:9], 0
.LBB7_812:
	s_and_b64 vcc, exec, s[8:9]
	s_cbranch_vccz .LBB7_815
; %bb.813:
	v_cmp_eq_u16_e32 vcc, 29, v8
	s_mov_b64 s[0:1], -1
	s_cbranch_vccz .LBB7_815
; %bb.814:
	s_and_b32 s0, s16, 0xff
	v_mov_b32_e32 v2, s0
	v_mov_b32_e32 v3, 0
	global_store_dwordx2 v[0:1], v[2:3], off
	s_mov_b64 s[0:1], 0
.LBB7_815:
	s_mov_b64 s[8:9], 0
.LBB7_816:
	s_and_b64 vcc, exec, s[8:9]
	s_cbranch_vccz .LBB7_850
; %bb.817:
	v_cmp_gt_i16_e32 vcc, 27, v8
	s_mov_b64 s[8:9], -1
	s_cbranch_vccnz .LBB7_823
; %bb.818:
	v_cmp_lt_i16_e32 vcc, 27, v8
	s_cbranch_vccz .LBB7_820
; %bb.819:
	s_and_b32 s8, s16, 0xff
	v_mov_b32_e32 v2, s8
	global_store_dword v[0:1], v2, off
	s_mov_b64 s[8:9], 0
.LBB7_820:
	s_andn2_b64 vcc, exec, s[8:9]
	s_cbranch_vccnz .LBB7_822
; %bb.821:
	v_mov_b32_e32 v2, 0xff
	v_and_b32_e32 v2, s16, v2
	global_store_short v[0:1], v2, off
.LBB7_822:
	s_mov_b64 s[8:9], 0
.LBB7_823:
	s_andn2_b64 vcc, exec, s[8:9]
	s_cbranch_vccnz .LBB7_850
; %bb.824:
	v_cvt_f32_ubyte0_e32 v2, s16
	s_mov_b32 s9, 0x437fffff
	v_cmp_lt_u32_e32 vcc, s9, v2
	v_readfirstlane_b32 s8, v2
	v_mov_b32_e32 v4, 0x80
	s_cbranch_vccnz .LBB7_849
; %bb.825:
	s_cmp_gt_u32 s8, 0x3bffffff
	s_cbranch_scc0 .LBB7_844
; %bb.826:
	s_bfe_u32 s9, s8, 0x10014
	s_add_i32 s8, s8, s9
	s_add_i32 s8, s8, 0x487ffff
	s_lshr_b32 s12, s8, 20
	s_mov_b64 s[10:11], 0
	s_mov_b64 s[8:9], -1
	s_branch .LBB7_845
.LBB7_827:
	s_mov_b64 s[4:5], 0
	s_mov_b64 s[0:1], -1
	s_branch .LBB7_940
.LBB7_828:
	s_trap 2
	s_or_b64 s[2:3], s[2:3], exec
	s_cbranch_execz .LBB7_728
	s_branch .LBB7_729
.LBB7_829:
	s_mov_b64 s[14:15], -1
	s_mov_b64 s[12:13], 0
                                        ; implicit-def: $sgpr17
.LBB7_830:
	s_andn2_b64 vcc, exec, s[14:15]
	v_mov_b32_e32 v4, s17
                                        ; implicit-def: $sgpr14
	s_cbranch_vccnz .LBB7_832
; %bb.831:
	v_add_f32_e32 v1, 0x46000000, v1
	v_and_b32_e32 v4, 0xff, v1
	s_mov_b32 s14, 0
	v_cmp_ne_u32_e64 s[12:13], 0, v4
.LBB7_832:
	s_andn2_b64 vcc, exec, s[12:13]
	v_mov_b32_e32 v5, s14
	s_cbranch_vccnz .LBB7_834
; %bb.833:
	v_mov_b32_e32 v5, v4
.LBB7_834:
	global_store_byte v[2:3], v5, off
.LBB7_835:
	s_mov_b64 s[12:13], -1
.LBB7_836:
	s_mov_b64 s[14:15], 0
.LBB7_837:
	s_and_b64 vcc, exec, s[14:15]
	s_cbranch_vccz .LBB7_897
; %bb.838:
	v_cmp_lt_i16_e32 vcc, 22, v8
	s_mov_b64 s[10:11], -1
	s_cbranch_vccz .LBB7_890
; %bb.839:
	v_cmp_gt_i16_e32 vcc, 24, v8
	s_cbranch_vccnz .LBB7_877
; %bb.840:
	v_cmp_lt_i16_e32 vcc, 24, v8
	s_cbranch_vccz .LBB7_864
; %bb.841:
	v_cvt_f32_ubyte0_e32 v1, s16
	s_mov_b32 s11, 0x477fffff
	v_cmp_lt_u32_e32 vcc, s11, v1
	v_readfirstlane_b32 s10, v1
	v_mov_b32_e32 v5, 0x80
	s_cbranch_vccnz .LBB7_863
; %bb.842:
	s_cmp_gt_u32 s10, 0x37ffffff
	s_cbranch_scc0 .LBB7_858
; %bb.843:
	s_bfe_u32 s11, s10, 0x10015
	s_add_i32 s10, s10, s11
	s_add_i32 s10, s10, 0x88fffff
	s_lshr_b32 s14, s10, 21
	s_mov_b64 s[12:13], 0
	s_mov_b64 s[10:11], -1
	s_branch .LBB7_859
.LBB7_844:
	s_mov_b64 s[10:11], -1
	s_mov_b64 s[8:9], 0
                                        ; implicit-def: $sgpr12
.LBB7_845:
	s_andn2_b64 vcc, exec, s[10:11]
	v_mov_b32_e32 v3, s12
                                        ; implicit-def: $sgpr10
	s_cbranch_vccnz .LBB7_847
; %bb.846:
	v_add_f32_e32 v2, 0x46000000, v2
	v_and_b32_e32 v3, 0xff, v2
	s_mov_b32 s10, 0
	v_cmp_ne_u32_e64 s[8:9], 0, v3
.LBB7_847:
	s_andn2_b64 vcc, exec, s[8:9]
	v_mov_b32_e32 v4, s10
	s_cbranch_vccnz .LBB7_849
; %bb.848:
	v_mov_b32_e32 v4, v3
.LBB7_849:
	global_store_byte v[0:1], v4, off
.LBB7_850:
	s_mov_b64 s[8:9], 0
.LBB7_851:
	s_and_b64 vcc, exec, s[8:9]
	s_cbranch_vccz .LBB7_1024
; %bb.852:
	v_cmp_lt_i16_e32 vcc, 22, v8
	s_mov_b64 s[4:5], -1
	s_cbranch_vccz .LBB7_1017
; %bb.853:
	v_cmp_gt_i16_e32 vcc, 24, v8
	s_cbranch_vccnz .LBB7_1004
; %bb.854:
	v_cmp_lt_i16_e32 vcc, 24, v8
	s_cbranch_vccz .LBB7_991
; %bb.855:
	v_cvt_f32_ubyte0_e32 v2, s16
	s_mov_b32 s5, 0x477fffff
	v_cmp_lt_u32_e32 vcc, s5, v2
	v_readfirstlane_b32 s4, v2
	v_mov_b32_e32 v4, 0x80
	s_cbranch_vccnz .LBB7_990
; %bb.856:
	s_cmp_gt_u32 s4, 0x37ffffff
	s_cbranch_scc0 .LBB7_985
; %bb.857:
	s_bfe_u32 s5, s4, 0x10015
	s_add_i32 s4, s4, s5
	s_add_i32 s4, s4, 0x88fffff
	s_lshr_b32 s10, s4, 21
	s_mov_b64 s[8:9], 0
	s_mov_b64 s[4:5], -1
	s_branch .LBB7_986
.LBB7_858:
	s_mov_b64 s[12:13], -1
	s_mov_b64 s[10:11], 0
                                        ; implicit-def: $sgpr14
.LBB7_859:
	s_andn2_b64 vcc, exec, s[12:13]
	v_mov_b32_e32 v4, s14
                                        ; implicit-def: $sgpr12
	s_cbranch_vccnz .LBB7_861
; %bb.860:
	v_add_f32_e32 v1, 0x42800000, v1
	v_and_b32_e32 v4, 0xff, v1
	s_mov_b32 s12, 0
	v_cmp_ne_u32_e64 s[10:11], 0, v4
.LBB7_861:
	s_andn2_b64 vcc, exec, s[10:11]
	v_mov_b32_e32 v5, s12
	s_cbranch_vccnz .LBB7_863
; %bb.862:
	v_mov_b32_e32 v5, v4
.LBB7_863:
	s_mov_b64 s[10:11], 0
	global_store_byte v[2:3], v5, off
.LBB7_864:
	s_and_b64 vcc, exec, s[10:11]
	s_cbranch_vccz .LBB7_876
; %bb.865:
	v_cvt_f32_ubyte0_e32 v1, s16
	s_mov_b32 s10, 0x43f00000
	v_cmp_gt_u32_e32 vcc, s10, v1
	v_readfirstlane_b32 s12, v1
	s_cbranch_vccz .LBB7_868
; %bb.866:
	s_cmp_gt_u32 s12, 0x3c7fffff
	s_cbranch_scc0 .LBB7_869
; %bb.867:
	s_bfe_u32 s10, s12, 0x10014
	s_add_i32 s10, s12, s10
	s_add_i32 s10, s10, 0x407ffff
	s_lshr_b32 s11, s10, 20
	s_and_b32 s10, s10, 0xff00000
	s_cmp_lg_u32 s10, 0x7f00000
	s_cselect_b32 s13, s11, 0x7e
	s_mov_b64 s[10:11], 0
	s_branch .LBB7_870
.LBB7_868:
	s_mov_b64 s[10:11], -1
                                        ; implicit-def: $vgpr4
	s_branch .LBB7_873
.LBB7_869:
	s_mov_b64 s[10:11], -1
                                        ; implicit-def: $sgpr13
.LBB7_870:
	s_andn2_b64 vcc, exec, s[10:11]
	v_mov_b32_e32 v4, s13
	s_cbranch_vccnz .LBB7_872
; %bb.871:
	v_add_f32_e32 v4, 0x46800000, v1
.LBB7_872:
	s_mov_b64 s[10:11], 0
.LBB7_873:
	s_andn2_b64 vcc, exec, s[10:11]
	s_cbranch_vccnz .LBB7_875
; %bb.874:
	s_cmp_gt_u32 s12, 0x7f800000
	s_movk_i32 s10, 0x7f
	s_cselect_b32 s10, s10, 0x7e
	v_mov_b32_e32 v4, s10
.LBB7_875:
	global_store_byte v[2:3], v4, off
.LBB7_876:
	s_mov_b64 s[10:11], 0
.LBB7_877:
	s_andn2_b64 vcc, exec, s[10:11]
	s_cbranch_vccnz .LBB7_889
; %bb.878:
	v_cvt_f32_ubyte0_e32 v1, s16
	s_mov_b32 s10, 0x47800000
	v_cmp_gt_u32_e32 vcc, s10, v1
	v_readfirstlane_b32 s12, v1
	s_cbranch_vccz .LBB7_881
; %bb.879:
	s_cmp_gt_u32 s12, 0x387fffff
	s_cbranch_scc0 .LBB7_882
; %bb.880:
	s_bfe_u32 s10, s12, 0x10015
	s_add_i32 s10, s12, s10
	s_add_i32 s10, s10, 0x80fffff
	s_lshr_b32 s13, s10, 21
	s_mov_b64 s[10:11], 0
	s_branch .LBB7_883
.LBB7_881:
	s_mov_b64 s[10:11], -1
                                        ; implicit-def: $vgpr4
	s_branch .LBB7_886
.LBB7_882:
	s_mov_b64 s[10:11], -1
                                        ; implicit-def: $sgpr13
.LBB7_883:
	s_andn2_b64 vcc, exec, s[10:11]
	v_mov_b32_e32 v4, s13
	s_cbranch_vccnz .LBB7_885
; %bb.884:
	v_add_f32_e32 v4, 0x43000000, v1
.LBB7_885:
	s_mov_b64 s[10:11], 0
.LBB7_886:
	s_andn2_b64 vcc, exec, s[10:11]
	s_cbranch_vccnz .LBB7_888
; %bb.887:
	s_cmp_gt_u32 s12, 0x7f800000
	s_movk_i32 s10, 0x7f
	s_cselect_b32 s10, s10, 0x7c
	v_mov_b32_e32 v4, s10
.LBB7_888:
	global_store_byte v[2:3], v4, off
.LBB7_889:
	s_mov_b64 s[10:11], 0
	s_mov_b64 s[12:13], -1
.LBB7_890:
	s_andn2_b64 vcc, exec, s[10:11]
	s_mov_b64 s[10:11], 0
	s_cbranch_vccnz .LBB7_897
; %bb.891:
	v_cmp_lt_i16_e32 vcc, 14, v8
	s_mov_b64 s[14:15], -1
	s_cbranch_vccz .LBB7_895
; %bb.892:
	v_cmp_eq_u16_e32 vcc, 15, v8
	s_mov_b64 s[4:5], -1
	s_cbranch_vccz .LBB7_894
; %bb.893:
	v_cvt_f32_ubyte0_e32 v1, s16
	v_bfe_u32 v4, v1, 16, 1
	v_add_u32_e32 v1, v1, v4
	v_add_u32_e32 v1, 0x7fff, v1
	global_store_short_d16_hi v[2:3], v1, off
	s_mov_b64 s[4:5], 0
	s_mov_b64 s[12:13], -1
.LBB7_894:
	s_mov_b64 s[14:15], 0
.LBB7_895:
	s_and_b64 vcc, exec, s[14:15]
	s_cbranch_vccz .LBB7_897
; %bb.896:
	v_cmp_ne_u16_e64 s[4:5], 11, v8
	s_mov_b64 s[10:11], -1
.LBB7_897:
	s_and_b64 vcc, exec, s[4:5]
	s_cbranch_vccnz .LBB7_984
; %bb.898:
	s_andn2_b64 vcc, exec, s[10:11]
	s_cbranch_vccnz .LBB7_900
.LBB7_899:
	v_mov_b32_e32 v1, 0
	v_cmp_ne_u16_sdwa s[4:5], s16, v1 src0_sel:BYTE_0 src1_sel:DWORD
	v_cndmask_b32_e64 v1, 0, 1, s[4:5]
	s_mov_b64 s[12:13], -1
	global_store_byte v[2:3], v1, off
.LBB7_900:
	s_branch .LBB7_797
.LBB7_901:
	v_cmp_gt_i16_e32 vcc, 5, v8
	s_mov_b64 s[4:5], -1
	s_cbranch_vccnz .LBB7_922
; %bb.902:
	v_cmp_gt_i16_e32 vcc, 8, v8
	s_cbranch_vccnz .LBB7_912
; %bb.903:
	v_cmp_gt_i16_e32 vcc, 9, v8
	s_cbranch_vccnz .LBB7_909
; %bb.904:
	v_cmp_lt_i16_e32 vcc, 9, v8
	s_cbranch_vccz .LBB7_906
; %bb.905:
	s_mov_b32 s4, 0xffff
	v_mov_b32_e32 v1, s16
	v_and_b32_sdwa v1, s4, v1 dst_sel:DWORD dst_unused:UNUSED_PAD src0_sel:DWORD src1_sel:BYTE_0
	v_mov_b32_e32 v6, 0
	v_cvt_f64_u32_e32 v[4:5], v1
	v_mov_b32_e32 v7, v6
	global_store_dwordx4 v[2:3], v[4:7], off
	s_mov_b64 s[4:5], 0
.LBB7_906:
	s_andn2_b64 vcc, exec, s[4:5]
	s_cbranch_vccnz .LBB7_908
; %bb.907:
	v_cvt_f32_ubyte0_e32 v4, s16
	v_mov_b32_e32 v5, 0
	global_store_dwordx2 v[2:3], v[4:5], off
.LBB7_908:
	s_mov_b64 s[4:5], 0
.LBB7_909:
	s_andn2_b64 vcc, exec, s[4:5]
	s_cbranch_vccnz .LBB7_911
; %bb.910:
	v_cvt_f16_u16_sdwa v1, s16 dst_sel:DWORD dst_unused:UNUSED_PAD src0_sel:BYTE_0
	global_store_dword v[2:3], v1, off
.LBB7_911:
	s_mov_b64 s[4:5], 0
.LBB7_912:
	s_andn2_b64 vcc, exec, s[4:5]
	s_cbranch_vccnz .LBB7_921
; %bb.913:
	v_cmp_gt_i16_e32 vcc, 6, v8
	s_mov_b64 s[4:5], -1
	s_cbranch_vccnz .LBB7_919
; %bb.914:
	v_cmp_lt_i16_e32 vcc, 6, v8
	s_cbranch_vccz .LBB7_916
; %bb.915:
	s_mov_b32 s4, 0xffff
	v_mov_b32_e32 v1, s16
	v_and_b32_sdwa v1, s4, v1 dst_sel:DWORD dst_unused:UNUSED_PAD src0_sel:DWORD src1_sel:BYTE_0
	v_cvt_f64_u32_e32 v[4:5], v1
	global_store_dwordx2 v[2:3], v[4:5], off
	s_mov_b64 s[4:5], 0
.LBB7_916:
	s_andn2_b64 vcc, exec, s[4:5]
	s_cbranch_vccnz .LBB7_918
; %bb.917:
	v_cvt_f32_ubyte0_e32 v1, s16
	global_store_dword v[2:3], v1, off
.LBB7_918:
	s_mov_b64 s[4:5], 0
.LBB7_919:
	s_andn2_b64 vcc, exec, s[4:5]
	s_cbranch_vccnz .LBB7_921
; %bb.920:
	v_cvt_f16_u16_sdwa v1, s16 dst_sel:DWORD dst_unused:UNUSED_PAD src0_sel:BYTE_0
	global_store_short v[2:3], v1, off
.LBB7_921:
	s_mov_b64 s[4:5], 0
.LBB7_922:
	s_andn2_b64 vcc, exec, s[4:5]
	s_cbranch_vccnz .LBB7_938
; %bb.923:
	v_cmp_gt_i16_e32 vcc, 2, v8
	s_mov_b64 s[4:5], -1
	s_cbranch_vccnz .LBB7_933
; %bb.924:
	v_cmp_gt_i16_e32 vcc, 3, v8
	s_cbranch_vccnz .LBB7_930
; %bb.925:
	v_cmp_lt_i16_e32 vcc, 3, v8
	s_cbranch_vccz .LBB7_927
; %bb.926:
	s_and_b32 s4, s16, 0xff
	v_mov_b32_e32 v4, s4
	v_mov_b32_e32 v5, 0
	global_store_dwordx2 v[2:3], v[4:5], off
	s_mov_b64 s[4:5], 0
.LBB7_927:
	s_andn2_b64 vcc, exec, s[4:5]
	s_cbranch_vccnz .LBB7_929
; %bb.928:
	s_and_b32 s4, s16, 0xff
	v_mov_b32_e32 v1, s4
	global_store_dword v[2:3], v1, off
.LBB7_929:
	s_mov_b64 s[4:5], 0
.LBB7_930:
	s_andn2_b64 vcc, exec, s[4:5]
	s_cbranch_vccnz .LBB7_932
; %bb.931:
	v_mov_b32_e32 v1, 0xff
	v_and_b32_e32 v1, s16, v1
	global_store_short v[2:3], v1, off
.LBB7_932:
	s_mov_b64 s[4:5], 0
.LBB7_933:
	s_andn2_b64 vcc, exec, s[4:5]
	s_cbranch_vccnz .LBB7_938
; %bb.934:
	v_cmp_lt_i16_e32 vcc, 0, v8
	s_mov_b64 s[4:5], -1
	s_cbranch_vccz .LBB7_936
; %bb.935:
	v_mov_b32_e32 v1, s16
	global_store_byte v[2:3], v1, off
	s_mov_b64 s[4:5], 0
.LBB7_936:
	s_andn2_b64 vcc, exec, s[4:5]
	s_cbranch_vccnz .LBB7_938
; %bb.937:
	v_mov_b32_e32 v1, s16
	global_store_byte v[2:3], v1, off
.LBB7_938:
	s_branch .LBB7_798
.LBB7_939:
	s_mov_b64 s[0:1], 0
	s_mov_b64 s[4:5], 0
                                        ; implicit-def: $vgpr8
                                        ; implicit-def: $vgpr0_vgpr1
.LBB7_940:
	s_and_b64 s[34:35], s[4:5], exec
	s_andn2_b64 s[4:5], s[6:7], exec
	s_and_b64 s[2:3], s[2:3], exec
	s_and_b64 s[0:1], s[0:1], exec
	s_or_b64 s[6:7], s[4:5], s[2:3]
.LBB7_941:
	s_or_b64 exec, exec, s[24:25]
	s_and_saveexec_b64 s[2:3], s[6:7]
	s_cbranch_execz .LBB7_944
; %bb.942:
	; divergent unreachable
	s_or_b64 exec, exec, s[2:3]
	s_and_saveexec_b64 s[2:3], s[34:35]
	s_xor_b64 s[2:3], exec, s[2:3]
	s_cbranch_execnz .LBB7_945
.LBB7_943:
	s_or_b64 exec, exec, s[2:3]
	s_and_saveexec_b64 s[2:3], s[0:1]
	s_cbranch_execnz .LBB7_946
	s_branch .LBB7_983
.LBB7_944:
	s_or_b64 exec, exec, s[2:3]
	s_and_saveexec_b64 s[2:3], s[34:35]
	s_xor_b64 s[2:3], exec, s[2:3]
	s_cbranch_execz .LBB7_943
.LBB7_945:
	v_mov_b32_e32 v2, 0
	v_cmp_ne_u16_sdwa s[4:5], s16, v2 src0_sel:BYTE_0 src1_sel:DWORD
	v_cndmask_b32_e64 v2, 0, 1, s[4:5]
	global_store_byte v[0:1], v2, off
	s_or_b64 exec, exec, s[2:3]
	s_and_saveexec_b64 s[2:3], s[0:1]
	s_cbranch_execz .LBB7_983
.LBB7_946:
	v_cmp_gt_i16_e32 vcc, 5, v8
	s_mov_b64 s[0:1], -1
	s_cbranch_vccnz .LBB7_967
; %bb.947:
	v_cmp_gt_i16_e32 vcc, 8, v8
	s_cbranch_vccnz .LBB7_957
; %bb.948:
	v_cmp_gt_i16_e32 vcc, 9, v8
	s_cbranch_vccnz .LBB7_954
; %bb.949:
	v_cmp_lt_i16_e32 vcc, 9, v8
	s_cbranch_vccz .LBB7_951
; %bb.950:
	s_mov_b32 s0, 0xffff
	v_mov_b32_e32 v2, s16
	v_and_b32_sdwa v2, s0, v2 dst_sel:DWORD dst_unused:UNUSED_PAD src0_sel:DWORD src1_sel:BYTE_0
	v_mov_b32_e32 v4, 0
	v_cvt_f64_u32_e32 v[2:3], v2
	v_mov_b32_e32 v5, v4
	global_store_dwordx4 v[0:1], v[2:5], off
	s_mov_b64 s[0:1], 0
.LBB7_951:
	s_andn2_b64 vcc, exec, s[0:1]
	s_cbranch_vccnz .LBB7_953
; %bb.952:
	v_cvt_f32_ubyte0_e32 v2, s16
	v_mov_b32_e32 v3, 0
	global_store_dwordx2 v[0:1], v[2:3], off
.LBB7_953:
	s_mov_b64 s[0:1], 0
.LBB7_954:
	s_andn2_b64 vcc, exec, s[0:1]
	s_cbranch_vccnz .LBB7_956
; %bb.955:
	v_cvt_f16_u16_sdwa v2, s16 dst_sel:DWORD dst_unused:UNUSED_PAD src0_sel:BYTE_0
	global_store_dword v[0:1], v2, off
.LBB7_956:
	s_mov_b64 s[0:1], 0
.LBB7_957:
	s_andn2_b64 vcc, exec, s[0:1]
	s_cbranch_vccnz .LBB7_966
; %bb.958:
	v_cmp_gt_i16_e32 vcc, 6, v8
	s_mov_b64 s[0:1], -1
	s_cbranch_vccnz .LBB7_964
; %bb.959:
	v_cmp_lt_i16_e32 vcc, 6, v8
	s_cbranch_vccz .LBB7_961
; %bb.960:
	s_mov_b32 s0, 0xffff
	v_mov_b32_e32 v2, s16
	v_and_b32_sdwa v2, s0, v2 dst_sel:DWORD dst_unused:UNUSED_PAD src0_sel:DWORD src1_sel:BYTE_0
	v_cvt_f64_u32_e32 v[2:3], v2
	global_store_dwordx2 v[0:1], v[2:3], off
	s_mov_b64 s[0:1], 0
.LBB7_961:
	s_andn2_b64 vcc, exec, s[0:1]
	s_cbranch_vccnz .LBB7_963
; %bb.962:
	v_cvt_f32_ubyte0_e32 v2, s16
	global_store_dword v[0:1], v2, off
.LBB7_963:
	s_mov_b64 s[0:1], 0
.LBB7_964:
	s_andn2_b64 vcc, exec, s[0:1]
	s_cbranch_vccnz .LBB7_966
; %bb.965:
	v_cvt_f16_u16_sdwa v2, s16 dst_sel:DWORD dst_unused:UNUSED_PAD src0_sel:BYTE_0
	global_store_short v[0:1], v2, off
.LBB7_966:
	s_mov_b64 s[0:1], 0
.LBB7_967:
	s_andn2_b64 vcc, exec, s[0:1]
	s_cbranch_vccnz .LBB7_983
; %bb.968:
	v_cmp_gt_i16_e32 vcc, 2, v8
	s_mov_b64 s[0:1], -1
	s_cbranch_vccnz .LBB7_978
; %bb.969:
	v_cmp_gt_i16_e32 vcc, 3, v8
	s_cbranch_vccnz .LBB7_975
; %bb.970:
	v_cmp_lt_i16_e32 vcc, 3, v8
	s_cbranch_vccz .LBB7_972
; %bb.971:
	s_and_b32 s0, s16, 0xff
	v_mov_b32_e32 v2, s0
	v_mov_b32_e32 v3, 0
	global_store_dwordx2 v[0:1], v[2:3], off
	s_mov_b64 s[0:1], 0
.LBB7_972:
	s_andn2_b64 vcc, exec, s[0:1]
	s_cbranch_vccnz .LBB7_974
; %bb.973:
	s_and_b32 s0, s16, 0xff
	v_mov_b32_e32 v2, s0
	global_store_dword v[0:1], v2, off
.LBB7_974:
	s_mov_b64 s[0:1], 0
.LBB7_975:
	s_andn2_b64 vcc, exec, s[0:1]
	s_cbranch_vccnz .LBB7_977
; %bb.976:
	v_mov_b32_e32 v2, 0xff
	v_and_b32_e32 v2, s16, v2
	global_store_short v[0:1], v2, off
.LBB7_977:
	s_mov_b64 s[0:1], 0
.LBB7_978:
	s_andn2_b64 vcc, exec, s[0:1]
	s_cbranch_vccnz .LBB7_983
; %bb.979:
	v_cmp_lt_i16_e32 vcc, 0, v8
	s_mov_b64 s[0:1], -1
	s_cbranch_vccz .LBB7_981
; %bb.980:
	v_mov_b32_e32 v2, s16
	global_store_byte v[0:1], v2, off
	s_mov_b64 s[0:1], 0
.LBB7_981:
	s_andn2_b64 vcc, exec, s[0:1]
	s_cbranch_vccnz .LBB7_983
; %bb.982:
	v_mov_b32_e32 v2, s16
	global_store_byte v[0:1], v2, off
	s_endpgm
.LBB7_983:
	s_endpgm
.LBB7_984:
	s_trap 2
	s_or_b64 s[2:3], s[2:3], exec
	s_cbranch_execz .LBB7_899
	s_branch .LBB7_900
.LBB7_985:
	s_mov_b64 s[8:9], -1
	s_mov_b64 s[4:5], 0
                                        ; implicit-def: $sgpr10
.LBB7_986:
	s_andn2_b64 vcc, exec, s[8:9]
	v_mov_b32_e32 v3, s10
                                        ; implicit-def: $sgpr8
	s_cbranch_vccnz .LBB7_988
; %bb.987:
	v_add_f32_e32 v2, 0x42800000, v2
	v_and_b32_e32 v3, 0xff, v2
	s_mov_b32 s8, 0
	v_cmp_ne_u32_e64 s[4:5], 0, v3
.LBB7_988:
	s_andn2_b64 vcc, exec, s[4:5]
	v_mov_b32_e32 v4, s8
	s_cbranch_vccnz .LBB7_990
; %bb.989:
	v_mov_b32_e32 v4, v3
.LBB7_990:
	s_mov_b64 s[4:5], 0
	global_store_byte v[0:1], v4, off
.LBB7_991:
	s_and_b64 vcc, exec, s[4:5]
	s_cbranch_vccz .LBB7_1003
; %bb.992:
	v_cvt_f32_ubyte0_e32 v2, s16
	s_mov_b32 s4, 0x43f00000
	v_cmp_gt_u32_e32 vcc, s4, v2
	v_readfirstlane_b32 s8, v2
	s_cbranch_vccz .LBB7_995
; %bb.993:
	s_cmp_gt_u32 s8, 0x3c7fffff
	s_cbranch_scc0 .LBB7_996
; %bb.994:
	s_bfe_u32 s4, s8, 0x10014
	s_add_i32 s4, s8, s4
	s_add_i32 s4, s4, 0x407ffff
	s_lshr_b32 s5, s4, 20
	s_and_b32 s4, s4, 0xff00000
	s_cmp_lg_u32 s4, 0x7f00000
	s_cselect_b32 s9, s5, 0x7e
	s_mov_b64 s[4:5], 0
	s_branch .LBB7_997
.LBB7_995:
	s_mov_b64 s[4:5], -1
                                        ; implicit-def: $vgpr3
	s_branch .LBB7_1000
.LBB7_996:
	s_mov_b64 s[4:5], -1
                                        ; implicit-def: $sgpr9
.LBB7_997:
	s_andn2_b64 vcc, exec, s[4:5]
	v_mov_b32_e32 v3, s9
	s_cbranch_vccnz .LBB7_999
; %bb.998:
	v_add_f32_e32 v3, 0x46800000, v2
.LBB7_999:
	s_mov_b64 s[4:5], 0
.LBB7_1000:
	s_andn2_b64 vcc, exec, s[4:5]
	s_cbranch_vccnz .LBB7_1002
; %bb.1001:
	s_cmp_gt_u32 s8, 0x7f800000
	s_movk_i32 s4, 0x7f
	s_cselect_b32 s4, s4, 0x7e
	v_mov_b32_e32 v3, s4
.LBB7_1002:
	global_store_byte v[0:1], v3, off
.LBB7_1003:
	s_mov_b64 s[4:5], 0
.LBB7_1004:
	s_andn2_b64 vcc, exec, s[4:5]
	s_cbranch_vccnz .LBB7_1016
; %bb.1005:
	v_cvt_f32_ubyte0_e32 v2, s16
	s_mov_b32 s4, 0x47800000
	v_cmp_gt_u32_e32 vcc, s4, v2
	v_readfirstlane_b32 s8, v2
	s_cbranch_vccz .LBB7_1008
; %bb.1006:
	s_cmp_gt_u32 s8, 0x387fffff
	s_cbranch_scc0 .LBB7_1009
; %bb.1007:
	s_bfe_u32 s4, s8, 0x10015
	s_add_i32 s4, s8, s4
	s_add_i32 s4, s4, 0x80fffff
	s_lshr_b32 s9, s4, 21
	s_mov_b64 s[4:5], 0
	s_branch .LBB7_1010
.LBB7_1008:
	s_mov_b64 s[4:5], -1
                                        ; implicit-def: $vgpr3
	s_branch .LBB7_1013
.LBB7_1009:
	s_mov_b64 s[4:5], -1
                                        ; implicit-def: $sgpr9
.LBB7_1010:
	s_andn2_b64 vcc, exec, s[4:5]
	v_mov_b32_e32 v3, s9
	s_cbranch_vccnz .LBB7_1012
; %bb.1011:
	v_add_f32_e32 v3, 0x43000000, v2
.LBB7_1012:
	s_mov_b64 s[4:5], 0
.LBB7_1013:
	s_andn2_b64 vcc, exec, s[4:5]
	s_cbranch_vccnz .LBB7_1015
; %bb.1014:
	s_cmp_gt_u32 s8, 0x7f800000
	s_movk_i32 s4, 0x7f
	s_cselect_b32 s4, s4, 0x7c
	v_mov_b32_e32 v3, s4
.LBB7_1015:
	global_store_byte v[0:1], v3, off
.LBB7_1016:
	s_mov_b64 s[4:5], 0
.LBB7_1017:
	s_andn2_b64 vcc, exec, s[4:5]
	s_mov_b64 s[4:5], 0
	s_cbranch_vccnz .LBB7_1024
; %bb.1018:
	v_cmp_lt_i16_e32 vcc, 14, v8
	s_mov_b64 s[8:9], -1
	s_cbranch_vccz .LBB7_1022
; %bb.1019:
	v_cmp_eq_u16_e32 vcc, 15, v8
	s_mov_b64 s[0:1], -1
	s_cbranch_vccz .LBB7_1021
; %bb.1020:
	v_cvt_f32_ubyte0_e32 v2, s16
	v_bfe_u32 v3, v2, 16, 1
	v_add_u32_e32 v2, v2, v3
	v_add_u32_e32 v2, 0x7fff, v2
	global_store_short_d16_hi v[0:1], v2, off
	s_mov_b64 s[0:1], 0
.LBB7_1021:
	s_mov_b64 s[8:9], 0
.LBB7_1022:
	s_and_b64 vcc, exec, s[8:9]
	s_cbranch_vccz .LBB7_1024
; %bb.1023:
	v_cmp_ne_u16_e64 s[0:1], 11, v8
	s_mov_b64 s[4:5], -1
.LBB7_1024:
	s_and_b64 vcc, exec, s[0:1]
	s_cbranch_vccnz .LBB7_1026
.LBB7_1025:
	s_mov_b64 s[0:1], 0
	s_branch .LBB7_940
.LBB7_1026:
	s_mov_b64 s[4:5], 0
	s_or_b64 s[2:3], s[2:3], exec
	s_trap 2
	s_branch .LBB7_1025
	.section	.rodata,"a",@progbits
	.p2align	6, 0x0
	.amdhsa_kernel _ZN2at6native32elementwise_kernel_manual_unrollILi128ELi4EZNS0_15gpu_kernel_implINS0_11FillFunctorIhEEEEvRNS_18TensorIteratorBaseERKT_EUlibE0_EEviT1_
		.amdhsa_group_segment_fixed_size 0
		.amdhsa_private_segment_fixed_size 0
		.amdhsa_kernarg_size 288
		.amdhsa_user_sgpr_count 6
		.amdhsa_user_sgpr_private_segment_buffer 1
		.amdhsa_user_sgpr_dispatch_ptr 0
		.amdhsa_user_sgpr_queue_ptr 0
		.amdhsa_user_sgpr_kernarg_segment_ptr 1
		.amdhsa_user_sgpr_dispatch_id 0
		.amdhsa_user_sgpr_flat_scratch_init 0
		.amdhsa_user_sgpr_kernarg_preload_length 0
		.amdhsa_user_sgpr_kernarg_preload_offset 0
		.amdhsa_user_sgpr_private_segment_size 0
		.amdhsa_uses_dynamic_stack 0
		.amdhsa_system_sgpr_private_segment_wavefront_offset 0
		.amdhsa_system_sgpr_workgroup_id_x 1
		.amdhsa_system_sgpr_workgroup_id_y 0
		.amdhsa_system_sgpr_workgroup_id_z 0
		.amdhsa_system_sgpr_workgroup_info 0
		.amdhsa_system_vgpr_workitem_id 0
		.amdhsa_next_free_vgpr 26
		.amdhsa_next_free_sgpr 87
		.amdhsa_accum_offset 28
		.amdhsa_reserve_vcc 1
		.amdhsa_reserve_flat_scratch 0
		.amdhsa_float_round_mode_32 0
		.amdhsa_float_round_mode_16_64 0
		.amdhsa_float_denorm_mode_32 3
		.amdhsa_float_denorm_mode_16_64 3
		.amdhsa_dx10_clamp 1
		.amdhsa_ieee_mode 1
		.amdhsa_fp16_overflow 0
		.amdhsa_tg_split 0
		.amdhsa_exception_fp_ieee_invalid_op 0
		.amdhsa_exception_fp_denorm_src 0
		.amdhsa_exception_fp_ieee_div_zero 0
		.amdhsa_exception_fp_ieee_overflow 0
		.amdhsa_exception_fp_ieee_underflow 0
		.amdhsa_exception_fp_ieee_inexact 0
		.amdhsa_exception_int_div_zero 0
	.end_amdhsa_kernel
	.section	.text._ZN2at6native32elementwise_kernel_manual_unrollILi128ELi4EZNS0_15gpu_kernel_implINS0_11FillFunctorIhEEEEvRNS_18TensorIteratorBaseERKT_EUlibE0_EEviT1_,"axG",@progbits,_ZN2at6native32elementwise_kernel_manual_unrollILi128ELi4EZNS0_15gpu_kernel_implINS0_11FillFunctorIhEEEEvRNS_18TensorIteratorBaseERKT_EUlibE0_EEviT1_,comdat
.Lfunc_end7:
	.size	_ZN2at6native32elementwise_kernel_manual_unrollILi128ELi4EZNS0_15gpu_kernel_implINS0_11FillFunctorIhEEEEvRNS_18TensorIteratorBaseERKT_EUlibE0_EEviT1_, .Lfunc_end7-_ZN2at6native32elementwise_kernel_manual_unrollILi128ELi4EZNS0_15gpu_kernel_implINS0_11FillFunctorIhEEEEvRNS_18TensorIteratorBaseERKT_EUlibE0_EEviT1_
                                        ; -- End function
	.section	.AMDGPU.csdata,"",@progbits
; Kernel info:
; codeLenInByte = 16484
; NumSgprs: 91
; NumVgprs: 26
; NumAgprs: 0
; TotalNumVgprs: 26
; ScratchSize: 0
; MemoryBound: 0
; FloatMode: 240
; IeeeMode: 1
; LDSByteSize: 0 bytes/workgroup (compile time only)
; SGPRBlocks: 11
; VGPRBlocks: 3
; NumSGPRsForWavesPerEU: 91
; NumVGPRsForWavesPerEU: 26
; AccumOffset: 28
; Occupancy: 8
; WaveLimiterHint : 1
; COMPUTE_PGM_RSRC2:SCRATCH_EN: 0
; COMPUTE_PGM_RSRC2:USER_SGPR: 6
; COMPUTE_PGM_RSRC2:TRAP_HANDLER: 0
; COMPUTE_PGM_RSRC2:TGID_X_EN: 1
; COMPUTE_PGM_RSRC2:TGID_Y_EN: 0
; COMPUTE_PGM_RSRC2:TGID_Z_EN: 0
; COMPUTE_PGM_RSRC2:TIDIG_COMP_CNT: 0
; COMPUTE_PGM_RSRC3_GFX90A:ACCUM_OFFSET: 6
; COMPUTE_PGM_RSRC3_GFX90A:TG_SPLIT: 0
	.section	.text._ZN2at6native29vectorized_elementwise_kernelILi16ENS0_11FillFunctorIaEESt5arrayIPcLm1EEEEviT0_T1_,"axG",@progbits,_ZN2at6native29vectorized_elementwise_kernelILi16ENS0_11FillFunctorIaEESt5arrayIPcLm1EEEEviT0_T1_,comdat
	.protected	_ZN2at6native29vectorized_elementwise_kernelILi16ENS0_11FillFunctorIaEESt5arrayIPcLm1EEEEviT0_T1_ ; -- Begin function _ZN2at6native29vectorized_elementwise_kernelILi16ENS0_11FillFunctorIaEESt5arrayIPcLm1EEEEviT0_T1_
	.globl	_ZN2at6native29vectorized_elementwise_kernelILi16ENS0_11FillFunctorIaEESt5arrayIPcLm1EEEEviT0_T1_
	.p2align	8
	.type	_ZN2at6native29vectorized_elementwise_kernelILi16ENS0_11FillFunctorIaEESt5arrayIPcLm1EEEEviT0_T1_,@function
_ZN2at6native29vectorized_elementwise_kernelILi16ENS0_11FillFunctorIaEESt5arrayIPcLm1EEEEviT0_T1_: ; @_ZN2at6native29vectorized_elementwise_kernelILi16ENS0_11FillFunctorIaEESt5arrayIPcLm1EEEEviT0_T1_
; %bb.0:
	s_load_dwordx4 s[8:11], s[4:5], 0x0
	s_lshl_b32 s2, s6, 12
	s_mov_b64 s[0:1], -1
	s_waitcnt lgkmcnt(0)
	s_sub_i32 s3, s8, s2
	s_cmpk_gt_i32 s3, 0xfff
	v_lshlrev_b16_e64 v1, 8, s9
	s_cbranch_scc0 .LBB8_2
; %bb.1:
	v_or_b32_sdwa v2, s9, v1 dst_sel:DWORD dst_unused:UNUSED_PAD src0_sel:BYTE_0 src1_sel:DWORD
	s_ashr_i32 s1, s2, 31
	v_lshlrev_b32_e32 v3, 16, v2
	s_add_u32 s0, s10, s2
	v_or_b32_sdwa v2, v2, v3 dst_sel:DWORD dst_unused:UNUSED_PAD src0_sel:WORD_0 src1_sel:DWORD
	s_addc_u32 s1, s11, s1
	v_lshlrev_b32_e32 v6, 4, v0
	v_mov_b32_e32 v3, v2
	v_mov_b32_e32 v4, v2
	;; [unrolled: 1-line block ×3, first 2 shown]
	global_store_dwordx4 v6, v[2:5], s[0:1]
	s_mov_b64 s[0:1], 0
.LBB8_2:
	s_andn2_b64 vcc, exec, s[0:1]
	s_cbranch_vccnz .LBB8_20
; %bb.3:
	v_or_b32_e32 v5, 0x100, v0
	v_or_b32_sdwa v2, s9, v1 dst_sel:DWORD dst_unused:UNUSED_PAD src0_sel:BYTE_0 src1_sel:DWORD
	v_mov_b32_e32 v3, 0xffff
	v_and_b32_e32 v2, 0xffff, v2
	v_and_b32_sdwa v6, s9, v3 dst_sel:DWORD dst_unused:UNUSED_PAD src0_sel:BYTE_0 src1_sel:DWORD
	v_cmp_gt_i32_e64 s[0:1], s3, v5
	v_mov_b32_e32 v7, 16
	v_cndmask_b32_e64 v3, v6, v2, s[0:1]
	v_or_b32_e32 v4, 0x200, v0
	v_lshlrev_b32_sdwa v7, v7, s9 dst_sel:DWORD dst_unused:UNUSED_PAD src0_sel:DWORD src1_sel:BYTE_0
	v_or_b32_e32 v8, v3, v7
	v_cmp_gt_i32_e64 s[0:1], s3, v4
	s_movk_i32 s4, 0xff
	v_cndmask_b32_e64 v3, v3, v8, s[0:1]
	v_and_b32_sdwa v4, v3, s4 dst_sel:DWORD dst_unused:UNUSED_PAD src0_sel:WORD_1 src1_sel:DWORD
	s_mov_b32 s5, 0xffff
	v_or_b32_e32 v8, 0x300, v0
	v_or_b32_sdwa v4, v4, v1 dst_sel:WORD_1 dst_unused:UNUSED_PAD src0_sel:DWORD src1_sel:DWORD
	v_and_or_b32 v4, v3, s5, v4
	v_cmp_gt_i32_e64 s[0:1], s3, v8
	v_cndmask_b32_e64 v4, v3, v4, s[0:1]
	v_mov_b32_e32 v3, 0x3020104
	v_perm_b32 v8, s9, 0, v3
	v_or_b32_e32 v3, 0x400, v0
	v_cmp_gt_i32_e64 s[0:1], s3, v3
	v_cndmask_b32_e64 v3, 0, v8, s[0:1]
	v_mov_b32_e32 v9, 0x7060004
	v_or_b32_e32 v11, 0x500, v0
	v_perm_b32 v10, v3, s9, v9
	v_cmp_gt_i32_e64 s[0:1], s3, v11
	v_cndmask_b32_e64 v3, v3, v10, s[0:1]
	v_or_b32_e32 v10, 0x600, v0
	v_mov_b32_e32 v11, 0x7000504
	v_perm_b32 v12, v3, s9, v11
	v_cmp_gt_i32_e64 s[0:1], s3, v10
	v_cndmask_b32_e64 v3, v3, v12, s[0:1]
	v_or_b32_e32 v10, 0x700, v0
	v_mov_b32_e32 v12, 0x60504
	v_perm_b32 v13, v3, s9, v12
	v_cmp_gt_i32_e64 s[0:1], s3, v10
	v_or_b32_e32 v10, 0x900, v0
	v_cndmask_b32_e64 v3, v3, v13, s[0:1]
	v_cmp_gt_i32_e64 s[0:1], s3, v10
	v_cndmask_b32_e64 v2, v6, v2, s[0:1]
	v_or_b32_e32 v6, 0xa00, v0
	v_or_b32_e32 v7, v2, v7
	v_cmp_gt_i32_e64 s[0:1], s3, v6
	v_cndmask_b32_e64 v2, v2, v7, s[0:1]
	v_and_b32_sdwa v6, v2, s4 dst_sel:DWORD dst_unused:UNUSED_PAD src0_sel:WORD_1 src1_sel:DWORD
	v_or_b32_e32 v7, 0xb00, v0
	v_or_b32_sdwa v1, v6, v1 dst_sel:WORD_1 dst_unused:UNUSED_PAD src0_sel:DWORD src1_sel:DWORD
	v_and_or_b32 v1, v2, s5, v1
	v_cmp_gt_i32_e64 s[0:1], s3, v7
	v_cndmask_b32_e64 v2, v2, v1, s[0:1]
	v_or_b32_e32 v1, 0xc00, v0
	v_cmp_gt_i32_e64 s[0:1], s3, v1
	v_cndmask_b32_e64 v1, 0, v8, s[0:1]
	v_or_b32_e32 v7, 0xd00, v0
	v_perm_b32 v6, v1, s9, v9
	v_cmp_gt_i32_e64 s[0:1], s3, v7
	v_cndmask_b32_e64 v1, v1, v6, s[0:1]
	v_or_b32_e32 v6, 0xe00, v0
	v_perm_b32 v7, v1, s9, v11
	;; [unrolled: 4-line block ×3, first 2 shown]
	v_cmp_gt_i32_e64 s[0:1], s3, v6
	v_cmp_gt_i32_e32 vcc, s3, v0
	v_cndmask_b32_e64 v1, v1, v7, s[0:1]
	s_and_saveexec_b64 s[0:1], vcc
	s_cbranch_execnz .LBB8_21
; %bb.4:
	s_or_b64 exec, exec, s[0:1]
	v_cmp_gt_i32_e32 vcc, s3, v0
	s_and_saveexec_b64 s[0:1], vcc
	s_cbranch_execnz .LBB8_22
.LBB8_5:
	s_or_b64 exec, exec, s[0:1]
	v_cmp_gt_i32_e32 vcc, s3, v0
	s_and_saveexec_b64 s[0:1], vcc
	s_cbranch_execnz .LBB8_23
.LBB8_6:
	s_or_b64 exec, exec, s[0:1]
	v_cmp_gt_i32_e32 vcc, s3, v0
	s_and_saveexec_b64 s[0:1], vcc
	s_cbranch_execnz .LBB8_24
.LBB8_7:
	s_or_b64 exec, exec, s[0:1]
	v_cmp_gt_i32_e32 vcc, s3, v0
	s_and_saveexec_b64 s[0:1], vcc
	s_cbranch_execnz .LBB8_25
.LBB8_8:
	s_or_b64 exec, exec, s[0:1]
	v_cmp_gt_i32_e32 vcc, s3, v0
	s_and_saveexec_b64 s[0:1], vcc
	s_cbranch_execnz .LBB8_26
.LBB8_9:
	s_or_b64 exec, exec, s[0:1]
	v_cmp_gt_i32_e32 vcc, s3, v0
	s_and_saveexec_b64 s[0:1], vcc
	s_cbranch_execnz .LBB8_27
.LBB8_10:
	s_or_b64 exec, exec, s[0:1]
	v_cmp_gt_i32_e32 vcc, s3, v0
	s_and_saveexec_b64 s[0:1], vcc
	s_cbranch_execnz .LBB8_28
.LBB8_11:
	s_or_b64 exec, exec, s[0:1]
	v_cmp_gt_i32_e32 vcc, s3, v0
	s_and_saveexec_b64 s[0:1], vcc
	s_cbranch_execnz .LBB8_29
.LBB8_12:
	s_or_b64 exec, exec, s[0:1]
	v_cmp_gt_i32_e32 vcc, s3, v0
	s_and_saveexec_b64 s[0:1], vcc
	s_cbranch_execnz .LBB8_30
.LBB8_13:
	s_or_b64 exec, exec, s[0:1]
	v_cmp_gt_i32_e32 vcc, s3, v0
	s_and_saveexec_b64 s[0:1], vcc
	s_cbranch_execnz .LBB8_31
.LBB8_14:
	s_or_b64 exec, exec, s[0:1]
	v_cmp_gt_i32_e32 vcc, s3, v0
	s_and_saveexec_b64 s[0:1], vcc
	s_cbranch_execnz .LBB8_32
.LBB8_15:
	s_or_b64 exec, exec, s[0:1]
	v_cmp_gt_i32_e32 vcc, s3, v0
	s_and_saveexec_b64 s[0:1], vcc
	s_cbranch_execnz .LBB8_33
.LBB8_16:
	s_or_b64 exec, exec, s[0:1]
	v_cmp_gt_i32_e32 vcc, s3, v0
	s_and_saveexec_b64 s[0:1], vcc
	s_cbranch_execnz .LBB8_34
.LBB8_17:
	s_or_b64 exec, exec, s[0:1]
	v_cmp_gt_i32_e32 vcc, s3, v0
	s_and_saveexec_b64 s[0:1], vcc
	s_cbranch_execnz .LBB8_35
.LBB8_18:
	s_or_b64 exec, exec, s[0:1]
	v_cmp_gt_i32_e32 vcc, s3, v0
	s_and_saveexec_b64 s[0:1], vcc
	s_cbranch_execz .LBB8_20
.LBB8_19:
	v_add_u32_e32 v0, s2, v0
	v_lshrrev_b32_e32 v1, 24, v1
	global_store_byte v0, v1, s[10:11]
.LBB8_20:
	s_endpgm
.LBB8_21:
	v_or_b32_e32 v0, s2, v0
	global_store_byte v0, v4, s[10:11]
	v_mov_b32_e32 v0, v5
	s_or_b64 exec, exec, s[0:1]
	v_cmp_gt_i32_e32 vcc, s3, v0
	s_and_saveexec_b64 s[0:1], vcc
	s_cbranch_execz .LBB8_5
.LBB8_22:
	v_add_u32_e32 v5, s2, v0
	v_lshrrev_b32_e32 v6, 8, v4
	v_add_u32_e32 v0, 0x100, v0
	global_store_byte v5, v6, s[10:11]
	s_or_b64 exec, exec, s[0:1]
	v_cmp_gt_i32_e32 vcc, s3, v0
	s_and_saveexec_b64 s[0:1], vcc
	s_cbranch_execz .LBB8_6
.LBB8_23:
	v_add_u32_e32 v5, s2, v0
	v_add_u32_e32 v0, 0x100, v0
	global_store_byte_d16_hi v5, v4, s[10:11]
	s_or_b64 exec, exec, s[0:1]
	v_cmp_gt_i32_e32 vcc, s3, v0
	s_and_saveexec_b64 s[0:1], vcc
	s_cbranch_execz .LBB8_7
.LBB8_24:
	v_add_u32_e32 v5, s2, v0
	v_lshrrev_b32_e32 v4, 24, v4
	v_add_u32_e32 v0, 0x100, v0
	global_store_byte v5, v4, s[10:11]
	s_or_b64 exec, exec, s[0:1]
	v_cmp_gt_i32_e32 vcc, s3, v0
	s_and_saveexec_b64 s[0:1], vcc
	s_cbranch_execz .LBB8_8
.LBB8_25:
	v_add_u32_e32 v4, s2, v0
	v_add_u32_e32 v0, 0x100, v0
	global_store_byte v4, v3, s[10:11]
	s_or_b64 exec, exec, s[0:1]
	v_cmp_gt_i32_e32 vcc, s3, v0
	s_and_saveexec_b64 s[0:1], vcc
	s_cbranch_execz .LBB8_9
.LBB8_26:
	v_add_u32_e32 v4, s2, v0
	v_lshrrev_b32_e32 v5, 8, v3
	v_add_u32_e32 v0, 0x100, v0
	global_store_byte v4, v5, s[10:11]
	s_or_b64 exec, exec, s[0:1]
	v_cmp_gt_i32_e32 vcc, s3, v0
	s_and_saveexec_b64 s[0:1], vcc
	s_cbranch_execz .LBB8_10
.LBB8_27:
	v_add_u32_e32 v4, s2, v0
	v_add_u32_e32 v0, 0x100, v0
	global_store_byte_d16_hi v4, v3, s[10:11]
	s_or_b64 exec, exec, s[0:1]
	v_cmp_gt_i32_e32 vcc, s3, v0
	s_and_saveexec_b64 s[0:1], vcc
	s_cbranch_execz .LBB8_11
.LBB8_28:
	v_add_u32_e32 v4, s2, v0
	v_lshrrev_b32_e32 v3, 24, v3
	v_add_u32_e32 v0, 0x100, v0
	global_store_byte v4, v3, s[10:11]
	s_or_b64 exec, exec, s[0:1]
	v_cmp_gt_i32_e32 vcc, s3, v0
	s_and_saveexec_b64 s[0:1], vcc
	s_cbranch_execz .LBB8_12
.LBB8_29:
	v_add_u32_e32 v3, s2, v0
	v_add_u32_e32 v0, 0x100, v0
	global_store_byte v3, v2, s[10:11]
	s_or_b64 exec, exec, s[0:1]
	v_cmp_gt_i32_e32 vcc, s3, v0
	s_and_saveexec_b64 s[0:1], vcc
	s_cbranch_execz .LBB8_13
.LBB8_30:
	v_add_u32_e32 v3, s2, v0
	v_lshrrev_b32_e32 v4, 8, v2
	v_add_u32_e32 v0, 0x100, v0
	global_store_byte v3, v4, s[10:11]
	s_or_b64 exec, exec, s[0:1]
	v_cmp_gt_i32_e32 vcc, s3, v0
	s_and_saveexec_b64 s[0:1], vcc
	s_cbranch_execz .LBB8_14
.LBB8_31:
	v_add_u32_e32 v3, s2, v0
	v_add_u32_e32 v0, 0x100, v0
	global_store_byte_d16_hi v3, v2, s[10:11]
	s_or_b64 exec, exec, s[0:1]
	v_cmp_gt_i32_e32 vcc, s3, v0
	s_and_saveexec_b64 s[0:1], vcc
	s_cbranch_execz .LBB8_15
.LBB8_32:
	v_add_u32_e32 v3, s2, v0
	v_lshrrev_b32_e32 v2, 24, v2
	v_add_u32_e32 v0, 0x100, v0
	global_store_byte v3, v2, s[10:11]
	s_or_b64 exec, exec, s[0:1]
	v_cmp_gt_i32_e32 vcc, s3, v0
	s_and_saveexec_b64 s[0:1], vcc
	s_cbranch_execz .LBB8_16
.LBB8_33:
	v_add_u32_e32 v2, s2, v0
	v_add_u32_e32 v0, 0x100, v0
	global_store_byte v2, v1, s[10:11]
	s_or_b64 exec, exec, s[0:1]
	v_cmp_gt_i32_e32 vcc, s3, v0
	s_and_saveexec_b64 s[0:1], vcc
	s_cbranch_execz .LBB8_17
.LBB8_34:
	v_add_u32_e32 v2, s2, v0
	v_lshrrev_b32_e32 v3, 8, v1
	v_add_u32_e32 v0, 0x100, v0
	global_store_byte v2, v3, s[10:11]
	s_or_b64 exec, exec, s[0:1]
	v_cmp_gt_i32_e32 vcc, s3, v0
	s_and_saveexec_b64 s[0:1], vcc
	s_cbranch_execz .LBB8_18
.LBB8_35:
	v_add_u32_e32 v2, s2, v0
	v_add_u32_e32 v0, 0x100, v0
	global_store_byte_d16_hi v2, v1, s[10:11]
	s_or_b64 exec, exec, s[0:1]
	v_cmp_gt_i32_e32 vcc, s3, v0
	s_and_saveexec_b64 s[0:1], vcc
	s_cbranch_execnz .LBB8_19
	s_branch .LBB8_20
	.section	.rodata,"a",@progbits
	.p2align	6, 0x0
	.amdhsa_kernel _ZN2at6native29vectorized_elementwise_kernelILi16ENS0_11FillFunctorIaEESt5arrayIPcLm1EEEEviT0_T1_
		.amdhsa_group_segment_fixed_size 0
		.amdhsa_private_segment_fixed_size 0
		.amdhsa_kernarg_size 16
		.amdhsa_user_sgpr_count 6
		.amdhsa_user_sgpr_private_segment_buffer 1
		.amdhsa_user_sgpr_dispatch_ptr 0
		.amdhsa_user_sgpr_queue_ptr 0
		.amdhsa_user_sgpr_kernarg_segment_ptr 1
		.amdhsa_user_sgpr_dispatch_id 0
		.amdhsa_user_sgpr_flat_scratch_init 0
		.amdhsa_user_sgpr_kernarg_preload_length 0
		.amdhsa_user_sgpr_kernarg_preload_offset 0
		.amdhsa_user_sgpr_private_segment_size 0
		.amdhsa_uses_dynamic_stack 0
		.amdhsa_system_sgpr_private_segment_wavefront_offset 0
		.amdhsa_system_sgpr_workgroup_id_x 1
		.amdhsa_system_sgpr_workgroup_id_y 0
		.amdhsa_system_sgpr_workgroup_id_z 0
		.amdhsa_system_sgpr_workgroup_info 0
		.amdhsa_system_vgpr_workitem_id 0
		.amdhsa_next_free_vgpr 14
		.amdhsa_next_free_sgpr 12
		.amdhsa_accum_offset 16
		.amdhsa_reserve_vcc 1
		.amdhsa_reserve_flat_scratch 0
		.amdhsa_float_round_mode_32 0
		.amdhsa_float_round_mode_16_64 0
		.amdhsa_float_denorm_mode_32 3
		.amdhsa_float_denorm_mode_16_64 3
		.amdhsa_dx10_clamp 1
		.amdhsa_ieee_mode 1
		.amdhsa_fp16_overflow 0
		.amdhsa_tg_split 0
		.amdhsa_exception_fp_ieee_invalid_op 0
		.amdhsa_exception_fp_denorm_src 0
		.amdhsa_exception_fp_ieee_div_zero 0
		.amdhsa_exception_fp_ieee_overflow 0
		.amdhsa_exception_fp_ieee_underflow 0
		.amdhsa_exception_fp_ieee_inexact 0
		.amdhsa_exception_int_div_zero 0
	.end_amdhsa_kernel
	.section	.text._ZN2at6native29vectorized_elementwise_kernelILi16ENS0_11FillFunctorIaEESt5arrayIPcLm1EEEEviT0_T1_,"axG",@progbits,_ZN2at6native29vectorized_elementwise_kernelILi16ENS0_11FillFunctorIaEESt5arrayIPcLm1EEEEviT0_T1_,comdat
.Lfunc_end8:
	.size	_ZN2at6native29vectorized_elementwise_kernelILi16ENS0_11FillFunctorIaEESt5arrayIPcLm1EEEEviT0_T1_, .Lfunc_end8-_ZN2at6native29vectorized_elementwise_kernelILi16ENS0_11FillFunctorIaEESt5arrayIPcLm1EEEEviT0_T1_
                                        ; -- End function
	.section	.AMDGPU.csdata,"",@progbits
; Kernel info:
; codeLenInByte = 1484
; NumSgprs: 16
; NumVgprs: 14
; NumAgprs: 0
; TotalNumVgprs: 14
; ScratchSize: 0
; MemoryBound: 0
; FloatMode: 240
; IeeeMode: 1
; LDSByteSize: 0 bytes/workgroup (compile time only)
; SGPRBlocks: 1
; VGPRBlocks: 1
; NumSGPRsForWavesPerEU: 16
; NumVGPRsForWavesPerEU: 14
; AccumOffset: 16
; Occupancy: 8
; WaveLimiterHint : 0
; COMPUTE_PGM_RSRC2:SCRATCH_EN: 0
; COMPUTE_PGM_RSRC2:USER_SGPR: 6
; COMPUTE_PGM_RSRC2:TRAP_HANDLER: 0
; COMPUTE_PGM_RSRC2:TGID_X_EN: 1
; COMPUTE_PGM_RSRC2:TGID_Y_EN: 0
; COMPUTE_PGM_RSRC2:TGID_Z_EN: 0
; COMPUTE_PGM_RSRC2:TIDIG_COMP_CNT: 0
; COMPUTE_PGM_RSRC3_GFX90A:ACCUM_OFFSET: 3
; COMPUTE_PGM_RSRC3_GFX90A:TG_SPLIT: 0
	.section	.text._ZN2at6native29vectorized_elementwise_kernelILi8ENS0_11FillFunctorIaEESt5arrayIPcLm1EEEEviT0_T1_,"axG",@progbits,_ZN2at6native29vectorized_elementwise_kernelILi8ENS0_11FillFunctorIaEESt5arrayIPcLm1EEEEviT0_T1_,comdat
	.protected	_ZN2at6native29vectorized_elementwise_kernelILi8ENS0_11FillFunctorIaEESt5arrayIPcLm1EEEEviT0_T1_ ; -- Begin function _ZN2at6native29vectorized_elementwise_kernelILi8ENS0_11FillFunctorIaEESt5arrayIPcLm1EEEEviT0_T1_
	.globl	_ZN2at6native29vectorized_elementwise_kernelILi8ENS0_11FillFunctorIaEESt5arrayIPcLm1EEEEviT0_T1_
	.p2align	8
	.type	_ZN2at6native29vectorized_elementwise_kernelILi8ENS0_11FillFunctorIaEESt5arrayIPcLm1EEEEviT0_T1_,@function
_ZN2at6native29vectorized_elementwise_kernelILi8ENS0_11FillFunctorIaEESt5arrayIPcLm1EEEEviT0_T1_: ; @_ZN2at6native29vectorized_elementwise_kernelILi8ENS0_11FillFunctorIaEESt5arrayIPcLm1EEEEviT0_T1_
; %bb.0:
	s_load_dwordx4 s[8:11], s[4:5], 0x0
	s_lshl_b32 s2, s6, 12
	s_mov_b64 s[0:1], -1
	s_waitcnt lgkmcnt(0)
	s_sub_i32 s3, s8, s2
	s_cmpk_gt_i32 s3, 0xfff
	s_cbranch_scc0 .LBB9_2
; %bb.1:
	s_ashr_i32 s1, s2, 31
	s_add_u32 s0, s10, s2
	s_addc_u32 s1, s11, s1
	s_and_b32 s4, s9, 0xff
	s_mul_i32 s4, s4, 0x1010101
	s_mov_b32 s5, s4
	v_lshlrev_b32_e32 v1, 3, v0
	v_pk_mov_b32 v[2:3], s[4:5], s[4:5] op_sel:[0,1]
	global_store_dwordx2 v1, v[2:3], s[0:1]
	global_store_dwordx2 v1, v[2:3], s[0:1] offset:2048
	s_mov_b64 s[0:1], 0
.LBB9_2:
	s_andn2_b64 vcc, exec, s[0:1]
	s_cbranch_vccnz .LBB9_20
; %bb.3:
	v_lshlrev_b16_e64 v1, 8, s9
	v_or_b32_e32 v5, 0x100, v0
	v_or_b32_sdwa v2, s9, v1 dst_sel:DWORD dst_unused:UNUSED_PAD src0_sel:BYTE_0 src1_sel:DWORD
	v_mov_b32_e32 v3, 0xffff
	v_and_b32_e32 v2, 0xffff, v2
	v_and_b32_sdwa v6, s9, v3 dst_sel:DWORD dst_unused:UNUSED_PAD src0_sel:BYTE_0 src1_sel:DWORD
	v_cmp_gt_i32_e64 s[0:1], s3, v5
	v_mov_b32_e32 v7, 16
	v_cndmask_b32_e64 v3, v6, v2, s[0:1]
	v_or_b32_e32 v4, 0x200, v0
	v_lshlrev_b32_sdwa v7, v7, s9 dst_sel:DWORD dst_unused:UNUSED_PAD src0_sel:DWORD src1_sel:BYTE_0
	v_or_b32_e32 v8, v3, v7
	v_cmp_gt_i32_e64 s[0:1], s3, v4
	s_movk_i32 s4, 0xff
	v_cndmask_b32_e64 v3, v3, v8, s[0:1]
	v_and_b32_sdwa v4, v3, s4 dst_sel:DWORD dst_unused:UNUSED_PAD src0_sel:WORD_1 src1_sel:DWORD
	s_mov_b32 s5, 0xffff
	v_or_b32_e32 v8, 0x300, v0
	v_or_b32_sdwa v4, v4, v1 dst_sel:WORD_1 dst_unused:UNUSED_PAD src0_sel:DWORD src1_sel:DWORD
	v_and_or_b32 v4, v3, s5, v4
	v_cmp_gt_i32_e64 s[0:1], s3, v8
	v_cndmask_b32_e64 v4, v3, v4, s[0:1]
	v_mov_b32_e32 v3, 0x3020104
	v_perm_b32 v8, s9, 0, v3
	v_or_b32_e32 v3, 0x400, v0
	v_cmp_gt_i32_e64 s[0:1], s3, v3
	v_cndmask_b32_e64 v3, 0, v8, s[0:1]
	v_mov_b32_e32 v9, 0x7060004
	v_or_b32_e32 v11, 0x500, v0
	v_perm_b32 v10, v3, s9, v9
	v_cmp_gt_i32_e64 s[0:1], s3, v11
	v_cndmask_b32_e64 v3, v3, v10, s[0:1]
	v_or_b32_e32 v10, 0x600, v0
	v_mov_b32_e32 v11, 0x7000504
	v_perm_b32 v12, v3, s9, v11
	v_cmp_gt_i32_e64 s[0:1], s3, v10
	v_cndmask_b32_e64 v3, v3, v12, s[0:1]
	v_or_b32_e32 v10, 0x700, v0
	v_mov_b32_e32 v12, 0x60504
	v_perm_b32 v13, v3, s9, v12
	v_cmp_gt_i32_e64 s[0:1], s3, v10
	v_or_b32_e32 v10, 0x900, v0
	v_cndmask_b32_e64 v3, v3, v13, s[0:1]
	v_cmp_gt_i32_e64 s[0:1], s3, v10
	v_cndmask_b32_e64 v2, v6, v2, s[0:1]
	v_or_b32_e32 v6, 0xa00, v0
	v_or_b32_e32 v7, v2, v7
	v_cmp_gt_i32_e64 s[0:1], s3, v6
	v_cndmask_b32_e64 v2, v2, v7, s[0:1]
	v_and_b32_sdwa v6, v2, s4 dst_sel:DWORD dst_unused:UNUSED_PAD src0_sel:WORD_1 src1_sel:DWORD
	v_or_b32_e32 v7, 0xb00, v0
	v_or_b32_sdwa v1, v6, v1 dst_sel:WORD_1 dst_unused:UNUSED_PAD src0_sel:DWORD src1_sel:DWORD
	v_and_or_b32 v1, v2, s5, v1
	v_cmp_gt_i32_e64 s[0:1], s3, v7
	v_cndmask_b32_e64 v2, v2, v1, s[0:1]
	v_or_b32_e32 v1, 0xc00, v0
	v_cmp_gt_i32_e64 s[0:1], s3, v1
	v_cndmask_b32_e64 v1, 0, v8, s[0:1]
	v_or_b32_e32 v7, 0xd00, v0
	v_perm_b32 v6, v1, s9, v9
	v_cmp_gt_i32_e64 s[0:1], s3, v7
	v_cndmask_b32_e64 v1, v1, v6, s[0:1]
	v_or_b32_e32 v6, 0xe00, v0
	v_perm_b32 v7, v1, s9, v11
	;; [unrolled: 4-line block ×3, first 2 shown]
	v_cmp_gt_i32_e64 s[0:1], s3, v6
	v_cmp_gt_i32_e32 vcc, s3, v0
	v_cndmask_b32_e64 v1, v1, v7, s[0:1]
	s_and_saveexec_b64 s[0:1], vcc
	s_cbranch_execnz .LBB9_21
; %bb.4:
	s_or_b64 exec, exec, s[0:1]
	v_cmp_gt_i32_e32 vcc, s3, v0
	s_and_saveexec_b64 s[0:1], vcc
	s_cbranch_execnz .LBB9_22
.LBB9_5:
	s_or_b64 exec, exec, s[0:1]
	v_cmp_gt_i32_e32 vcc, s3, v0
	s_and_saveexec_b64 s[0:1], vcc
	s_cbranch_execnz .LBB9_23
.LBB9_6:
	s_or_b64 exec, exec, s[0:1]
	v_cmp_gt_i32_e32 vcc, s3, v0
	s_and_saveexec_b64 s[0:1], vcc
	s_cbranch_execnz .LBB9_24
.LBB9_7:
	s_or_b64 exec, exec, s[0:1]
	v_cmp_gt_i32_e32 vcc, s3, v0
	s_and_saveexec_b64 s[0:1], vcc
	s_cbranch_execnz .LBB9_25
.LBB9_8:
	s_or_b64 exec, exec, s[0:1]
	v_cmp_gt_i32_e32 vcc, s3, v0
	s_and_saveexec_b64 s[0:1], vcc
	s_cbranch_execnz .LBB9_26
.LBB9_9:
	s_or_b64 exec, exec, s[0:1]
	v_cmp_gt_i32_e32 vcc, s3, v0
	s_and_saveexec_b64 s[0:1], vcc
	s_cbranch_execnz .LBB9_27
.LBB9_10:
	s_or_b64 exec, exec, s[0:1]
	v_cmp_gt_i32_e32 vcc, s3, v0
	s_and_saveexec_b64 s[0:1], vcc
	s_cbranch_execnz .LBB9_28
.LBB9_11:
	s_or_b64 exec, exec, s[0:1]
	v_cmp_gt_i32_e32 vcc, s3, v0
	s_and_saveexec_b64 s[0:1], vcc
	s_cbranch_execnz .LBB9_29
.LBB9_12:
	s_or_b64 exec, exec, s[0:1]
	v_cmp_gt_i32_e32 vcc, s3, v0
	s_and_saveexec_b64 s[0:1], vcc
	s_cbranch_execnz .LBB9_30
.LBB9_13:
	s_or_b64 exec, exec, s[0:1]
	v_cmp_gt_i32_e32 vcc, s3, v0
	s_and_saveexec_b64 s[0:1], vcc
	s_cbranch_execnz .LBB9_31
.LBB9_14:
	s_or_b64 exec, exec, s[0:1]
	v_cmp_gt_i32_e32 vcc, s3, v0
	s_and_saveexec_b64 s[0:1], vcc
	s_cbranch_execnz .LBB9_32
.LBB9_15:
	s_or_b64 exec, exec, s[0:1]
	v_cmp_gt_i32_e32 vcc, s3, v0
	s_and_saveexec_b64 s[0:1], vcc
	s_cbranch_execnz .LBB9_33
.LBB9_16:
	s_or_b64 exec, exec, s[0:1]
	v_cmp_gt_i32_e32 vcc, s3, v0
	s_and_saveexec_b64 s[0:1], vcc
	s_cbranch_execnz .LBB9_34
.LBB9_17:
	s_or_b64 exec, exec, s[0:1]
	v_cmp_gt_i32_e32 vcc, s3, v0
	s_and_saveexec_b64 s[0:1], vcc
	s_cbranch_execnz .LBB9_35
.LBB9_18:
	s_or_b64 exec, exec, s[0:1]
	v_cmp_gt_i32_e32 vcc, s3, v0
	s_and_saveexec_b64 s[0:1], vcc
	s_cbranch_execz .LBB9_20
.LBB9_19:
	v_add_u32_e32 v0, s2, v0
	v_lshrrev_b32_e32 v1, 24, v1
	global_store_byte v0, v1, s[10:11]
.LBB9_20:
	s_endpgm
.LBB9_21:
	v_or_b32_e32 v0, s2, v0
	global_store_byte v0, v4, s[10:11]
	v_mov_b32_e32 v0, v5
	s_or_b64 exec, exec, s[0:1]
	v_cmp_gt_i32_e32 vcc, s3, v0
	s_and_saveexec_b64 s[0:1], vcc
	s_cbranch_execz .LBB9_5
.LBB9_22:
	v_add_u32_e32 v5, s2, v0
	v_lshrrev_b32_e32 v6, 8, v4
	v_add_u32_e32 v0, 0x100, v0
	global_store_byte v5, v6, s[10:11]
	s_or_b64 exec, exec, s[0:1]
	v_cmp_gt_i32_e32 vcc, s3, v0
	s_and_saveexec_b64 s[0:1], vcc
	s_cbranch_execz .LBB9_6
.LBB9_23:
	v_add_u32_e32 v5, s2, v0
	v_add_u32_e32 v0, 0x100, v0
	global_store_byte_d16_hi v5, v4, s[10:11]
	s_or_b64 exec, exec, s[0:1]
	v_cmp_gt_i32_e32 vcc, s3, v0
	s_and_saveexec_b64 s[0:1], vcc
	s_cbranch_execz .LBB9_7
.LBB9_24:
	v_add_u32_e32 v5, s2, v0
	v_lshrrev_b32_e32 v4, 24, v4
	v_add_u32_e32 v0, 0x100, v0
	global_store_byte v5, v4, s[10:11]
	s_or_b64 exec, exec, s[0:1]
	v_cmp_gt_i32_e32 vcc, s3, v0
	s_and_saveexec_b64 s[0:1], vcc
	s_cbranch_execz .LBB9_8
.LBB9_25:
	v_add_u32_e32 v4, s2, v0
	v_add_u32_e32 v0, 0x100, v0
	global_store_byte v4, v3, s[10:11]
	s_or_b64 exec, exec, s[0:1]
	v_cmp_gt_i32_e32 vcc, s3, v0
	s_and_saveexec_b64 s[0:1], vcc
	s_cbranch_execz .LBB9_9
.LBB9_26:
	v_add_u32_e32 v4, s2, v0
	v_lshrrev_b32_e32 v5, 8, v3
	v_add_u32_e32 v0, 0x100, v0
	global_store_byte v4, v5, s[10:11]
	s_or_b64 exec, exec, s[0:1]
	v_cmp_gt_i32_e32 vcc, s3, v0
	s_and_saveexec_b64 s[0:1], vcc
	s_cbranch_execz .LBB9_10
.LBB9_27:
	v_add_u32_e32 v4, s2, v0
	v_add_u32_e32 v0, 0x100, v0
	global_store_byte_d16_hi v4, v3, s[10:11]
	s_or_b64 exec, exec, s[0:1]
	v_cmp_gt_i32_e32 vcc, s3, v0
	s_and_saveexec_b64 s[0:1], vcc
	s_cbranch_execz .LBB9_11
.LBB9_28:
	v_add_u32_e32 v4, s2, v0
	v_lshrrev_b32_e32 v3, 24, v3
	v_add_u32_e32 v0, 0x100, v0
	global_store_byte v4, v3, s[10:11]
	s_or_b64 exec, exec, s[0:1]
	v_cmp_gt_i32_e32 vcc, s3, v0
	s_and_saveexec_b64 s[0:1], vcc
	s_cbranch_execz .LBB9_12
.LBB9_29:
	v_add_u32_e32 v3, s2, v0
	v_add_u32_e32 v0, 0x100, v0
	global_store_byte v3, v2, s[10:11]
	s_or_b64 exec, exec, s[0:1]
	v_cmp_gt_i32_e32 vcc, s3, v0
	s_and_saveexec_b64 s[0:1], vcc
	s_cbranch_execz .LBB9_13
.LBB9_30:
	v_add_u32_e32 v3, s2, v0
	v_lshrrev_b32_e32 v4, 8, v2
	v_add_u32_e32 v0, 0x100, v0
	global_store_byte v3, v4, s[10:11]
	s_or_b64 exec, exec, s[0:1]
	v_cmp_gt_i32_e32 vcc, s3, v0
	s_and_saveexec_b64 s[0:1], vcc
	s_cbranch_execz .LBB9_14
.LBB9_31:
	v_add_u32_e32 v3, s2, v0
	v_add_u32_e32 v0, 0x100, v0
	global_store_byte_d16_hi v3, v2, s[10:11]
	s_or_b64 exec, exec, s[0:1]
	v_cmp_gt_i32_e32 vcc, s3, v0
	s_and_saveexec_b64 s[0:1], vcc
	s_cbranch_execz .LBB9_15
.LBB9_32:
	v_add_u32_e32 v3, s2, v0
	v_lshrrev_b32_e32 v2, 24, v2
	v_add_u32_e32 v0, 0x100, v0
	global_store_byte v3, v2, s[10:11]
	s_or_b64 exec, exec, s[0:1]
	v_cmp_gt_i32_e32 vcc, s3, v0
	s_and_saveexec_b64 s[0:1], vcc
	s_cbranch_execz .LBB9_16
.LBB9_33:
	v_add_u32_e32 v2, s2, v0
	v_add_u32_e32 v0, 0x100, v0
	global_store_byte v2, v1, s[10:11]
	s_or_b64 exec, exec, s[0:1]
	v_cmp_gt_i32_e32 vcc, s3, v0
	s_and_saveexec_b64 s[0:1], vcc
	s_cbranch_execz .LBB9_17
.LBB9_34:
	v_add_u32_e32 v2, s2, v0
	v_lshrrev_b32_e32 v3, 8, v1
	v_add_u32_e32 v0, 0x100, v0
	global_store_byte v2, v3, s[10:11]
	s_or_b64 exec, exec, s[0:1]
	v_cmp_gt_i32_e32 vcc, s3, v0
	s_and_saveexec_b64 s[0:1], vcc
	s_cbranch_execz .LBB9_18
.LBB9_35:
	v_add_u32_e32 v2, s2, v0
	v_add_u32_e32 v0, 0x100, v0
	global_store_byte_d16_hi v2, v1, s[10:11]
	s_or_b64 exec, exec, s[0:1]
	v_cmp_gt_i32_e32 vcc, s3, v0
	s_and_saveexec_b64 s[0:1], vcc
	s_cbranch_execnz .LBB9_19
	s_branch .LBB9_20
	.section	.rodata,"a",@progbits
	.p2align	6, 0x0
	.amdhsa_kernel _ZN2at6native29vectorized_elementwise_kernelILi8ENS0_11FillFunctorIaEESt5arrayIPcLm1EEEEviT0_T1_
		.amdhsa_group_segment_fixed_size 0
		.amdhsa_private_segment_fixed_size 0
		.amdhsa_kernarg_size 16
		.amdhsa_user_sgpr_count 6
		.amdhsa_user_sgpr_private_segment_buffer 1
		.amdhsa_user_sgpr_dispatch_ptr 0
		.amdhsa_user_sgpr_queue_ptr 0
		.amdhsa_user_sgpr_kernarg_segment_ptr 1
		.amdhsa_user_sgpr_dispatch_id 0
		.amdhsa_user_sgpr_flat_scratch_init 0
		.amdhsa_user_sgpr_kernarg_preload_length 0
		.amdhsa_user_sgpr_kernarg_preload_offset 0
		.amdhsa_user_sgpr_private_segment_size 0
		.amdhsa_uses_dynamic_stack 0
		.amdhsa_system_sgpr_private_segment_wavefront_offset 0
		.amdhsa_system_sgpr_workgroup_id_x 1
		.amdhsa_system_sgpr_workgroup_id_y 0
		.amdhsa_system_sgpr_workgroup_id_z 0
		.amdhsa_system_sgpr_workgroup_info 0
		.amdhsa_system_vgpr_workitem_id 0
		.amdhsa_next_free_vgpr 14
		.amdhsa_next_free_sgpr 12
		.amdhsa_accum_offset 16
		.amdhsa_reserve_vcc 1
		.amdhsa_reserve_flat_scratch 0
		.amdhsa_float_round_mode_32 0
		.amdhsa_float_round_mode_16_64 0
		.amdhsa_float_denorm_mode_32 3
		.amdhsa_float_denorm_mode_16_64 3
		.amdhsa_dx10_clamp 1
		.amdhsa_ieee_mode 1
		.amdhsa_fp16_overflow 0
		.amdhsa_tg_split 0
		.amdhsa_exception_fp_ieee_invalid_op 0
		.amdhsa_exception_fp_denorm_src 0
		.amdhsa_exception_fp_ieee_div_zero 0
		.amdhsa_exception_fp_ieee_overflow 0
		.amdhsa_exception_fp_ieee_underflow 0
		.amdhsa_exception_fp_ieee_inexact 0
		.amdhsa_exception_int_div_zero 0
	.end_amdhsa_kernel
	.section	.text._ZN2at6native29vectorized_elementwise_kernelILi8ENS0_11FillFunctorIaEESt5arrayIPcLm1EEEEviT0_T1_,"axG",@progbits,_ZN2at6native29vectorized_elementwise_kernelILi8ENS0_11FillFunctorIaEESt5arrayIPcLm1EEEEviT0_T1_,comdat
.Lfunc_end9:
	.size	_ZN2at6native29vectorized_elementwise_kernelILi8ENS0_11FillFunctorIaEESt5arrayIPcLm1EEEEviT0_T1_, .Lfunc_end9-_ZN2at6native29vectorized_elementwise_kernelILi8ENS0_11FillFunctorIaEESt5arrayIPcLm1EEEEviT0_T1_
                                        ; -- End function
	.section	.AMDGPU.csdata,"",@progbits
; Kernel info:
; codeLenInByte = 1488
; NumSgprs: 16
; NumVgprs: 14
; NumAgprs: 0
; TotalNumVgprs: 14
; ScratchSize: 0
; MemoryBound: 0
; FloatMode: 240
; IeeeMode: 1
; LDSByteSize: 0 bytes/workgroup (compile time only)
; SGPRBlocks: 1
; VGPRBlocks: 1
; NumSGPRsForWavesPerEU: 16
; NumVGPRsForWavesPerEU: 14
; AccumOffset: 16
; Occupancy: 8
; WaveLimiterHint : 1
; COMPUTE_PGM_RSRC2:SCRATCH_EN: 0
; COMPUTE_PGM_RSRC2:USER_SGPR: 6
; COMPUTE_PGM_RSRC2:TRAP_HANDLER: 0
; COMPUTE_PGM_RSRC2:TGID_X_EN: 1
; COMPUTE_PGM_RSRC2:TGID_Y_EN: 0
; COMPUTE_PGM_RSRC2:TGID_Z_EN: 0
; COMPUTE_PGM_RSRC2:TIDIG_COMP_CNT: 0
; COMPUTE_PGM_RSRC3_GFX90A:ACCUM_OFFSET: 3
; COMPUTE_PGM_RSRC3_GFX90A:TG_SPLIT: 0
	.section	.text._ZN2at6native29vectorized_elementwise_kernelILi4ENS0_11FillFunctorIaEESt5arrayIPcLm1EEEEviT0_T1_,"axG",@progbits,_ZN2at6native29vectorized_elementwise_kernelILi4ENS0_11FillFunctorIaEESt5arrayIPcLm1EEEEviT0_T1_,comdat
	.protected	_ZN2at6native29vectorized_elementwise_kernelILi4ENS0_11FillFunctorIaEESt5arrayIPcLm1EEEEviT0_T1_ ; -- Begin function _ZN2at6native29vectorized_elementwise_kernelILi4ENS0_11FillFunctorIaEESt5arrayIPcLm1EEEEviT0_T1_
	.globl	_ZN2at6native29vectorized_elementwise_kernelILi4ENS0_11FillFunctorIaEESt5arrayIPcLm1EEEEviT0_T1_
	.p2align	8
	.type	_ZN2at6native29vectorized_elementwise_kernelILi4ENS0_11FillFunctorIaEESt5arrayIPcLm1EEEEviT0_T1_,@function
_ZN2at6native29vectorized_elementwise_kernelILi4ENS0_11FillFunctorIaEESt5arrayIPcLm1EEEEviT0_T1_: ; @_ZN2at6native29vectorized_elementwise_kernelILi4ENS0_11FillFunctorIaEESt5arrayIPcLm1EEEEviT0_T1_
; %bb.0:
	s_load_dwordx4 s[8:11], s[4:5], 0x0
	s_lshl_b32 s2, s6, 12
	s_mov_b64 s[0:1], -1
	s_waitcnt lgkmcnt(0)
	s_sub_i32 s3, s8, s2
	s_cmpk_gt_i32 s3, 0xfff
	s_cbranch_scc0 .LBB10_2
; %bb.1:
	s_ashr_i32 s1, s2, 31
	s_add_u32 s0, s10, s2
	s_addc_u32 s1, s11, s1
	s_and_b32 s4, s9, 0xff
	s_mul_i32 s4, s4, 0x1010101
	v_lshlrev_b32_e32 v1, 2, v0
	v_mov_b32_e32 v2, s4
	global_store_dword v1, v2, s[0:1]
	global_store_dword v1, v2, s[0:1] offset:1024
	global_store_dword v1, v2, s[0:1] offset:2048
	;; [unrolled: 1-line block ×3, first 2 shown]
	s_mov_b64 s[0:1], 0
.LBB10_2:
	s_andn2_b64 vcc, exec, s[0:1]
	s_cbranch_vccnz .LBB10_20
; %bb.3:
	v_lshlrev_b16_e64 v1, 8, s9
	v_or_b32_e32 v5, 0x100, v0
	v_or_b32_sdwa v2, s9, v1 dst_sel:DWORD dst_unused:UNUSED_PAD src0_sel:BYTE_0 src1_sel:DWORD
	v_mov_b32_e32 v3, 0xffff
	v_and_b32_e32 v2, 0xffff, v2
	v_and_b32_sdwa v6, s9, v3 dst_sel:DWORD dst_unused:UNUSED_PAD src0_sel:BYTE_0 src1_sel:DWORD
	v_cmp_gt_i32_e64 s[0:1], s3, v5
	v_mov_b32_e32 v7, 16
	v_cndmask_b32_e64 v3, v6, v2, s[0:1]
	v_or_b32_e32 v4, 0x200, v0
	v_lshlrev_b32_sdwa v7, v7, s9 dst_sel:DWORD dst_unused:UNUSED_PAD src0_sel:DWORD src1_sel:BYTE_0
	v_or_b32_e32 v8, v3, v7
	v_cmp_gt_i32_e64 s[0:1], s3, v4
	s_movk_i32 s4, 0xff
	v_cndmask_b32_e64 v3, v3, v8, s[0:1]
	v_and_b32_sdwa v4, v3, s4 dst_sel:DWORD dst_unused:UNUSED_PAD src0_sel:WORD_1 src1_sel:DWORD
	s_mov_b32 s5, 0xffff
	v_or_b32_e32 v8, 0x300, v0
	v_or_b32_sdwa v4, v4, v1 dst_sel:WORD_1 dst_unused:UNUSED_PAD src0_sel:DWORD src1_sel:DWORD
	v_and_or_b32 v4, v3, s5, v4
	v_cmp_gt_i32_e64 s[0:1], s3, v8
	v_cndmask_b32_e64 v4, v3, v4, s[0:1]
	v_mov_b32_e32 v3, 0x3020104
	v_perm_b32 v8, s9, 0, v3
	v_or_b32_e32 v3, 0x400, v0
	v_cmp_gt_i32_e64 s[0:1], s3, v3
	v_cndmask_b32_e64 v3, 0, v8, s[0:1]
	v_mov_b32_e32 v9, 0x7060004
	v_or_b32_e32 v11, 0x500, v0
	v_perm_b32 v10, v3, s9, v9
	v_cmp_gt_i32_e64 s[0:1], s3, v11
	v_cndmask_b32_e64 v3, v3, v10, s[0:1]
	v_or_b32_e32 v10, 0x600, v0
	v_mov_b32_e32 v11, 0x7000504
	v_perm_b32 v12, v3, s9, v11
	v_cmp_gt_i32_e64 s[0:1], s3, v10
	v_cndmask_b32_e64 v3, v3, v12, s[0:1]
	v_or_b32_e32 v10, 0x700, v0
	v_mov_b32_e32 v12, 0x60504
	v_perm_b32 v13, v3, s9, v12
	v_cmp_gt_i32_e64 s[0:1], s3, v10
	v_or_b32_e32 v10, 0x900, v0
	v_cndmask_b32_e64 v3, v3, v13, s[0:1]
	v_cmp_gt_i32_e64 s[0:1], s3, v10
	v_cndmask_b32_e64 v2, v6, v2, s[0:1]
	v_or_b32_e32 v6, 0xa00, v0
	v_or_b32_e32 v7, v2, v7
	v_cmp_gt_i32_e64 s[0:1], s3, v6
	v_cndmask_b32_e64 v2, v2, v7, s[0:1]
	v_and_b32_sdwa v6, v2, s4 dst_sel:DWORD dst_unused:UNUSED_PAD src0_sel:WORD_1 src1_sel:DWORD
	v_or_b32_e32 v7, 0xb00, v0
	v_or_b32_sdwa v1, v6, v1 dst_sel:WORD_1 dst_unused:UNUSED_PAD src0_sel:DWORD src1_sel:DWORD
	v_and_or_b32 v1, v2, s5, v1
	v_cmp_gt_i32_e64 s[0:1], s3, v7
	v_cndmask_b32_e64 v2, v2, v1, s[0:1]
	v_or_b32_e32 v1, 0xc00, v0
	v_cmp_gt_i32_e64 s[0:1], s3, v1
	v_cndmask_b32_e64 v1, 0, v8, s[0:1]
	v_or_b32_e32 v7, 0xd00, v0
	v_perm_b32 v6, v1, s9, v9
	v_cmp_gt_i32_e64 s[0:1], s3, v7
	v_cndmask_b32_e64 v1, v1, v6, s[0:1]
	v_or_b32_e32 v6, 0xe00, v0
	v_perm_b32 v7, v1, s9, v11
	;; [unrolled: 4-line block ×3, first 2 shown]
	v_cmp_gt_i32_e64 s[0:1], s3, v6
	v_cmp_gt_i32_e32 vcc, s3, v0
	v_cndmask_b32_e64 v1, v1, v7, s[0:1]
	s_and_saveexec_b64 s[0:1], vcc
	s_cbranch_execnz .LBB10_21
; %bb.4:
	s_or_b64 exec, exec, s[0:1]
	v_cmp_gt_i32_e32 vcc, s3, v0
	s_and_saveexec_b64 s[0:1], vcc
	s_cbranch_execnz .LBB10_22
.LBB10_5:
	s_or_b64 exec, exec, s[0:1]
	v_cmp_gt_i32_e32 vcc, s3, v0
	s_and_saveexec_b64 s[0:1], vcc
	s_cbranch_execnz .LBB10_23
.LBB10_6:
	s_or_b64 exec, exec, s[0:1]
	v_cmp_gt_i32_e32 vcc, s3, v0
	s_and_saveexec_b64 s[0:1], vcc
	s_cbranch_execnz .LBB10_24
.LBB10_7:
	s_or_b64 exec, exec, s[0:1]
	v_cmp_gt_i32_e32 vcc, s3, v0
	s_and_saveexec_b64 s[0:1], vcc
	s_cbranch_execnz .LBB10_25
.LBB10_8:
	s_or_b64 exec, exec, s[0:1]
	v_cmp_gt_i32_e32 vcc, s3, v0
	s_and_saveexec_b64 s[0:1], vcc
	s_cbranch_execnz .LBB10_26
.LBB10_9:
	s_or_b64 exec, exec, s[0:1]
	v_cmp_gt_i32_e32 vcc, s3, v0
	s_and_saveexec_b64 s[0:1], vcc
	s_cbranch_execnz .LBB10_27
.LBB10_10:
	s_or_b64 exec, exec, s[0:1]
	v_cmp_gt_i32_e32 vcc, s3, v0
	s_and_saveexec_b64 s[0:1], vcc
	s_cbranch_execnz .LBB10_28
.LBB10_11:
	s_or_b64 exec, exec, s[0:1]
	v_cmp_gt_i32_e32 vcc, s3, v0
	s_and_saveexec_b64 s[0:1], vcc
	s_cbranch_execnz .LBB10_29
.LBB10_12:
	s_or_b64 exec, exec, s[0:1]
	v_cmp_gt_i32_e32 vcc, s3, v0
	s_and_saveexec_b64 s[0:1], vcc
	s_cbranch_execnz .LBB10_30
.LBB10_13:
	s_or_b64 exec, exec, s[0:1]
	v_cmp_gt_i32_e32 vcc, s3, v0
	s_and_saveexec_b64 s[0:1], vcc
	s_cbranch_execnz .LBB10_31
.LBB10_14:
	s_or_b64 exec, exec, s[0:1]
	v_cmp_gt_i32_e32 vcc, s3, v0
	s_and_saveexec_b64 s[0:1], vcc
	s_cbranch_execnz .LBB10_32
.LBB10_15:
	s_or_b64 exec, exec, s[0:1]
	v_cmp_gt_i32_e32 vcc, s3, v0
	s_and_saveexec_b64 s[0:1], vcc
	s_cbranch_execnz .LBB10_33
.LBB10_16:
	s_or_b64 exec, exec, s[0:1]
	v_cmp_gt_i32_e32 vcc, s3, v0
	s_and_saveexec_b64 s[0:1], vcc
	s_cbranch_execnz .LBB10_34
.LBB10_17:
	s_or_b64 exec, exec, s[0:1]
	v_cmp_gt_i32_e32 vcc, s3, v0
	s_and_saveexec_b64 s[0:1], vcc
	s_cbranch_execnz .LBB10_35
.LBB10_18:
	s_or_b64 exec, exec, s[0:1]
	v_cmp_gt_i32_e32 vcc, s3, v0
	s_and_saveexec_b64 s[0:1], vcc
	s_cbranch_execz .LBB10_20
.LBB10_19:
	v_add_u32_e32 v0, s2, v0
	v_lshrrev_b32_e32 v1, 24, v1
	global_store_byte v0, v1, s[10:11]
.LBB10_20:
	s_endpgm
.LBB10_21:
	v_or_b32_e32 v0, s2, v0
	global_store_byte v0, v4, s[10:11]
	v_mov_b32_e32 v0, v5
	s_or_b64 exec, exec, s[0:1]
	v_cmp_gt_i32_e32 vcc, s3, v0
	s_and_saveexec_b64 s[0:1], vcc
	s_cbranch_execz .LBB10_5
.LBB10_22:
	v_add_u32_e32 v5, s2, v0
	v_lshrrev_b32_e32 v6, 8, v4
	v_add_u32_e32 v0, 0x100, v0
	global_store_byte v5, v6, s[10:11]
	s_or_b64 exec, exec, s[0:1]
	v_cmp_gt_i32_e32 vcc, s3, v0
	s_and_saveexec_b64 s[0:1], vcc
	s_cbranch_execz .LBB10_6
.LBB10_23:
	v_add_u32_e32 v5, s2, v0
	v_add_u32_e32 v0, 0x100, v0
	global_store_byte_d16_hi v5, v4, s[10:11]
	s_or_b64 exec, exec, s[0:1]
	v_cmp_gt_i32_e32 vcc, s3, v0
	s_and_saveexec_b64 s[0:1], vcc
	s_cbranch_execz .LBB10_7
.LBB10_24:
	v_add_u32_e32 v5, s2, v0
	v_lshrrev_b32_e32 v4, 24, v4
	v_add_u32_e32 v0, 0x100, v0
	global_store_byte v5, v4, s[10:11]
	s_or_b64 exec, exec, s[0:1]
	v_cmp_gt_i32_e32 vcc, s3, v0
	s_and_saveexec_b64 s[0:1], vcc
	s_cbranch_execz .LBB10_8
.LBB10_25:
	v_add_u32_e32 v4, s2, v0
	v_add_u32_e32 v0, 0x100, v0
	global_store_byte v4, v3, s[10:11]
	s_or_b64 exec, exec, s[0:1]
	v_cmp_gt_i32_e32 vcc, s3, v0
	s_and_saveexec_b64 s[0:1], vcc
	s_cbranch_execz .LBB10_9
.LBB10_26:
	v_add_u32_e32 v4, s2, v0
	v_lshrrev_b32_e32 v5, 8, v3
	v_add_u32_e32 v0, 0x100, v0
	global_store_byte v4, v5, s[10:11]
	s_or_b64 exec, exec, s[0:1]
	v_cmp_gt_i32_e32 vcc, s3, v0
	s_and_saveexec_b64 s[0:1], vcc
	s_cbranch_execz .LBB10_10
.LBB10_27:
	v_add_u32_e32 v4, s2, v0
	v_add_u32_e32 v0, 0x100, v0
	global_store_byte_d16_hi v4, v3, s[10:11]
	s_or_b64 exec, exec, s[0:1]
	v_cmp_gt_i32_e32 vcc, s3, v0
	s_and_saveexec_b64 s[0:1], vcc
	s_cbranch_execz .LBB10_11
.LBB10_28:
	v_add_u32_e32 v4, s2, v0
	v_lshrrev_b32_e32 v3, 24, v3
	v_add_u32_e32 v0, 0x100, v0
	global_store_byte v4, v3, s[10:11]
	s_or_b64 exec, exec, s[0:1]
	v_cmp_gt_i32_e32 vcc, s3, v0
	s_and_saveexec_b64 s[0:1], vcc
	s_cbranch_execz .LBB10_12
.LBB10_29:
	v_add_u32_e32 v3, s2, v0
	v_add_u32_e32 v0, 0x100, v0
	global_store_byte v3, v2, s[10:11]
	s_or_b64 exec, exec, s[0:1]
	v_cmp_gt_i32_e32 vcc, s3, v0
	s_and_saveexec_b64 s[0:1], vcc
	s_cbranch_execz .LBB10_13
.LBB10_30:
	v_add_u32_e32 v3, s2, v0
	v_lshrrev_b32_e32 v4, 8, v2
	v_add_u32_e32 v0, 0x100, v0
	global_store_byte v3, v4, s[10:11]
	s_or_b64 exec, exec, s[0:1]
	v_cmp_gt_i32_e32 vcc, s3, v0
	s_and_saveexec_b64 s[0:1], vcc
	s_cbranch_execz .LBB10_14
.LBB10_31:
	v_add_u32_e32 v3, s2, v0
	v_add_u32_e32 v0, 0x100, v0
	global_store_byte_d16_hi v3, v2, s[10:11]
	s_or_b64 exec, exec, s[0:1]
	v_cmp_gt_i32_e32 vcc, s3, v0
	s_and_saveexec_b64 s[0:1], vcc
	s_cbranch_execz .LBB10_15
.LBB10_32:
	v_add_u32_e32 v3, s2, v0
	v_lshrrev_b32_e32 v2, 24, v2
	v_add_u32_e32 v0, 0x100, v0
	global_store_byte v3, v2, s[10:11]
	s_or_b64 exec, exec, s[0:1]
	v_cmp_gt_i32_e32 vcc, s3, v0
	s_and_saveexec_b64 s[0:1], vcc
	s_cbranch_execz .LBB10_16
.LBB10_33:
	v_add_u32_e32 v2, s2, v0
	v_add_u32_e32 v0, 0x100, v0
	global_store_byte v2, v1, s[10:11]
	s_or_b64 exec, exec, s[0:1]
	v_cmp_gt_i32_e32 vcc, s3, v0
	s_and_saveexec_b64 s[0:1], vcc
	s_cbranch_execz .LBB10_17
.LBB10_34:
	v_add_u32_e32 v2, s2, v0
	v_lshrrev_b32_e32 v3, 8, v1
	v_add_u32_e32 v0, 0x100, v0
	global_store_byte v2, v3, s[10:11]
	s_or_b64 exec, exec, s[0:1]
	v_cmp_gt_i32_e32 vcc, s3, v0
	s_and_saveexec_b64 s[0:1], vcc
	s_cbranch_execz .LBB10_18
.LBB10_35:
	v_add_u32_e32 v2, s2, v0
	v_add_u32_e32 v0, 0x100, v0
	global_store_byte_d16_hi v2, v1, s[10:11]
	s_or_b64 exec, exec, s[0:1]
	v_cmp_gt_i32_e32 vcc, s3, v0
	s_and_saveexec_b64 s[0:1], vcc
	s_cbranch_execnz .LBB10_19
	s_branch .LBB10_20
	.section	.rodata,"a",@progbits
	.p2align	6, 0x0
	.amdhsa_kernel _ZN2at6native29vectorized_elementwise_kernelILi4ENS0_11FillFunctorIaEESt5arrayIPcLm1EEEEviT0_T1_
		.amdhsa_group_segment_fixed_size 0
		.amdhsa_private_segment_fixed_size 0
		.amdhsa_kernarg_size 16
		.amdhsa_user_sgpr_count 6
		.amdhsa_user_sgpr_private_segment_buffer 1
		.amdhsa_user_sgpr_dispatch_ptr 0
		.amdhsa_user_sgpr_queue_ptr 0
		.amdhsa_user_sgpr_kernarg_segment_ptr 1
		.amdhsa_user_sgpr_dispatch_id 0
		.amdhsa_user_sgpr_flat_scratch_init 0
		.amdhsa_user_sgpr_kernarg_preload_length 0
		.amdhsa_user_sgpr_kernarg_preload_offset 0
		.amdhsa_user_sgpr_private_segment_size 0
		.amdhsa_uses_dynamic_stack 0
		.amdhsa_system_sgpr_private_segment_wavefront_offset 0
		.amdhsa_system_sgpr_workgroup_id_x 1
		.amdhsa_system_sgpr_workgroup_id_y 0
		.amdhsa_system_sgpr_workgroup_id_z 0
		.amdhsa_system_sgpr_workgroup_info 0
		.amdhsa_system_vgpr_workitem_id 0
		.amdhsa_next_free_vgpr 14
		.amdhsa_next_free_sgpr 12
		.amdhsa_accum_offset 16
		.amdhsa_reserve_vcc 1
		.amdhsa_reserve_flat_scratch 0
		.amdhsa_float_round_mode_32 0
		.amdhsa_float_round_mode_16_64 0
		.amdhsa_float_denorm_mode_32 3
		.amdhsa_float_denorm_mode_16_64 3
		.amdhsa_dx10_clamp 1
		.amdhsa_ieee_mode 1
		.amdhsa_fp16_overflow 0
		.amdhsa_tg_split 0
		.amdhsa_exception_fp_ieee_invalid_op 0
		.amdhsa_exception_fp_denorm_src 0
		.amdhsa_exception_fp_ieee_div_zero 0
		.amdhsa_exception_fp_ieee_overflow 0
		.amdhsa_exception_fp_ieee_underflow 0
		.amdhsa_exception_fp_ieee_inexact 0
		.amdhsa_exception_int_div_zero 0
	.end_amdhsa_kernel
	.section	.text._ZN2at6native29vectorized_elementwise_kernelILi4ENS0_11FillFunctorIaEESt5arrayIPcLm1EEEEviT0_T1_,"axG",@progbits,_ZN2at6native29vectorized_elementwise_kernelILi4ENS0_11FillFunctorIaEESt5arrayIPcLm1EEEEviT0_T1_,comdat
.Lfunc_end10:
	.size	_ZN2at6native29vectorized_elementwise_kernelILi4ENS0_11FillFunctorIaEESt5arrayIPcLm1EEEEviT0_T1_, .Lfunc_end10-_ZN2at6native29vectorized_elementwise_kernelILi4ENS0_11FillFunctorIaEESt5arrayIPcLm1EEEEviT0_T1_
                                        ; -- End function
	.section	.AMDGPU.csdata,"",@progbits
; Kernel info:
; codeLenInByte = 1496
; NumSgprs: 16
; NumVgprs: 14
; NumAgprs: 0
; TotalNumVgprs: 14
; ScratchSize: 0
; MemoryBound: 0
; FloatMode: 240
; IeeeMode: 1
; LDSByteSize: 0 bytes/workgroup (compile time only)
; SGPRBlocks: 1
; VGPRBlocks: 1
; NumSGPRsForWavesPerEU: 16
; NumVGPRsForWavesPerEU: 14
; AccumOffset: 16
; Occupancy: 8
; WaveLimiterHint : 1
; COMPUTE_PGM_RSRC2:SCRATCH_EN: 0
; COMPUTE_PGM_RSRC2:USER_SGPR: 6
; COMPUTE_PGM_RSRC2:TRAP_HANDLER: 0
; COMPUTE_PGM_RSRC2:TGID_X_EN: 1
; COMPUTE_PGM_RSRC2:TGID_Y_EN: 0
; COMPUTE_PGM_RSRC2:TGID_Z_EN: 0
; COMPUTE_PGM_RSRC2:TIDIG_COMP_CNT: 0
; COMPUTE_PGM_RSRC3_GFX90A:ACCUM_OFFSET: 3
; COMPUTE_PGM_RSRC3_GFX90A:TG_SPLIT: 0
	.section	.text._ZN2at6native29vectorized_elementwise_kernelILi2ENS0_11FillFunctorIaEESt5arrayIPcLm1EEEEviT0_T1_,"axG",@progbits,_ZN2at6native29vectorized_elementwise_kernelILi2ENS0_11FillFunctorIaEESt5arrayIPcLm1EEEEviT0_T1_,comdat
	.protected	_ZN2at6native29vectorized_elementwise_kernelILi2ENS0_11FillFunctorIaEESt5arrayIPcLm1EEEEviT0_T1_ ; -- Begin function _ZN2at6native29vectorized_elementwise_kernelILi2ENS0_11FillFunctorIaEESt5arrayIPcLm1EEEEviT0_T1_
	.globl	_ZN2at6native29vectorized_elementwise_kernelILi2ENS0_11FillFunctorIaEESt5arrayIPcLm1EEEEviT0_T1_
	.p2align	8
	.type	_ZN2at6native29vectorized_elementwise_kernelILi2ENS0_11FillFunctorIaEESt5arrayIPcLm1EEEEviT0_T1_,@function
_ZN2at6native29vectorized_elementwise_kernelILi2ENS0_11FillFunctorIaEESt5arrayIPcLm1EEEEviT0_T1_: ; @_ZN2at6native29vectorized_elementwise_kernelILi2ENS0_11FillFunctorIaEESt5arrayIPcLm1EEEEviT0_T1_
; %bb.0:
	s_load_dwordx4 s[8:11], s[4:5], 0x0
	s_lshl_b32 s2, s6, 12
	s_mov_b64 s[0:1], -1
	s_waitcnt lgkmcnt(0)
	s_sub_i32 s3, s8, s2
	s_cmpk_gt_i32 s3, 0xfff
	s_cbranch_scc0 .LBB11_2
; %bb.1:
	s_ashr_i32 s1, s2, 31
	s_add_u32 s0, s10, s2
	v_mov_b32_e32 v2, 0x101
	s_addc_u32 s1, s11, s1
	v_lshlrev_b32_e32 v1, 1, v0
	v_mul_lo_u16_sdwa v2, s9, v2 dst_sel:DWORD dst_unused:UNUSED_PAD src0_sel:BYTE_0 src1_sel:DWORD
	global_store_short v1, v2, s[0:1]
	global_store_short v1, v2, s[0:1] offset:512
	global_store_short v1, v2, s[0:1] offset:1024
	;; [unrolled: 1-line block ×7, first 2 shown]
	s_mov_b64 s[0:1], 0
.LBB11_2:
	s_andn2_b64 vcc, exec, s[0:1]
	s_cbranch_vccnz .LBB11_20
; %bb.3:
	v_lshlrev_b16_e64 v1, 8, s9
	v_or_b32_e32 v5, 0x100, v0
	v_or_b32_sdwa v2, s9, v1 dst_sel:DWORD dst_unused:UNUSED_PAD src0_sel:BYTE_0 src1_sel:DWORD
	v_mov_b32_e32 v3, 0xffff
	v_and_b32_e32 v2, 0xffff, v2
	v_and_b32_sdwa v6, s9, v3 dst_sel:DWORD dst_unused:UNUSED_PAD src0_sel:BYTE_0 src1_sel:DWORD
	v_cmp_gt_i32_e64 s[0:1], s3, v5
	v_mov_b32_e32 v7, 16
	v_cndmask_b32_e64 v3, v6, v2, s[0:1]
	v_or_b32_e32 v4, 0x200, v0
	v_lshlrev_b32_sdwa v7, v7, s9 dst_sel:DWORD dst_unused:UNUSED_PAD src0_sel:DWORD src1_sel:BYTE_0
	v_or_b32_e32 v8, v3, v7
	v_cmp_gt_i32_e64 s[0:1], s3, v4
	s_movk_i32 s4, 0xff
	v_cndmask_b32_e64 v3, v3, v8, s[0:1]
	v_and_b32_sdwa v4, v3, s4 dst_sel:DWORD dst_unused:UNUSED_PAD src0_sel:WORD_1 src1_sel:DWORD
	s_mov_b32 s5, 0xffff
	v_or_b32_e32 v8, 0x300, v0
	v_or_b32_sdwa v4, v4, v1 dst_sel:WORD_1 dst_unused:UNUSED_PAD src0_sel:DWORD src1_sel:DWORD
	v_and_or_b32 v4, v3, s5, v4
	v_cmp_gt_i32_e64 s[0:1], s3, v8
	v_cndmask_b32_e64 v4, v3, v4, s[0:1]
	v_mov_b32_e32 v3, 0x3020104
	v_perm_b32 v8, s9, 0, v3
	v_or_b32_e32 v3, 0x400, v0
	v_cmp_gt_i32_e64 s[0:1], s3, v3
	v_cndmask_b32_e64 v3, 0, v8, s[0:1]
	v_mov_b32_e32 v9, 0x7060004
	v_or_b32_e32 v11, 0x500, v0
	v_perm_b32 v10, v3, s9, v9
	v_cmp_gt_i32_e64 s[0:1], s3, v11
	v_cndmask_b32_e64 v3, v3, v10, s[0:1]
	v_or_b32_e32 v10, 0x600, v0
	v_mov_b32_e32 v11, 0x7000504
	v_perm_b32 v12, v3, s9, v11
	v_cmp_gt_i32_e64 s[0:1], s3, v10
	v_cndmask_b32_e64 v3, v3, v12, s[0:1]
	v_or_b32_e32 v10, 0x700, v0
	v_mov_b32_e32 v12, 0x60504
	v_perm_b32 v13, v3, s9, v12
	v_cmp_gt_i32_e64 s[0:1], s3, v10
	v_or_b32_e32 v10, 0x900, v0
	v_cndmask_b32_e64 v3, v3, v13, s[0:1]
	v_cmp_gt_i32_e64 s[0:1], s3, v10
	v_cndmask_b32_e64 v2, v6, v2, s[0:1]
	v_or_b32_e32 v6, 0xa00, v0
	v_or_b32_e32 v7, v2, v7
	v_cmp_gt_i32_e64 s[0:1], s3, v6
	v_cndmask_b32_e64 v2, v2, v7, s[0:1]
	v_and_b32_sdwa v6, v2, s4 dst_sel:DWORD dst_unused:UNUSED_PAD src0_sel:WORD_1 src1_sel:DWORD
	v_or_b32_e32 v7, 0xb00, v0
	v_or_b32_sdwa v1, v6, v1 dst_sel:WORD_1 dst_unused:UNUSED_PAD src0_sel:DWORD src1_sel:DWORD
	v_and_or_b32 v1, v2, s5, v1
	v_cmp_gt_i32_e64 s[0:1], s3, v7
	v_cndmask_b32_e64 v2, v2, v1, s[0:1]
	v_or_b32_e32 v1, 0xc00, v0
	v_cmp_gt_i32_e64 s[0:1], s3, v1
	v_cndmask_b32_e64 v1, 0, v8, s[0:1]
	v_or_b32_e32 v7, 0xd00, v0
	v_perm_b32 v6, v1, s9, v9
	v_cmp_gt_i32_e64 s[0:1], s3, v7
	v_cndmask_b32_e64 v1, v1, v6, s[0:1]
	v_or_b32_e32 v6, 0xe00, v0
	v_perm_b32 v7, v1, s9, v11
	;; [unrolled: 4-line block ×3, first 2 shown]
	v_cmp_gt_i32_e64 s[0:1], s3, v6
	v_cmp_gt_i32_e32 vcc, s3, v0
	v_cndmask_b32_e64 v1, v1, v7, s[0:1]
	s_and_saveexec_b64 s[0:1], vcc
	s_cbranch_execnz .LBB11_21
; %bb.4:
	s_or_b64 exec, exec, s[0:1]
	v_cmp_gt_i32_e32 vcc, s3, v0
	s_and_saveexec_b64 s[0:1], vcc
	s_cbranch_execnz .LBB11_22
.LBB11_5:
	s_or_b64 exec, exec, s[0:1]
	v_cmp_gt_i32_e32 vcc, s3, v0
	s_and_saveexec_b64 s[0:1], vcc
	s_cbranch_execnz .LBB11_23
.LBB11_6:
	s_or_b64 exec, exec, s[0:1]
	v_cmp_gt_i32_e32 vcc, s3, v0
	s_and_saveexec_b64 s[0:1], vcc
	s_cbranch_execnz .LBB11_24
.LBB11_7:
	s_or_b64 exec, exec, s[0:1]
	v_cmp_gt_i32_e32 vcc, s3, v0
	s_and_saveexec_b64 s[0:1], vcc
	s_cbranch_execnz .LBB11_25
.LBB11_8:
	s_or_b64 exec, exec, s[0:1]
	v_cmp_gt_i32_e32 vcc, s3, v0
	s_and_saveexec_b64 s[0:1], vcc
	s_cbranch_execnz .LBB11_26
.LBB11_9:
	s_or_b64 exec, exec, s[0:1]
	v_cmp_gt_i32_e32 vcc, s3, v0
	s_and_saveexec_b64 s[0:1], vcc
	s_cbranch_execnz .LBB11_27
.LBB11_10:
	s_or_b64 exec, exec, s[0:1]
	v_cmp_gt_i32_e32 vcc, s3, v0
	s_and_saveexec_b64 s[0:1], vcc
	s_cbranch_execnz .LBB11_28
.LBB11_11:
	s_or_b64 exec, exec, s[0:1]
	v_cmp_gt_i32_e32 vcc, s3, v0
	s_and_saveexec_b64 s[0:1], vcc
	s_cbranch_execnz .LBB11_29
.LBB11_12:
	s_or_b64 exec, exec, s[0:1]
	v_cmp_gt_i32_e32 vcc, s3, v0
	s_and_saveexec_b64 s[0:1], vcc
	s_cbranch_execnz .LBB11_30
.LBB11_13:
	s_or_b64 exec, exec, s[0:1]
	v_cmp_gt_i32_e32 vcc, s3, v0
	s_and_saveexec_b64 s[0:1], vcc
	s_cbranch_execnz .LBB11_31
.LBB11_14:
	s_or_b64 exec, exec, s[0:1]
	v_cmp_gt_i32_e32 vcc, s3, v0
	s_and_saveexec_b64 s[0:1], vcc
	s_cbranch_execnz .LBB11_32
.LBB11_15:
	s_or_b64 exec, exec, s[0:1]
	v_cmp_gt_i32_e32 vcc, s3, v0
	s_and_saveexec_b64 s[0:1], vcc
	s_cbranch_execnz .LBB11_33
.LBB11_16:
	s_or_b64 exec, exec, s[0:1]
	v_cmp_gt_i32_e32 vcc, s3, v0
	s_and_saveexec_b64 s[0:1], vcc
	s_cbranch_execnz .LBB11_34
.LBB11_17:
	s_or_b64 exec, exec, s[0:1]
	v_cmp_gt_i32_e32 vcc, s3, v0
	s_and_saveexec_b64 s[0:1], vcc
	s_cbranch_execnz .LBB11_35
.LBB11_18:
	s_or_b64 exec, exec, s[0:1]
	v_cmp_gt_i32_e32 vcc, s3, v0
	s_and_saveexec_b64 s[0:1], vcc
	s_cbranch_execz .LBB11_20
.LBB11_19:
	v_add_u32_e32 v0, s2, v0
	v_lshrrev_b32_e32 v1, 24, v1
	global_store_byte v0, v1, s[10:11]
.LBB11_20:
	s_endpgm
.LBB11_21:
	v_or_b32_e32 v0, s2, v0
	global_store_byte v0, v4, s[10:11]
	v_mov_b32_e32 v0, v5
	s_or_b64 exec, exec, s[0:1]
	v_cmp_gt_i32_e32 vcc, s3, v0
	s_and_saveexec_b64 s[0:1], vcc
	s_cbranch_execz .LBB11_5
.LBB11_22:
	v_add_u32_e32 v5, s2, v0
	v_lshrrev_b32_e32 v6, 8, v4
	v_add_u32_e32 v0, 0x100, v0
	global_store_byte v5, v6, s[10:11]
	s_or_b64 exec, exec, s[0:1]
	v_cmp_gt_i32_e32 vcc, s3, v0
	s_and_saveexec_b64 s[0:1], vcc
	s_cbranch_execz .LBB11_6
.LBB11_23:
	v_add_u32_e32 v5, s2, v0
	v_add_u32_e32 v0, 0x100, v0
	global_store_byte_d16_hi v5, v4, s[10:11]
	s_or_b64 exec, exec, s[0:1]
	v_cmp_gt_i32_e32 vcc, s3, v0
	s_and_saveexec_b64 s[0:1], vcc
	s_cbranch_execz .LBB11_7
.LBB11_24:
	v_add_u32_e32 v5, s2, v0
	v_lshrrev_b32_e32 v4, 24, v4
	v_add_u32_e32 v0, 0x100, v0
	global_store_byte v5, v4, s[10:11]
	s_or_b64 exec, exec, s[0:1]
	v_cmp_gt_i32_e32 vcc, s3, v0
	s_and_saveexec_b64 s[0:1], vcc
	s_cbranch_execz .LBB11_8
.LBB11_25:
	v_add_u32_e32 v4, s2, v0
	v_add_u32_e32 v0, 0x100, v0
	global_store_byte v4, v3, s[10:11]
	s_or_b64 exec, exec, s[0:1]
	v_cmp_gt_i32_e32 vcc, s3, v0
	s_and_saveexec_b64 s[0:1], vcc
	s_cbranch_execz .LBB11_9
.LBB11_26:
	v_add_u32_e32 v4, s2, v0
	v_lshrrev_b32_e32 v5, 8, v3
	v_add_u32_e32 v0, 0x100, v0
	global_store_byte v4, v5, s[10:11]
	s_or_b64 exec, exec, s[0:1]
	v_cmp_gt_i32_e32 vcc, s3, v0
	s_and_saveexec_b64 s[0:1], vcc
	s_cbranch_execz .LBB11_10
.LBB11_27:
	v_add_u32_e32 v4, s2, v0
	v_add_u32_e32 v0, 0x100, v0
	global_store_byte_d16_hi v4, v3, s[10:11]
	s_or_b64 exec, exec, s[0:1]
	v_cmp_gt_i32_e32 vcc, s3, v0
	s_and_saveexec_b64 s[0:1], vcc
	s_cbranch_execz .LBB11_11
.LBB11_28:
	v_add_u32_e32 v4, s2, v0
	v_lshrrev_b32_e32 v3, 24, v3
	v_add_u32_e32 v0, 0x100, v0
	global_store_byte v4, v3, s[10:11]
	s_or_b64 exec, exec, s[0:1]
	v_cmp_gt_i32_e32 vcc, s3, v0
	s_and_saveexec_b64 s[0:1], vcc
	s_cbranch_execz .LBB11_12
.LBB11_29:
	v_add_u32_e32 v3, s2, v0
	v_add_u32_e32 v0, 0x100, v0
	global_store_byte v3, v2, s[10:11]
	s_or_b64 exec, exec, s[0:1]
	v_cmp_gt_i32_e32 vcc, s3, v0
	s_and_saveexec_b64 s[0:1], vcc
	s_cbranch_execz .LBB11_13
.LBB11_30:
	v_add_u32_e32 v3, s2, v0
	v_lshrrev_b32_e32 v4, 8, v2
	v_add_u32_e32 v0, 0x100, v0
	global_store_byte v3, v4, s[10:11]
	s_or_b64 exec, exec, s[0:1]
	v_cmp_gt_i32_e32 vcc, s3, v0
	s_and_saveexec_b64 s[0:1], vcc
	s_cbranch_execz .LBB11_14
.LBB11_31:
	v_add_u32_e32 v3, s2, v0
	v_add_u32_e32 v0, 0x100, v0
	global_store_byte_d16_hi v3, v2, s[10:11]
	s_or_b64 exec, exec, s[0:1]
	v_cmp_gt_i32_e32 vcc, s3, v0
	s_and_saveexec_b64 s[0:1], vcc
	s_cbranch_execz .LBB11_15
.LBB11_32:
	v_add_u32_e32 v3, s2, v0
	v_lshrrev_b32_e32 v2, 24, v2
	v_add_u32_e32 v0, 0x100, v0
	global_store_byte v3, v2, s[10:11]
	s_or_b64 exec, exec, s[0:1]
	v_cmp_gt_i32_e32 vcc, s3, v0
	s_and_saveexec_b64 s[0:1], vcc
	s_cbranch_execz .LBB11_16
.LBB11_33:
	v_add_u32_e32 v2, s2, v0
	v_add_u32_e32 v0, 0x100, v0
	global_store_byte v2, v1, s[10:11]
	s_or_b64 exec, exec, s[0:1]
	v_cmp_gt_i32_e32 vcc, s3, v0
	s_and_saveexec_b64 s[0:1], vcc
	s_cbranch_execz .LBB11_17
.LBB11_34:
	v_add_u32_e32 v2, s2, v0
	v_lshrrev_b32_e32 v3, 8, v1
	v_add_u32_e32 v0, 0x100, v0
	global_store_byte v2, v3, s[10:11]
	s_or_b64 exec, exec, s[0:1]
	v_cmp_gt_i32_e32 vcc, s3, v0
	s_and_saveexec_b64 s[0:1], vcc
	s_cbranch_execz .LBB11_18
.LBB11_35:
	v_add_u32_e32 v2, s2, v0
	v_add_u32_e32 v0, 0x100, v0
	global_store_byte_d16_hi v2, v1, s[10:11]
	s_or_b64 exec, exec, s[0:1]
	v_cmp_gt_i32_e32 vcc, s3, v0
	s_and_saveexec_b64 s[0:1], vcc
	s_cbranch_execnz .LBB11_19
	s_branch .LBB11_20
	.section	.rodata,"a",@progbits
	.p2align	6, 0x0
	.amdhsa_kernel _ZN2at6native29vectorized_elementwise_kernelILi2ENS0_11FillFunctorIaEESt5arrayIPcLm1EEEEviT0_T1_
		.amdhsa_group_segment_fixed_size 0
		.amdhsa_private_segment_fixed_size 0
		.amdhsa_kernarg_size 16
		.amdhsa_user_sgpr_count 6
		.amdhsa_user_sgpr_private_segment_buffer 1
		.amdhsa_user_sgpr_dispatch_ptr 0
		.amdhsa_user_sgpr_queue_ptr 0
		.amdhsa_user_sgpr_kernarg_segment_ptr 1
		.amdhsa_user_sgpr_dispatch_id 0
		.amdhsa_user_sgpr_flat_scratch_init 0
		.amdhsa_user_sgpr_kernarg_preload_length 0
		.amdhsa_user_sgpr_kernarg_preload_offset 0
		.amdhsa_user_sgpr_private_segment_size 0
		.amdhsa_uses_dynamic_stack 0
		.amdhsa_system_sgpr_private_segment_wavefront_offset 0
		.amdhsa_system_sgpr_workgroup_id_x 1
		.amdhsa_system_sgpr_workgroup_id_y 0
		.amdhsa_system_sgpr_workgroup_id_z 0
		.amdhsa_system_sgpr_workgroup_info 0
		.amdhsa_system_vgpr_workitem_id 0
		.amdhsa_next_free_vgpr 14
		.amdhsa_next_free_sgpr 12
		.amdhsa_accum_offset 16
		.amdhsa_reserve_vcc 1
		.amdhsa_reserve_flat_scratch 0
		.amdhsa_float_round_mode_32 0
		.amdhsa_float_round_mode_16_64 0
		.amdhsa_float_denorm_mode_32 3
		.amdhsa_float_denorm_mode_16_64 3
		.amdhsa_dx10_clamp 1
		.amdhsa_ieee_mode 1
		.amdhsa_fp16_overflow 0
		.amdhsa_tg_split 0
		.amdhsa_exception_fp_ieee_invalid_op 0
		.amdhsa_exception_fp_denorm_src 0
		.amdhsa_exception_fp_ieee_div_zero 0
		.amdhsa_exception_fp_ieee_overflow 0
		.amdhsa_exception_fp_ieee_underflow 0
		.amdhsa_exception_fp_ieee_inexact 0
		.amdhsa_exception_int_div_zero 0
	.end_amdhsa_kernel
	.section	.text._ZN2at6native29vectorized_elementwise_kernelILi2ENS0_11FillFunctorIaEESt5arrayIPcLm1EEEEviT0_T1_,"axG",@progbits,_ZN2at6native29vectorized_elementwise_kernelILi2ENS0_11FillFunctorIaEESt5arrayIPcLm1EEEEviT0_T1_,comdat
.Lfunc_end11:
	.size	_ZN2at6native29vectorized_elementwise_kernelILi2ENS0_11FillFunctorIaEESt5arrayIPcLm1EEEEviT0_T1_, .Lfunc_end11-_ZN2at6native29vectorized_elementwise_kernelILi2ENS0_11FillFunctorIaEESt5arrayIPcLm1EEEEviT0_T1_
                                        ; -- End function
	.section	.AMDGPU.csdata,"",@progbits
; Kernel info:
; codeLenInByte = 1524
; NumSgprs: 16
; NumVgprs: 14
; NumAgprs: 0
; TotalNumVgprs: 14
; ScratchSize: 0
; MemoryBound: 0
; FloatMode: 240
; IeeeMode: 1
; LDSByteSize: 0 bytes/workgroup (compile time only)
; SGPRBlocks: 1
; VGPRBlocks: 1
; NumSGPRsForWavesPerEU: 16
; NumVGPRsForWavesPerEU: 14
; AccumOffset: 16
; Occupancy: 8
; WaveLimiterHint : 1
; COMPUTE_PGM_RSRC2:SCRATCH_EN: 0
; COMPUTE_PGM_RSRC2:USER_SGPR: 6
; COMPUTE_PGM_RSRC2:TRAP_HANDLER: 0
; COMPUTE_PGM_RSRC2:TGID_X_EN: 1
; COMPUTE_PGM_RSRC2:TGID_Y_EN: 0
; COMPUTE_PGM_RSRC2:TGID_Z_EN: 0
; COMPUTE_PGM_RSRC2:TIDIG_COMP_CNT: 0
; COMPUTE_PGM_RSRC3_GFX90A:ACCUM_OFFSET: 3
; COMPUTE_PGM_RSRC3_GFX90A:TG_SPLIT: 0
	.section	.text._ZN2at6native27unrolled_elementwise_kernelINS0_11FillFunctorIaEESt5arrayIPcLm1EELi4E23TrivialOffsetCalculatorILi0EjES7_ILi1EjENS0_6memory15LoadWithoutCastENSA_16StoreWithoutCastEEEviT_T0_T2_T3_T4_T5_,"axG",@progbits,_ZN2at6native27unrolled_elementwise_kernelINS0_11FillFunctorIaEESt5arrayIPcLm1EELi4E23TrivialOffsetCalculatorILi0EjES7_ILi1EjENS0_6memory15LoadWithoutCastENSA_16StoreWithoutCastEEEviT_T0_T2_T3_T4_T5_,comdat
	.protected	_ZN2at6native27unrolled_elementwise_kernelINS0_11FillFunctorIaEESt5arrayIPcLm1EELi4E23TrivialOffsetCalculatorILi0EjES7_ILi1EjENS0_6memory15LoadWithoutCastENSA_16StoreWithoutCastEEEviT_T0_T2_T3_T4_T5_ ; -- Begin function _ZN2at6native27unrolled_elementwise_kernelINS0_11FillFunctorIaEESt5arrayIPcLm1EELi4E23TrivialOffsetCalculatorILi0EjES7_ILi1EjENS0_6memory15LoadWithoutCastENSA_16StoreWithoutCastEEEviT_T0_T2_T3_T4_T5_
	.globl	_ZN2at6native27unrolled_elementwise_kernelINS0_11FillFunctorIaEESt5arrayIPcLm1EELi4E23TrivialOffsetCalculatorILi0EjES7_ILi1EjENS0_6memory15LoadWithoutCastENSA_16StoreWithoutCastEEEviT_T0_T2_T3_T4_T5_
	.p2align	8
	.type	_ZN2at6native27unrolled_elementwise_kernelINS0_11FillFunctorIaEESt5arrayIPcLm1EELi4E23TrivialOffsetCalculatorILi0EjES7_ILi1EjENS0_6memory15LoadWithoutCastENSA_16StoreWithoutCastEEEviT_T0_T2_T3_T4_T5_,@function
_ZN2at6native27unrolled_elementwise_kernelINS0_11FillFunctorIaEESt5arrayIPcLm1EELi4E23TrivialOffsetCalculatorILi0EjES7_ILi1EjENS0_6memory15LoadWithoutCastENSA_16StoreWithoutCastEEEviT_T0_T2_T3_T4_T5_: ; @_ZN2at6native27unrolled_elementwise_kernelINS0_11FillFunctorIaEESt5arrayIPcLm1EELi4E23TrivialOffsetCalculatorILi0EjES7_ILi1EjENS0_6memory15LoadWithoutCastENSA_16StoreWithoutCastEEEviT_T0_T2_T3_T4_T5_
; %bb.0:
	s_load_dwordx4 s[8:11], s[4:5], 0x0
	s_lshl_b32 s2, s6, 10
	s_mov_b32 s5, 0xffff
	v_or_b32_e32 v5, 0x200, v0
	s_movk_i32 s4, 0xff
	s_waitcnt lgkmcnt(0)
	v_lshlrev_b16_e64 v1, 8, s9
	s_and_b32 s0, s9, 0xffff0000
	v_or_b32_sdwa v2, s9, v1 dst_sel:DWORD dst_unused:UNUSED_PAD src0_sel:BYTE_0 src1_sel:DWORD
	v_or_b32_sdwa v3, v2, s0 dst_sel:DWORD dst_unused:UNUSED_PAD src0_sel:WORD_0 src1_sel:DWORD
	s_sub_i32 s3, s8, s2
	v_or_b32_e32 v2, 0x100, v0
	v_mov_b32_e32 v4, s9
	v_cmp_gt_i32_e64 s[0:1], s3, v2
	v_cndmask_b32_e64 v3, v4, v3, s[0:1]
	s_movk_i32 s0, 0xff00
	v_and_b32_sdwa v4, v3, s0 dst_sel:DWORD dst_unused:UNUSED_PAD src0_sel:WORD_1 src1_sel:DWORD
	v_or_b32_sdwa v4, s9, v4 dst_sel:WORD_1 dst_unused:UNUSED_PAD src0_sel:BYTE_0 src1_sel:DWORD
	v_and_or_b32 v4, v3, s5, v4
	v_cmp_gt_i32_e64 s[0:1], s3, v5
	v_cndmask_b32_e64 v3, v3, v4, s[0:1]
	v_and_b32_sdwa v4, v3, s4 dst_sel:DWORD dst_unused:UNUSED_PAD src0_sel:WORD_1 src1_sel:DWORD
	v_or_b32_e32 v5, 0x300, v0
	v_or_b32_sdwa v1, v4, v1 dst_sel:WORD_1 dst_unused:UNUSED_PAD src0_sel:DWORD src1_sel:DWORD
	v_and_or_b32 v1, v3, s5, v1
	v_cmp_gt_i32_e64 s[0:1], s3, v5
	v_cmp_gt_i32_e32 vcc, s3, v0
	v_cndmask_b32_e64 v1, v3, v1, s[0:1]
	s_and_saveexec_b64 s[0:1], vcc
	s_cbranch_execnz .LBB12_5
; %bb.1:
	s_or_b64 exec, exec, s[0:1]
	v_cmp_gt_i32_e32 vcc, s3, v0
	s_and_saveexec_b64 s[0:1], vcc
	s_cbranch_execnz .LBB12_6
.LBB12_2:
	s_or_b64 exec, exec, s[0:1]
	v_cmp_gt_i32_e32 vcc, s3, v0
	s_and_saveexec_b64 s[0:1], vcc
	s_cbranch_execnz .LBB12_7
.LBB12_3:
	s_or_b64 exec, exec, s[0:1]
	v_cmp_gt_i32_e32 vcc, s3, v0
	s_and_saveexec_b64 s[0:1], vcc
	s_cbranch_execnz .LBB12_8
.LBB12_4:
	s_endpgm
.LBB12_5:
	v_or_b32_e32 v0, s2, v0
	global_store_byte v0, v1, s[10:11]
	v_mov_b32_e32 v0, v2
	s_or_b64 exec, exec, s[0:1]
	v_cmp_gt_i32_e32 vcc, s3, v0
	s_and_saveexec_b64 s[0:1], vcc
	s_cbranch_execz .LBB12_2
.LBB12_6:
	v_add_u32_e32 v2, 0x100, v0
	v_lshrrev_b32_e32 v3, 8, v1
	v_add_u32_e32 v0, s2, v0
	global_store_byte v0, v3, s[10:11]
	v_mov_b32_e32 v0, v2
	s_or_b64 exec, exec, s[0:1]
	v_cmp_gt_i32_e32 vcc, s3, v0
	s_and_saveexec_b64 s[0:1], vcc
	s_cbranch_execz .LBB12_3
.LBB12_7:
	v_add_u32_e32 v2, 0x100, v0
	v_add_u32_e32 v0, s2, v0
	global_store_byte_d16_hi v0, v1, s[10:11]
	v_mov_b32_e32 v0, v2
	s_or_b64 exec, exec, s[0:1]
	v_cmp_gt_i32_e32 vcc, s3, v0
	s_and_saveexec_b64 s[0:1], vcc
	s_cbranch_execz .LBB12_4
.LBB12_8:
	v_lshrrev_b32_e32 v1, 24, v1
	v_add_u32_e32 v0, s2, v0
	global_store_byte v0, v1, s[10:11]
	s_endpgm
	.section	.rodata,"a",@progbits
	.p2align	6, 0x0
	.amdhsa_kernel _ZN2at6native27unrolled_elementwise_kernelINS0_11FillFunctorIaEESt5arrayIPcLm1EELi4E23TrivialOffsetCalculatorILi0EjES7_ILi1EjENS0_6memory15LoadWithoutCastENSA_16StoreWithoutCastEEEviT_T0_T2_T3_T4_T5_
		.amdhsa_group_segment_fixed_size 0
		.amdhsa_private_segment_fixed_size 0
		.amdhsa_kernarg_size 20
		.amdhsa_user_sgpr_count 6
		.amdhsa_user_sgpr_private_segment_buffer 1
		.amdhsa_user_sgpr_dispatch_ptr 0
		.amdhsa_user_sgpr_queue_ptr 0
		.amdhsa_user_sgpr_kernarg_segment_ptr 1
		.amdhsa_user_sgpr_dispatch_id 0
		.amdhsa_user_sgpr_flat_scratch_init 0
		.amdhsa_user_sgpr_kernarg_preload_length 0
		.amdhsa_user_sgpr_kernarg_preload_offset 0
		.amdhsa_user_sgpr_private_segment_size 0
		.amdhsa_uses_dynamic_stack 0
		.amdhsa_system_sgpr_private_segment_wavefront_offset 0
		.amdhsa_system_sgpr_workgroup_id_x 1
		.amdhsa_system_sgpr_workgroup_id_y 0
		.amdhsa_system_sgpr_workgroup_id_z 0
		.amdhsa_system_sgpr_workgroup_info 0
		.amdhsa_system_vgpr_workitem_id 0
		.amdhsa_next_free_vgpr 6
		.amdhsa_next_free_sgpr 12
		.amdhsa_accum_offset 8
		.amdhsa_reserve_vcc 1
		.amdhsa_reserve_flat_scratch 0
		.amdhsa_float_round_mode_32 0
		.amdhsa_float_round_mode_16_64 0
		.amdhsa_float_denorm_mode_32 3
		.amdhsa_float_denorm_mode_16_64 3
		.amdhsa_dx10_clamp 1
		.amdhsa_ieee_mode 1
		.amdhsa_fp16_overflow 0
		.amdhsa_tg_split 0
		.amdhsa_exception_fp_ieee_invalid_op 0
		.amdhsa_exception_fp_denorm_src 0
		.amdhsa_exception_fp_ieee_div_zero 0
		.amdhsa_exception_fp_ieee_overflow 0
		.amdhsa_exception_fp_ieee_underflow 0
		.amdhsa_exception_fp_ieee_inexact 0
		.amdhsa_exception_int_div_zero 0
	.end_amdhsa_kernel
	.section	.text._ZN2at6native27unrolled_elementwise_kernelINS0_11FillFunctorIaEESt5arrayIPcLm1EELi4E23TrivialOffsetCalculatorILi0EjES7_ILi1EjENS0_6memory15LoadWithoutCastENSA_16StoreWithoutCastEEEviT_T0_T2_T3_T4_T5_,"axG",@progbits,_ZN2at6native27unrolled_elementwise_kernelINS0_11FillFunctorIaEESt5arrayIPcLm1EELi4E23TrivialOffsetCalculatorILi0EjES7_ILi1EjENS0_6memory15LoadWithoutCastENSA_16StoreWithoutCastEEEviT_T0_T2_T3_T4_T5_,comdat
.Lfunc_end12:
	.size	_ZN2at6native27unrolled_elementwise_kernelINS0_11FillFunctorIaEESt5arrayIPcLm1EELi4E23TrivialOffsetCalculatorILi0EjES7_ILi1EjENS0_6memory15LoadWithoutCastENSA_16StoreWithoutCastEEEviT_T0_T2_T3_T4_T5_, .Lfunc_end12-_ZN2at6native27unrolled_elementwise_kernelINS0_11FillFunctorIaEESt5arrayIPcLm1EELi4E23TrivialOffsetCalculatorILi0EjES7_ILi1EjENS0_6memory15LoadWithoutCastENSA_16StoreWithoutCastEEEviT_T0_T2_T3_T4_T5_
                                        ; -- End function
	.section	.AMDGPU.csdata,"",@progbits
; Kernel info:
; codeLenInByte = 392
; NumSgprs: 16
; NumVgprs: 6
; NumAgprs: 0
; TotalNumVgprs: 6
; ScratchSize: 0
; MemoryBound: 0
; FloatMode: 240
; IeeeMode: 1
; LDSByteSize: 0 bytes/workgroup (compile time only)
; SGPRBlocks: 1
; VGPRBlocks: 0
; NumSGPRsForWavesPerEU: 16
; NumVGPRsForWavesPerEU: 6
; AccumOffset: 8
; Occupancy: 8
; WaveLimiterHint : 0
; COMPUTE_PGM_RSRC2:SCRATCH_EN: 0
; COMPUTE_PGM_RSRC2:USER_SGPR: 6
; COMPUTE_PGM_RSRC2:TRAP_HANDLER: 0
; COMPUTE_PGM_RSRC2:TGID_X_EN: 1
; COMPUTE_PGM_RSRC2:TGID_Y_EN: 0
; COMPUTE_PGM_RSRC2:TGID_Z_EN: 0
; COMPUTE_PGM_RSRC2:TIDIG_COMP_CNT: 0
; COMPUTE_PGM_RSRC3_GFX90A:ACCUM_OFFSET: 1
; COMPUTE_PGM_RSRC3_GFX90A:TG_SPLIT: 0
	.section	.text._ZN2at6native32elementwise_kernel_manual_unrollILi128ELi8EZNS0_22gpu_kernel_impl_nocastINS0_11FillFunctorIaEEEEvRNS_18TensorIteratorBaseERKT_EUlibE_EEviT1_,"axG",@progbits,_ZN2at6native32elementwise_kernel_manual_unrollILi128ELi8EZNS0_22gpu_kernel_impl_nocastINS0_11FillFunctorIaEEEEvRNS_18TensorIteratorBaseERKT_EUlibE_EEviT1_,comdat
	.protected	_ZN2at6native32elementwise_kernel_manual_unrollILi128ELi8EZNS0_22gpu_kernel_impl_nocastINS0_11FillFunctorIaEEEEvRNS_18TensorIteratorBaseERKT_EUlibE_EEviT1_ ; -- Begin function _ZN2at6native32elementwise_kernel_manual_unrollILi128ELi8EZNS0_22gpu_kernel_impl_nocastINS0_11FillFunctorIaEEEEvRNS_18TensorIteratorBaseERKT_EUlibE_EEviT1_
	.globl	_ZN2at6native32elementwise_kernel_manual_unrollILi128ELi8EZNS0_22gpu_kernel_impl_nocastINS0_11FillFunctorIaEEEEvRNS_18TensorIteratorBaseERKT_EUlibE_EEviT1_
	.p2align	8
	.type	_ZN2at6native32elementwise_kernel_manual_unrollILi128ELi8EZNS0_22gpu_kernel_impl_nocastINS0_11FillFunctorIaEEEEvRNS_18TensorIteratorBaseERKT_EUlibE_EEviT1_,@function
_ZN2at6native32elementwise_kernel_manual_unrollILi128ELi8EZNS0_22gpu_kernel_impl_nocastINS0_11FillFunctorIaEEEEvRNS_18TensorIteratorBaseERKT_EUlibE_EEviT1_: ; @_ZN2at6native32elementwise_kernel_manual_unrollILi128ELi8EZNS0_22gpu_kernel_impl_nocastINS0_11FillFunctorIaEEEEvRNS_18TensorIteratorBaseERKT_EUlibE_EEviT1_
; %bb.0:
	s_load_dword s48, s[4:5], 0x0
	s_load_dword s33, s[4:5], 0x8
	s_or_b32 s4, s4, 8
	v_lshl_or_b32 v12, s6, 10, v0
	v_or_b32_e32 v16, 0x380, v12
	s_waitcnt lgkmcnt(0)
	v_cmp_le_i32_e32 vcc, s48, v16
	s_add_i32 s46, s33, -1
	s_cmp_gt_u32 s46, 1
	s_cselect_b64 s[6:7], -1, 0
	s_and_saveexec_b64 s[0:1], vcc
	s_xor_b64 s[24:25], exec, s[0:1]
	s_cbranch_execz .LBB13_7
; %bb.1:
	s_load_dwordx4 s[0:3], s[4:5], 0x4
	s_load_dwordx2 s[30:31], s[4:5], 0x14
	s_load_dwordx2 s[28:29], s[4:5], 0xc4
	;; [unrolled: 1-line block ×3, first 2 shown]
	s_load_dword s47, s[4:5], 0x110
	s_cmp_lg_u32 s33, 0
	s_cselect_b64 s[38:39], -1, 0
	s_add_u32 s36, s4, 0xc4
	s_addc_u32 s37, s5, 0
	s_min_u32 s49, s46, 15
	s_cmp_gt_u32 s33, 1
	s_cselect_b64 s[34:35], -1, 0
	v_cmp_gt_i32_e32 vcc, s48, v12
	s_and_saveexec_b64 s[40:41], vcc
	s_cbranch_execz .LBB13_14
; %bb.2:
	s_andn2_b64 vcc, exec, s[6:7]
	s_cbranch_vccnz .LBB13_21
; %bb.3:
	s_andn2_b64 vcc, exec, s[38:39]
	s_cbranch_vccnz .LBB13_121
; %bb.4:
	s_add_i32 s51, s49, 1
	s_mov_b32 s50, 0
	s_cmp_eq_u32 s46, 2
	v_mov_b32_e32 v0, 0
	s_cbranch_scc1 .LBB13_123
; %bb.5:
	s_and_b32 s50, s51, 28
	s_mov_b32 s52, 0
	v_mov_b32_e32 v0, 0
	s_mov_b64 s[42:43], s[4:5]
	s_mov_b64 s[44:45], s[36:37]
	v_mov_b32_e32 v2, v12
.LBB13_6:                               ; =>This Inner Loop Header: Depth=1
	s_load_dwordx8 s[8:15], s[42:43], 0x4
	s_load_dwordx4 s[16:19], s[42:43], 0x24
	s_load_dwordx4 s[20:23], s[44:45], 0x0
	s_add_u32 s42, s42, 48
	s_addc_u32 s43, s43, 0
	s_waitcnt lgkmcnt(0)
	v_mul_hi_u32 v1, s9, v2
	v_add_u32_e32 v1, v2, v1
	v_lshrrev_b32_e32 v1, s10, v1
	v_mul_lo_u32 v3, v1, s8
	v_mul_hi_u32 v4, s12, v1
	v_sub_u32_e32 v2, v2, v3
	v_add_u32_e32 v3, v1, v4
	v_lshrrev_b32_e32 v3, s13, v3
	v_mul_lo_u32 v4, v3, s11
	v_mul_hi_u32 v5, s15, v3
	v_sub_u32_e32 v1, v1, v4
	v_add_u32_e32 v4, v3, v5
	v_mul_lo_u32 v2, v2, s20
	v_mul_lo_u32 v1, v1, s21
	v_lshrrev_b32_e32 v4, s16, v4
	v_add3_u32 v0, v2, v0, v1
	v_mul_hi_u32 v2, s18, v4
	v_add_u32_e32 v2, v4, v2
	v_mul_lo_u32 v1, v4, s14
	v_lshrrev_b32_e32 v2, s19, v2
	s_add_i32 s52, s52, 4
	v_sub_u32_e32 v1, v3, v1
	v_mul_lo_u32 v3, v2, s17
	s_add_u32 s44, s44, 16
	v_sub_u32_e32 v3, v4, v3
	s_addc_u32 s45, s45, 0
	v_mul_lo_u32 v1, v1, s22
	v_mul_lo_u32 v3, v3, s23
	s_cmp_lg_u32 s50, s52
	v_add3_u32 v0, v1, v0, v3
	s_cbranch_scc1 .LBB13_6
	s_branch .LBB13_124
.LBB13_7:
	s_andn2_saveexec_b64 s[0:1], s[24:25]
	s_cbranch_execz .LBB13_213
.LBB13_8:
	v_cndmask_b32_e64 v0, 0, 1, s[6:7]
	v_cmp_ne_u32_e64 s[0:1], 1, v0
	s_andn2_b64 vcc, exec, s[6:7]
	s_cbranch_vccnz .LBB13_20
; %bb.9:
	s_mov_b32 s24, 0
	s_cmp_eq_u32 s33, 0
	v_mov_b32_e32 v0, 0
	s_cbranch_scc1 .LBB13_26
; %bb.10:
	s_min_u32 s25, s46, 15
	s_add_i32 s25, s25, 1
	s_cmp_eq_u32 s46, 2
	v_mov_b32_e32 v0, 0
	s_cbranch_scc1 .LBB13_23
; %bb.11:
	s_add_u32 s2, s4, 0xc4
	s_addc_u32 s3, s5, 0
	s_and_b32 s24, s25, 28
	s_mov_b32 s26, 0
	v_mov_b32_e32 v0, 0
	s_mov_b64 s[6:7], s[4:5]
	v_mov_b32_e32 v2, v12
.LBB13_12:                              ; =>This Inner Loop Header: Depth=1
	s_load_dwordx8 s[8:15], s[6:7], 0x4
	s_load_dwordx4 s[16:19], s[6:7], 0x24
	s_load_dwordx4 s[20:23], s[2:3], 0x0
	s_add_u32 s6, s6, 48
	s_addc_u32 s7, s7, 0
	s_waitcnt lgkmcnt(0)
	v_mul_hi_u32 v1, s9, v2
	v_add_u32_e32 v1, v2, v1
	v_lshrrev_b32_e32 v1, s10, v1
	v_mul_lo_u32 v3, v1, s8
	v_mul_hi_u32 v4, s12, v1
	v_sub_u32_e32 v2, v2, v3
	v_add_u32_e32 v3, v1, v4
	v_lshrrev_b32_e32 v3, s13, v3
	v_mul_lo_u32 v4, v3, s11
	v_mul_hi_u32 v5, s15, v3
	v_sub_u32_e32 v1, v1, v4
	v_add_u32_e32 v4, v3, v5
	v_mul_lo_u32 v2, v2, s20
	v_mul_lo_u32 v1, v1, s21
	v_lshrrev_b32_e32 v4, s16, v4
	v_add3_u32 v0, v2, v0, v1
	v_mul_hi_u32 v2, s18, v4
	v_add_u32_e32 v2, v4, v2
	v_mul_lo_u32 v1, v4, s14
	v_lshrrev_b32_e32 v2, s19, v2
	s_add_i32 s26, s26, 4
	v_sub_u32_e32 v1, v3, v1
	v_mul_lo_u32 v3, v2, s17
	s_add_u32 s2, s2, 16
	v_sub_u32_e32 v3, v4, v3
	s_addc_u32 s3, s3, 0
	v_mul_lo_u32 v1, v1, s22
	v_mul_lo_u32 v3, v3, s23
	s_cmp_lg_u32 s24, s26
	v_add3_u32 v0, v1, v0, v3
	s_cbranch_scc1 .LBB13_12
; %bb.13:
	s_and_b32 s8, s25, 3
	s_cmp_eq_u32 s8, 0
	s_cbranch_scc0 .LBB13_24
	s_branch .LBB13_26
.LBB13_14:
	s_or_b64 exec, exec, s[40:41]
	v_cmp_gt_i32_e32 vcc, s48, v12
	s_and_saveexec_b64 s[40:41], vcc
	s_cbranch_execz .LBB13_131
.LBB13_15:
	s_andn2_b64 vcc, exec, s[6:7]
	s_cbranch_vccnz .LBB13_22
; %bb.16:
	s_andn2_b64 vcc, exec, s[38:39]
	s_cbranch_vccnz .LBB13_122
; %bb.17:
	s_add_i32 s51, s49, 1
	s_mov_b32 s50, 0
	s_cmp_eq_u32 s46, 2
	v_mov_b32_e32 v0, 0
	s_cbranch_scc1 .LBB13_139
; %bb.18:
	s_and_b32 s50, s51, 28
	s_mov_b32 s52, 0
	v_mov_b32_e32 v0, 0
	s_mov_b64 s[42:43], s[4:5]
	s_mov_b64 s[44:45], s[36:37]
	v_mov_b32_e32 v2, v12
.LBB13_19:                              ; =>This Inner Loop Header: Depth=1
	s_load_dwordx8 s[8:15], s[42:43], 0x4
	s_load_dwordx4 s[16:19], s[42:43], 0x24
	s_load_dwordx4 s[20:23], s[44:45], 0x0
	s_add_u32 s42, s42, 48
	s_addc_u32 s43, s43, 0
	s_waitcnt lgkmcnt(0)
	v_mul_hi_u32 v1, s9, v2
	v_add_u32_e32 v1, v2, v1
	v_lshrrev_b32_e32 v1, s10, v1
	v_mul_lo_u32 v3, v1, s8
	v_mul_hi_u32 v4, s12, v1
	v_sub_u32_e32 v2, v2, v3
	v_add_u32_e32 v3, v1, v4
	v_lshrrev_b32_e32 v3, s13, v3
	v_mul_lo_u32 v4, v3, s11
	v_mul_hi_u32 v5, s15, v3
	v_sub_u32_e32 v1, v1, v4
	v_add_u32_e32 v4, v3, v5
	v_mul_lo_u32 v2, v2, s20
	v_mul_lo_u32 v1, v1, s21
	v_lshrrev_b32_e32 v4, s16, v4
	v_add3_u32 v0, v2, v0, v1
	v_mul_hi_u32 v2, s18, v4
	v_add_u32_e32 v2, v4, v2
	v_mul_lo_u32 v1, v4, s14
	v_lshrrev_b32_e32 v2, s19, v2
	s_add_i32 s52, s52, 4
	v_sub_u32_e32 v1, v3, v1
	v_mul_lo_u32 v3, v2, s17
	s_add_u32 s44, s44, 16
	v_sub_u32_e32 v3, v4, v3
	s_addc_u32 s45, s45, 0
	v_mul_lo_u32 v1, v1, s22
	v_mul_lo_u32 v3, v3, s23
	s_cmp_eq_u32 s50, s52
	v_add3_u32 v0, v1, v0, v3
	s_cbranch_scc0 .LBB13_19
	s_branch .LBB13_140
.LBB13_20:
                                        ; implicit-def: $vgpr0
	s_branch .LBB13_27
.LBB13_21:
                                        ; implicit-def: $vgpr0
	s_branch .LBB13_128
.LBB13_22:
                                        ; implicit-def: $vgpr0
	s_branch .LBB13_144
.LBB13_23:
	v_mov_b32_e32 v2, v12
	s_and_b32 s8, s25, 3
	s_cmp_eq_u32 s8, 0
	s_cbranch_scc1 .LBB13_26
.LBB13_24:
	s_lshl_b32 s2, s24, 2
	s_add_u32 s2, s2, s4
	s_addc_u32 s3, 0, s5
	s_add_u32 s2, s2, 0xc4
	s_addc_u32 s3, s3, 0
	s_mul_i32 s6, s24, 12
	s_add_u32 s6, s4, s6
	s_addc_u32 s7, 0, s5
.LBB13_25:                              ; =>This Inner Loop Header: Depth=1
	s_load_dwordx2 s[10:11], s[6:7], 0x4
	s_load_dword s9, s[6:7], 0xc
	s_load_dword s12, s[2:3], 0x0
	s_add_u32 s6, s6, 12
	s_addc_u32 s7, s7, 0
	s_waitcnt lgkmcnt(0)
	v_mul_hi_u32 v1, s11, v2
	v_add_u32_e32 v1, v2, v1
	v_lshrrev_b32_e32 v1, s9, v1
	s_add_u32 s2, s2, 4
	v_mul_lo_u32 v3, v1, s10
	s_addc_u32 s3, s3, 0
	s_add_i32 s8, s8, -1
	v_sub_u32_e32 v3, v2, v3
	s_cmp_lg_u32 s8, 0
	v_mov_b32_e32 v2, v1
	v_mad_u64_u32 v[0:1], s[10:11], v3, s12, v[0:1]
	s_cbranch_scc1 .LBB13_25
.LBB13_26:
	s_cbranch_execnz .LBB13_29
.LBB13_27:
	s_load_dwordx4 s[8:11], s[4:5], 0x4
	s_load_dword s2, s[4:5], 0xc4
	s_cmp_lt_u32 s33, 2
	s_waitcnt lgkmcnt(0)
	v_mul_hi_u32 v0, s9, v12
	v_add_u32_e32 v0, v12, v0
	v_lshrrev_b32_e32 v1, s10, v0
	v_mul_lo_u32 v0, v1, s8
	v_sub_u32_e32 v0, v12, v0
	v_mul_lo_u32 v0, v0, s2
	s_cbranch_scc1 .LBB13_29
; %bb.28:
	s_load_dwordx4 s[8:11], s[4:5], 0x10
	s_load_dword s2, s[4:5], 0xc8
	s_waitcnt lgkmcnt(0)
	v_mul_hi_u32 v2, s9, v1
	v_add_u32_e32 v2, v1, v2
	v_lshrrev_b32_e32 v2, s10, v2
	v_mul_lo_u32 v2, v2, s8
	v_sub_u32_e32 v1, v1, v2
	v_mad_u64_u32 v[0:1], s[2:3], v1, s2, v[0:1]
.LBB13_29:
	s_and_b64 vcc, exec, s[0:1]
	v_add_u32_e32 v1, 0x80, v12
	s_cbranch_vccnz .LBB13_35
; %bb.30:
	s_mov_b32 s24, 0
	s_cmp_eq_u32 s33, 0
	v_mov_b32_e32 v2, 0
	s_cbranch_scc1 .LBB13_39
; %bb.31:
	s_min_u32 s25, s46, 15
	s_add_i32 s25, s25, 1
	s_cmp_eq_u32 s46, 2
	v_mov_b32_e32 v2, 0
	s_cbranch_scc1 .LBB13_36
; %bb.32:
	s_add_u32 s2, s4, 0xc4
	s_addc_u32 s3, s5, 0
	s_and_b32 s24, s25, 28
	s_mov_b32 s26, 0
	v_mov_b32_e32 v2, 0
	s_mov_b64 s[6:7], s[4:5]
	v_mov_b32_e32 v4, v1
.LBB13_33:                              ; =>This Inner Loop Header: Depth=1
	s_load_dwordx8 s[8:15], s[6:7], 0x4
	s_load_dwordx4 s[16:19], s[6:7], 0x24
	s_load_dwordx4 s[20:23], s[2:3], 0x0
	s_add_u32 s6, s6, 48
	s_addc_u32 s7, s7, 0
	s_waitcnt lgkmcnt(0)
	v_mul_hi_u32 v3, s9, v4
	v_add_u32_e32 v3, v4, v3
	v_lshrrev_b32_e32 v3, s10, v3
	v_mul_lo_u32 v5, v3, s8
	v_mul_hi_u32 v6, s12, v3
	v_sub_u32_e32 v4, v4, v5
	v_add_u32_e32 v5, v3, v6
	v_lshrrev_b32_e32 v5, s13, v5
	v_mul_lo_u32 v6, v5, s11
	v_mul_hi_u32 v7, s15, v5
	v_sub_u32_e32 v3, v3, v6
	v_add_u32_e32 v6, v5, v7
	v_mul_lo_u32 v4, v4, s20
	v_mul_lo_u32 v3, v3, s21
	v_lshrrev_b32_e32 v6, s16, v6
	v_add3_u32 v2, v4, v2, v3
	v_mul_hi_u32 v4, s18, v6
	v_add_u32_e32 v4, v6, v4
	v_mul_lo_u32 v3, v6, s14
	v_lshrrev_b32_e32 v4, s19, v4
	s_add_i32 s26, s26, 4
	v_sub_u32_e32 v3, v5, v3
	v_mul_lo_u32 v5, v4, s17
	s_add_u32 s2, s2, 16
	v_sub_u32_e32 v5, v6, v5
	s_addc_u32 s3, s3, 0
	v_mul_lo_u32 v3, v3, s22
	v_mul_lo_u32 v5, v5, s23
	s_cmp_lg_u32 s24, s26
	v_add3_u32 v2, v3, v2, v5
	s_cbranch_scc1 .LBB13_33
; %bb.34:
	s_and_b32 s8, s25, 3
	s_cmp_eq_u32 s8, 0
	s_cbranch_scc0 .LBB13_37
	s_branch .LBB13_39
.LBB13_35:
                                        ; implicit-def: $vgpr2
	s_branch .LBB13_40
.LBB13_36:
	v_mov_b32_e32 v4, v1
	s_and_b32 s8, s25, 3
	s_cmp_eq_u32 s8, 0
	s_cbranch_scc1 .LBB13_39
.LBB13_37:
	s_lshl_b32 s2, s24, 2
	s_add_u32 s2, s2, s4
	s_addc_u32 s3, 0, s5
	s_add_u32 s2, s2, 0xc4
	s_addc_u32 s3, s3, 0
	s_mul_i32 s6, s24, 12
	s_add_u32 s6, s4, s6
	s_addc_u32 s7, 0, s5
.LBB13_38:                              ; =>This Inner Loop Header: Depth=1
	s_load_dwordx2 s[10:11], s[6:7], 0x4
	s_load_dword s9, s[6:7], 0xc
	s_load_dword s12, s[2:3], 0x0
	s_add_u32 s6, s6, 12
	s_addc_u32 s7, s7, 0
	s_waitcnt lgkmcnt(0)
	v_mul_hi_u32 v3, s11, v4
	v_add_u32_e32 v3, v4, v3
	v_lshrrev_b32_e32 v3, s9, v3
	s_add_u32 s2, s2, 4
	v_mul_lo_u32 v5, v3, s10
	s_addc_u32 s3, s3, 0
	s_add_i32 s8, s8, -1
	v_sub_u32_e32 v5, v4, v5
	s_cmp_lg_u32 s8, 0
	v_mov_b32_e32 v4, v3
	v_mad_u64_u32 v[2:3], s[10:11], v5, s12, v[2:3]
	s_cbranch_scc1 .LBB13_38
.LBB13_39:
	s_cbranch_execnz .LBB13_42
.LBB13_40:
	s_load_dwordx4 s[8:11], s[4:5], 0x4
	s_load_dword s2, s[4:5], 0xc4
	s_cmp_lt_u32 s33, 2
	s_waitcnt lgkmcnt(0)
	v_mul_hi_u32 v2, s9, v1
	v_add_u32_e32 v2, v1, v2
	v_lshrrev_b32_e32 v3, s10, v2
	v_mul_lo_u32 v2, v3, s8
	v_sub_u32_e32 v1, v1, v2
	v_mul_lo_u32 v2, v1, s2
	s_cbranch_scc1 .LBB13_42
; %bb.41:
	s_load_dwordx4 s[8:11], s[4:5], 0x10
	s_load_dword s2, s[4:5], 0xc8
	s_waitcnt lgkmcnt(0)
	v_mul_hi_u32 v1, s9, v3
	v_add_u32_e32 v1, v3, v1
	v_lshrrev_b32_e32 v1, s10, v1
	v_mul_lo_u32 v1, v1, s8
	v_sub_u32_e32 v1, v3, v1
	v_mad_u64_u32 v[2:3], s[2:3], v1, s2, v[2:3]
.LBB13_42:
	s_and_b64 vcc, exec, s[0:1]
	v_add_u32_e32 v1, 0x100, v12
	s_cbranch_vccnz .LBB13_48
; %bb.43:
	s_mov_b32 s24, 0
	s_cmp_eq_u32 s33, 0
	v_mov_b32_e32 v4, 0
	s_cbranch_scc1 .LBB13_52
; %bb.44:
	s_min_u32 s25, s46, 15
	s_add_i32 s25, s25, 1
	s_cmp_eq_u32 s46, 2
	v_mov_b32_e32 v4, 0
	s_cbranch_scc1 .LBB13_49
; %bb.45:
	s_add_u32 s2, s4, 0xc4
	s_addc_u32 s3, s5, 0
	s_and_b32 s24, s25, 28
	s_mov_b32 s26, 0
	v_mov_b32_e32 v4, 0
	s_mov_b64 s[6:7], s[4:5]
	v_mov_b32_e32 v3, v1
.LBB13_46:                              ; =>This Inner Loop Header: Depth=1
	s_load_dwordx8 s[8:15], s[6:7], 0x4
	s_load_dwordx4 s[16:19], s[6:7], 0x24
	s_load_dwordx4 s[20:23], s[2:3], 0x0
	s_add_u32 s6, s6, 48
	s_addc_u32 s7, s7, 0
	s_waitcnt lgkmcnt(0)
	v_mul_hi_u32 v5, s9, v3
	v_add_u32_e32 v5, v3, v5
	v_lshrrev_b32_e32 v5, s10, v5
	v_mul_lo_u32 v6, v5, s8
	v_mul_hi_u32 v7, s12, v5
	v_sub_u32_e32 v3, v3, v6
	v_add_u32_e32 v6, v5, v7
	v_lshrrev_b32_e32 v6, s13, v6
	v_mul_lo_u32 v7, v6, s11
	v_mul_hi_u32 v8, s15, v6
	v_sub_u32_e32 v5, v5, v7
	v_add_u32_e32 v7, v6, v8
	v_mul_lo_u32 v3, v3, s20
	v_mul_lo_u32 v5, v5, s21
	v_lshrrev_b32_e32 v7, s16, v7
	v_add3_u32 v4, v3, v4, v5
	v_mul_lo_u32 v3, v7, s14
	v_mul_hi_u32 v5, s18, v7
	v_sub_u32_e32 v3, v6, v3
	v_add_u32_e32 v5, v7, v5
	v_mul_lo_u32 v6, v3, s22
	v_lshrrev_b32_e32 v3, s19, v5
	s_add_i32 s26, s26, 4
	v_mul_lo_u32 v5, v3, s17
	s_add_u32 s2, s2, 16
	v_sub_u32_e32 v5, v7, v5
	s_addc_u32 s3, s3, 0
	v_mul_lo_u32 v5, v5, s23
	s_cmp_lg_u32 s24, s26
	v_add3_u32 v4, v6, v4, v5
	s_cbranch_scc1 .LBB13_46
; %bb.47:
	s_and_b32 s8, s25, 3
	s_cmp_eq_u32 s8, 0
	s_cbranch_scc0 .LBB13_50
	s_branch .LBB13_52
.LBB13_48:
                                        ; implicit-def: $vgpr4
	s_branch .LBB13_53
.LBB13_49:
	v_mov_b32_e32 v3, v1
	s_and_b32 s8, s25, 3
	s_cmp_eq_u32 s8, 0
	s_cbranch_scc1 .LBB13_52
.LBB13_50:
	s_lshl_b32 s2, s24, 2
	s_add_u32 s2, s2, s4
	s_addc_u32 s3, 0, s5
	s_add_u32 s2, s2, 0xc4
	s_addc_u32 s3, s3, 0
	s_mul_i32 s6, s24, 12
	s_add_u32 s6, s4, s6
	s_addc_u32 s7, 0, s5
.LBB13_51:                              ; =>This Inner Loop Header: Depth=1
	s_load_dwordx2 s[10:11], s[6:7], 0x4
	s_load_dword s9, s[6:7], 0xc
	s_load_dword s12, s[2:3], 0x0
	s_add_u32 s6, s6, 12
	s_addc_u32 s7, s7, 0
	s_waitcnt lgkmcnt(0)
	v_mul_hi_u32 v5, s11, v3
	v_add_u32_e32 v5, v3, v5
	v_lshrrev_b32_e32 v5, s9, v5
	s_add_u32 s2, s2, 4
	v_mul_lo_u32 v6, v5, s10
	s_addc_u32 s3, s3, 0
	s_add_i32 s8, s8, -1
	v_sub_u32_e32 v6, v3, v6
	s_cmp_lg_u32 s8, 0
	v_mov_b32_e32 v3, v5
	v_mad_u64_u32 v[4:5], s[10:11], v6, s12, v[4:5]
	s_cbranch_scc1 .LBB13_51
.LBB13_52:
	s_cbranch_execnz .LBB13_55
.LBB13_53:
	s_load_dwordx4 s[8:11], s[4:5], 0x4
	s_load_dword s2, s[4:5], 0xc4
	s_cmp_lt_u32 s33, 2
	s_waitcnt lgkmcnt(0)
	v_mul_hi_u32 v3, s9, v1
	v_add_u32_e32 v3, v1, v3
	v_lshrrev_b32_e32 v3, s10, v3
	v_mul_lo_u32 v4, v3, s8
	v_sub_u32_e32 v1, v1, v4
	v_mul_lo_u32 v4, v1, s2
	s_cbranch_scc1 .LBB13_55
; %bb.54:
	s_load_dwordx4 s[8:11], s[4:5], 0x10
	s_load_dword s2, s[4:5], 0xc8
	s_waitcnt lgkmcnt(0)
	v_mul_hi_u32 v1, s9, v3
	v_add_u32_e32 v1, v3, v1
	v_lshrrev_b32_e32 v1, s10, v1
	v_mul_lo_u32 v1, v1, s8
	v_sub_u32_e32 v1, v3, v1
	v_mad_u64_u32 v[4:5], s[2:3], v1, s2, v[4:5]
.LBB13_55:
	s_and_b64 vcc, exec, s[0:1]
	v_add_u32_e32 v1, 0x180, v12
	s_cbranch_vccnz .LBB13_61
; %bb.56:
	s_mov_b32 s24, 0
	s_cmp_eq_u32 s33, 0
	v_mov_b32_e32 v6, 0
	s_cbranch_scc1 .LBB13_65
; %bb.57:
	s_min_u32 s25, s46, 15
	s_add_i32 s25, s25, 1
	s_cmp_eq_u32 s46, 2
	v_mov_b32_e32 v6, 0
	s_cbranch_scc1 .LBB13_62
; %bb.58:
	s_add_u32 s2, s4, 0xc4
	s_addc_u32 s3, s5, 0
	s_and_b32 s24, s25, 28
	s_mov_b32 s26, 0
	v_mov_b32_e32 v6, 0
	s_mov_b64 s[6:7], s[4:5]
	v_mov_b32_e32 v3, v1
.LBB13_59:                              ; =>This Inner Loop Header: Depth=1
	s_load_dwordx8 s[8:15], s[6:7], 0x4
	s_load_dwordx4 s[16:19], s[6:7], 0x24
	s_load_dwordx4 s[20:23], s[2:3], 0x0
	s_add_u32 s6, s6, 48
	s_addc_u32 s7, s7, 0
	s_waitcnt lgkmcnt(0)
	v_mul_hi_u32 v5, s9, v3
	v_add_u32_e32 v5, v3, v5
	v_lshrrev_b32_e32 v5, s10, v5
	v_mul_lo_u32 v7, v5, s8
	v_mul_hi_u32 v8, s12, v5
	v_sub_u32_e32 v3, v3, v7
	v_add_u32_e32 v7, v5, v8
	v_lshrrev_b32_e32 v7, s13, v7
	v_mul_lo_u32 v8, v7, s11
	v_mul_hi_u32 v9, s15, v7
	v_sub_u32_e32 v5, v5, v8
	v_add_u32_e32 v8, v7, v9
	v_mul_lo_u32 v3, v3, s20
	v_mul_lo_u32 v5, v5, s21
	v_lshrrev_b32_e32 v8, s16, v8
	v_add3_u32 v5, v3, v6, v5
	v_mul_lo_u32 v3, v8, s14
	v_mul_hi_u32 v6, s18, v8
	v_sub_u32_e32 v3, v7, v3
	v_add_u32_e32 v6, v8, v6
	v_mul_lo_u32 v7, v3, s22
	v_lshrrev_b32_e32 v3, s19, v6
	s_add_i32 s26, s26, 4
	v_mul_lo_u32 v6, v3, s17
	s_add_u32 s2, s2, 16
	v_sub_u32_e32 v6, v8, v6
	s_addc_u32 s3, s3, 0
	v_mul_lo_u32 v6, v6, s23
	s_cmp_lg_u32 s24, s26
	v_add3_u32 v6, v7, v5, v6
	s_cbranch_scc1 .LBB13_59
; %bb.60:
	s_and_b32 s8, s25, 3
	s_cmp_eq_u32 s8, 0
	s_cbranch_scc0 .LBB13_63
	s_branch .LBB13_65
.LBB13_61:
                                        ; implicit-def: $vgpr6
	s_branch .LBB13_66
.LBB13_62:
	v_mov_b32_e32 v3, v1
	s_and_b32 s8, s25, 3
	s_cmp_eq_u32 s8, 0
	s_cbranch_scc1 .LBB13_65
.LBB13_63:
	s_lshl_b32 s2, s24, 2
	s_add_u32 s2, s2, s4
	s_addc_u32 s3, 0, s5
	s_add_u32 s2, s2, 0xc4
	s_addc_u32 s3, s3, 0
	s_mul_i32 s6, s24, 12
	s_add_u32 s6, s4, s6
	s_addc_u32 s7, 0, s5
.LBB13_64:                              ; =>This Inner Loop Header: Depth=1
	s_load_dwordx2 s[10:11], s[6:7], 0x4
	s_load_dword s9, s[6:7], 0xc
	s_load_dword s12, s[2:3], 0x0
	s_add_u32 s6, s6, 12
	s_addc_u32 s7, s7, 0
	s_waitcnt lgkmcnt(0)
	v_mul_hi_u32 v5, s11, v3
	v_add_u32_e32 v5, v3, v5
	v_lshrrev_b32_e32 v5, s9, v5
	s_add_u32 s2, s2, 4
	v_mul_lo_u32 v7, v5, s10
	s_addc_u32 s3, s3, 0
	s_add_i32 s8, s8, -1
	v_sub_u32_e32 v7, v3, v7
	s_cmp_lg_u32 s8, 0
	v_mov_b32_e32 v3, v5
	v_mad_u64_u32 v[6:7], s[10:11], v7, s12, v[6:7]
	s_cbranch_scc1 .LBB13_64
.LBB13_65:
	s_cbranch_execnz .LBB13_68
.LBB13_66:
	s_load_dwordx4 s[8:11], s[4:5], 0x4
	s_load_dword s2, s[4:5], 0xc4
	s_cmp_lt_u32 s33, 2
	s_waitcnt lgkmcnt(0)
	v_mul_hi_u32 v3, s9, v1
	v_add_u32_e32 v3, v1, v3
	v_lshrrev_b32_e32 v3, s10, v3
	v_mul_lo_u32 v5, v3, s8
	v_sub_u32_e32 v1, v1, v5
	v_mul_lo_u32 v6, v1, s2
	s_cbranch_scc1 .LBB13_68
; %bb.67:
	s_load_dwordx4 s[8:11], s[4:5], 0x10
	s_load_dword s2, s[4:5], 0xc8
	s_waitcnt lgkmcnt(0)
	v_mul_hi_u32 v1, s9, v3
	v_add_u32_e32 v1, v3, v1
	v_lshrrev_b32_e32 v1, s10, v1
	v_mul_lo_u32 v1, v1, s8
	v_sub_u32_e32 v1, v3, v1
	v_mad_u64_u32 v[6:7], s[2:3], v1, s2, v[6:7]
.LBB13_68:
	s_and_b64 vcc, exec, s[0:1]
	v_add_u32_e32 v1, 0x200, v12
	s_cbranch_vccnz .LBB13_74
; %bb.69:
	s_mov_b32 s24, 0
	s_cmp_eq_u32 s33, 0
	v_mov_b32_e32 v8, 0
	s_cbranch_scc1 .LBB13_78
; %bb.70:
	s_min_u32 s25, s46, 15
	s_add_i32 s25, s25, 1
	s_cmp_eq_u32 s46, 2
	v_mov_b32_e32 v8, 0
	s_cbranch_scc1 .LBB13_75
; %bb.71:
	s_add_u32 s2, s4, 0xc4
	s_addc_u32 s3, s5, 0
	s_and_b32 s24, s25, 28
	s_mov_b32 s26, 0
	v_mov_b32_e32 v8, 0
	s_mov_b64 s[6:7], s[4:5]
	v_mov_b32_e32 v3, v1
.LBB13_72:                              ; =>This Inner Loop Header: Depth=1
	s_load_dwordx8 s[8:15], s[6:7], 0x4
	s_load_dwordx4 s[16:19], s[6:7], 0x24
	s_load_dwordx4 s[20:23], s[2:3], 0x0
	s_add_u32 s6, s6, 48
	s_addc_u32 s7, s7, 0
	s_waitcnt lgkmcnt(0)
	v_mul_hi_u32 v5, s9, v3
	v_add_u32_e32 v5, v3, v5
	v_lshrrev_b32_e32 v5, s10, v5
	v_mul_lo_u32 v7, v5, s8
	v_mul_hi_u32 v9, s12, v5
	v_sub_u32_e32 v3, v3, v7
	v_add_u32_e32 v7, v5, v9
	v_lshrrev_b32_e32 v7, s13, v7
	v_mul_lo_u32 v9, v7, s11
	v_mul_hi_u32 v10, s15, v7
	v_sub_u32_e32 v5, v5, v9
	v_add_u32_e32 v9, v7, v10
	v_mul_lo_u32 v3, v3, s20
	v_mul_lo_u32 v5, v5, s21
	v_lshrrev_b32_e32 v9, s16, v9
	v_add3_u32 v5, v3, v8, v5
	v_mul_lo_u32 v3, v9, s14
	v_mul_hi_u32 v8, s18, v9
	v_sub_u32_e32 v3, v7, v3
	v_add_u32_e32 v7, v9, v8
	v_mul_lo_u32 v8, v3, s22
	v_lshrrev_b32_e32 v3, s19, v7
	s_add_i32 s26, s26, 4
	v_mul_lo_u32 v7, v3, s17
	s_add_u32 s2, s2, 16
	v_sub_u32_e32 v7, v9, v7
	s_addc_u32 s3, s3, 0
	v_mul_lo_u32 v7, v7, s23
	s_cmp_lg_u32 s24, s26
	v_add3_u32 v8, v8, v5, v7
	s_cbranch_scc1 .LBB13_72
; %bb.73:
	s_and_b32 s8, s25, 3
	s_cmp_eq_u32 s8, 0
	s_cbranch_scc0 .LBB13_76
	s_branch .LBB13_78
.LBB13_74:
                                        ; implicit-def: $vgpr8
	s_branch .LBB13_79
.LBB13_75:
	v_mov_b32_e32 v3, v1
	s_and_b32 s8, s25, 3
	s_cmp_eq_u32 s8, 0
	s_cbranch_scc1 .LBB13_78
.LBB13_76:
	s_lshl_b32 s2, s24, 2
	s_add_u32 s2, s2, s4
	s_addc_u32 s3, 0, s5
	s_add_u32 s2, s2, 0xc4
	s_addc_u32 s3, s3, 0
	s_mul_i32 s6, s24, 12
	s_add_u32 s6, s4, s6
	s_addc_u32 s7, 0, s5
.LBB13_77:                              ; =>This Inner Loop Header: Depth=1
	s_load_dwordx2 s[10:11], s[6:7], 0x4
	s_load_dword s9, s[6:7], 0xc
	s_load_dword s12, s[2:3], 0x0
	s_add_u32 s6, s6, 12
	s_addc_u32 s7, s7, 0
	s_waitcnt lgkmcnt(0)
	v_mul_hi_u32 v5, s11, v3
	v_add_u32_e32 v5, v3, v5
	v_lshrrev_b32_e32 v5, s9, v5
	s_add_u32 s2, s2, 4
	v_mul_lo_u32 v7, v5, s10
	s_addc_u32 s3, s3, 0
	s_add_i32 s8, s8, -1
	v_sub_u32_e32 v7, v3, v7
	s_cmp_lg_u32 s8, 0
	v_mov_b32_e32 v3, v5
	v_mad_u64_u32 v[8:9], s[10:11], v7, s12, v[8:9]
	s_cbranch_scc1 .LBB13_77
.LBB13_78:
	s_cbranch_execnz .LBB13_81
.LBB13_79:
	s_load_dwordx4 s[8:11], s[4:5], 0x4
	s_load_dword s2, s[4:5], 0xc4
	s_cmp_lt_u32 s33, 2
	s_waitcnt lgkmcnt(0)
	v_mul_hi_u32 v3, s9, v1
	v_add_u32_e32 v3, v1, v3
	v_lshrrev_b32_e32 v3, s10, v3
	v_mul_lo_u32 v5, v3, s8
	v_sub_u32_e32 v1, v1, v5
	v_mul_lo_u32 v8, v1, s2
	s_cbranch_scc1 .LBB13_81
; %bb.80:
	s_load_dwordx4 s[8:11], s[4:5], 0x10
	s_load_dword s2, s[4:5], 0xc8
	s_waitcnt lgkmcnt(0)
	v_mul_hi_u32 v1, s9, v3
	v_add_u32_e32 v1, v3, v1
	v_lshrrev_b32_e32 v1, s10, v1
	v_mul_lo_u32 v1, v1, s8
	v_sub_u32_e32 v1, v3, v1
	v_mad_u64_u32 v[8:9], s[2:3], v1, s2, v[8:9]
.LBB13_81:
	s_and_b64 vcc, exec, s[0:1]
	v_add_u32_e32 v1, 0x280, v12
	s_cbranch_vccnz .LBB13_87
; %bb.82:
	s_mov_b32 s24, 0
	s_cmp_eq_u32 s33, 0
	v_mov_b32_e32 v10, 0
	s_cbranch_scc1 .LBB13_91
; %bb.83:
	s_min_u32 s25, s46, 15
	s_add_i32 s25, s25, 1
	s_cmp_eq_u32 s46, 2
	v_mov_b32_e32 v10, 0
	s_cbranch_scc1 .LBB13_88
; %bb.84:
	s_add_u32 s2, s4, 0xc4
	s_addc_u32 s3, s5, 0
	s_and_b32 s24, s25, 28
	s_mov_b32 s26, 0
	v_mov_b32_e32 v10, 0
	s_mov_b64 s[6:7], s[4:5]
	v_mov_b32_e32 v3, v1
.LBB13_85:                              ; =>This Inner Loop Header: Depth=1
	s_load_dwordx8 s[8:15], s[6:7], 0x4
	s_load_dwordx4 s[16:19], s[6:7], 0x24
	s_load_dwordx4 s[20:23], s[2:3], 0x0
	s_add_u32 s6, s6, 48
	s_addc_u32 s7, s7, 0
	s_waitcnt lgkmcnt(0)
	v_mul_hi_u32 v5, s9, v3
	v_add_u32_e32 v5, v3, v5
	v_lshrrev_b32_e32 v5, s10, v5
	v_mul_lo_u32 v7, v5, s8
	v_mul_hi_u32 v9, s12, v5
	v_sub_u32_e32 v3, v3, v7
	v_add_u32_e32 v7, v5, v9
	v_lshrrev_b32_e32 v7, s13, v7
	v_mul_lo_u32 v9, v7, s11
	v_mul_hi_u32 v11, s15, v7
	v_sub_u32_e32 v5, v5, v9
	v_add_u32_e32 v9, v7, v11
	v_mul_lo_u32 v3, v3, s20
	v_mul_lo_u32 v5, v5, s21
	v_lshrrev_b32_e32 v9, s16, v9
	v_add3_u32 v5, v3, v10, v5
	v_mul_lo_u32 v3, v9, s14
	v_mul_hi_u32 v10, s18, v9
	v_sub_u32_e32 v3, v7, v3
	v_add_u32_e32 v7, v9, v10
	v_mul_lo_u32 v10, v3, s22
	v_lshrrev_b32_e32 v3, s19, v7
	s_add_i32 s26, s26, 4
	v_mul_lo_u32 v7, v3, s17
	s_add_u32 s2, s2, 16
	v_sub_u32_e32 v7, v9, v7
	s_addc_u32 s3, s3, 0
	v_mul_lo_u32 v7, v7, s23
	s_cmp_lg_u32 s24, s26
	v_add3_u32 v10, v10, v5, v7
	s_cbranch_scc1 .LBB13_85
; %bb.86:
	s_and_b32 s8, s25, 3
	s_cmp_eq_u32 s8, 0
	s_cbranch_scc0 .LBB13_89
	s_branch .LBB13_91
.LBB13_87:
                                        ; implicit-def: $vgpr10
	s_branch .LBB13_92
.LBB13_88:
	v_mov_b32_e32 v3, v1
	s_and_b32 s8, s25, 3
	s_cmp_eq_u32 s8, 0
	s_cbranch_scc1 .LBB13_91
.LBB13_89:
	s_lshl_b32 s2, s24, 2
	s_add_u32 s2, s2, s4
	s_addc_u32 s3, 0, s5
	s_add_u32 s2, s2, 0xc4
	s_addc_u32 s3, s3, 0
	s_mul_i32 s6, s24, 12
	s_add_u32 s6, s4, s6
	s_addc_u32 s7, 0, s5
.LBB13_90:                              ; =>This Inner Loop Header: Depth=1
	s_load_dwordx2 s[10:11], s[6:7], 0x4
	s_load_dword s9, s[6:7], 0xc
	s_load_dword s12, s[2:3], 0x0
	s_add_u32 s6, s6, 12
	s_addc_u32 s7, s7, 0
	s_waitcnt lgkmcnt(0)
	v_mul_hi_u32 v5, s11, v3
	v_add_u32_e32 v5, v3, v5
	v_lshrrev_b32_e32 v5, s9, v5
	s_add_u32 s2, s2, 4
	v_mul_lo_u32 v7, v5, s10
	s_addc_u32 s3, s3, 0
	s_add_i32 s8, s8, -1
	v_sub_u32_e32 v7, v3, v7
	s_cmp_lg_u32 s8, 0
	v_mov_b32_e32 v3, v5
	v_mad_u64_u32 v[10:11], s[10:11], v7, s12, v[10:11]
	s_cbranch_scc1 .LBB13_90
.LBB13_91:
	s_cbranch_execnz .LBB13_94
.LBB13_92:
	s_load_dwordx4 s[8:11], s[4:5], 0x4
	s_load_dword s2, s[4:5], 0xc4
	s_cmp_lt_u32 s33, 2
	s_waitcnt lgkmcnt(0)
	v_mul_hi_u32 v3, s9, v1
	v_add_u32_e32 v3, v1, v3
	v_lshrrev_b32_e32 v3, s10, v3
	v_mul_lo_u32 v5, v3, s8
	v_sub_u32_e32 v1, v1, v5
	v_mul_lo_u32 v10, v1, s2
	s_cbranch_scc1 .LBB13_94
; %bb.93:
	s_load_dwordx4 s[8:11], s[4:5], 0x10
	s_load_dword s2, s[4:5], 0xc8
	s_waitcnt lgkmcnt(0)
	v_mul_hi_u32 v1, s9, v3
	v_add_u32_e32 v1, v3, v1
	v_lshrrev_b32_e32 v1, s10, v1
	v_mul_lo_u32 v1, v1, s8
	v_sub_u32_e32 v1, v3, v1
	v_mad_u64_u32 v[10:11], s[2:3], v1, s2, v[10:11]
.LBB13_94:
	s_and_b64 vcc, exec, s[0:1]
	v_add_u32_e32 v1, 0x300, v12
	s_cbranch_vccnz .LBB13_100
; %bb.95:
	s_mov_b32 s24, 0
	s_cmp_eq_u32 s33, 0
	v_mov_b32_e32 v12, 0
	s_cbranch_scc1 .LBB13_104
; %bb.96:
	s_min_u32 s25, s46, 15
	s_add_i32 s25, s25, 1
	s_cmp_eq_u32 s46, 2
	v_mov_b32_e32 v12, 0
	s_cbranch_scc1 .LBB13_101
; %bb.97:
	s_add_u32 s2, s4, 0xc4
	s_addc_u32 s3, s5, 0
	s_and_b32 s24, s25, 28
	s_mov_b32 s26, 0
	v_mov_b32_e32 v12, 0
	s_mov_b64 s[6:7], s[4:5]
	v_mov_b32_e32 v3, v1
.LBB13_98:                              ; =>This Inner Loop Header: Depth=1
	s_load_dwordx8 s[8:15], s[6:7], 0x4
	s_load_dwordx4 s[16:19], s[6:7], 0x24
	s_load_dwordx4 s[20:23], s[2:3], 0x0
	s_add_u32 s6, s6, 48
	s_addc_u32 s7, s7, 0
	s_waitcnt lgkmcnt(0)
	v_mul_hi_u32 v5, s9, v3
	v_add_u32_e32 v5, v3, v5
	v_lshrrev_b32_e32 v5, s10, v5
	v_mul_lo_u32 v7, v5, s8
	v_mul_hi_u32 v9, s12, v5
	v_sub_u32_e32 v3, v3, v7
	v_add_u32_e32 v7, v5, v9
	v_lshrrev_b32_e32 v7, s13, v7
	v_mul_lo_u32 v9, v7, s11
	v_mul_hi_u32 v11, s15, v7
	v_sub_u32_e32 v5, v5, v9
	v_add_u32_e32 v9, v7, v11
	v_mul_lo_u32 v3, v3, s20
	v_mul_lo_u32 v5, v5, s21
	v_lshrrev_b32_e32 v9, s16, v9
	v_add3_u32 v5, v3, v12, v5
	v_mul_lo_u32 v3, v9, s14
	v_mul_hi_u32 v11, s18, v9
	v_sub_u32_e32 v3, v7, v3
	v_add_u32_e32 v7, v9, v11
	v_mul_lo_u32 v11, v3, s22
	v_lshrrev_b32_e32 v3, s19, v7
	s_add_i32 s26, s26, 4
	v_mul_lo_u32 v7, v3, s17
	s_add_u32 s2, s2, 16
	v_sub_u32_e32 v7, v9, v7
	s_addc_u32 s3, s3, 0
	v_mul_lo_u32 v7, v7, s23
	s_cmp_lg_u32 s24, s26
	v_add3_u32 v12, v11, v5, v7
	s_cbranch_scc1 .LBB13_98
; %bb.99:
	s_and_b32 s8, s25, 3
	s_cmp_eq_u32 s8, 0
	s_cbranch_scc0 .LBB13_102
	s_branch .LBB13_104
.LBB13_100:
                                        ; implicit-def: $vgpr12
	s_branch .LBB13_105
.LBB13_101:
	v_mov_b32_e32 v3, v1
	s_and_b32 s8, s25, 3
	s_cmp_eq_u32 s8, 0
	s_cbranch_scc1 .LBB13_104
.LBB13_102:
	s_lshl_b32 s2, s24, 2
	s_add_u32 s2, s2, s4
	s_addc_u32 s3, 0, s5
	s_add_u32 s2, s2, 0xc4
	s_addc_u32 s3, s3, 0
	s_mul_i32 s6, s24, 12
	s_add_u32 s6, s4, s6
	s_addc_u32 s7, 0, s5
.LBB13_103:                             ; =>This Inner Loop Header: Depth=1
	s_load_dwordx2 s[10:11], s[6:7], 0x4
	s_load_dword s9, s[6:7], 0xc
	s_load_dword s12, s[2:3], 0x0
	s_add_u32 s6, s6, 12
	s_addc_u32 s7, s7, 0
	s_waitcnt lgkmcnt(0)
	v_mul_hi_u32 v5, s11, v3
	v_add_u32_e32 v5, v3, v5
	v_lshrrev_b32_e32 v5, s9, v5
	s_add_u32 s2, s2, 4
	v_mul_lo_u32 v7, v5, s10
	s_addc_u32 s3, s3, 0
	s_add_i32 s8, s8, -1
	v_sub_u32_e32 v7, v3, v7
	s_cmp_lg_u32 s8, 0
	v_mov_b32_e32 v3, v5
	v_mad_u64_u32 v[12:13], s[10:11], v7, s12, v[12:13]
	s_cbranch_scc1 .LBB13_103
.LBB13_104:
	s_cbranch_execnz .LBB13_107
.LBB13_105:
	s_load_dwordx4 s[8:11], s[4:5], 0x4
	s_load_dword s2, s[4:5], 0xc4
	s_cmp_lt_u32 s33, 2
	s_waitcnt lgkmcnt(0)
	v_mul_hi_u32 v3, s9, v1
	v_add_u32_e32 v3, v1, v3
	v_lshrrev_b32_e32 v3, s10, v3
	v_mul_lo_u32 v5, v3, s8
	v_sub_u32_e32 v1, v1, v5
	v_mul_lo_u32 v12, v1, s2
	s_cbranch_scc1 .LBB13_107
; %bb.106:
	s_load_dwordx4 s[8:11], s[4:5], 0x10
	s_load_dword s2, s[4:5], 0xc8
	s_waitcnt lgkmcnt(0)
	v_mul_hi_u32 v1, s9, v3
	v_add_u32_e32 v1, v3, v1
	v_lshrrev_b32_e32 v1, s10, v1
	v_mul_lo_u32 v1, v1, s8
	v_sub_u32_e32 v1, v3, v1
	v_mad_u64_u32 v[12:13], s[2:3], v1, s2, v[12:13]
.LBB13_107:
	s_and_b64 vcc, exec, s[0:1]
	s_cbranch_vccnz .LBB13_113
; %bb.108:
	s_mov_b32 s22, 0
	s_cmp_eq_u32 s33, 0
	v_mov_b32_e32 v14, 0
	s_cbranch_scc1 .LBB13_117
; %bb.109:
	s_min_u32 s23, s46, 15
	s_add_i32 s23, s23, 1
	s_cmp_eq_u32 s46, 2
	v_mov_b32_e32 v14, 0
	s_cbranch_scc1 .LBB13_114
; %bb.110:
	s_add_u32 s6, s4, 0xc4
	s_addc_u32 s7, s5, 0
	s_and_b32 s22, s23, 28
	s_mov_b32 s24, 0
	v_mov_b32_e32 v14, 0
	s_mov_b64 s[20:21], s[4:5]
	v_mov_b32_e32 v1, v16
.LBB13_111:                             ; =>This Inner Loop Header: Depth=1
	s_load_dwordx8 s[8:15], s[20:21], 0x4
	s_load_dwordx4 s[0:3], s[20:21], 0x24
	s_load_dwordx4 s[16:19], s[6:7], 0x0
	s_add_u32 s20, s20, 48
	s_addc_u32 s21, s21, 0
	s_waitcnt lgkmcnt(0)
	v_mul_hi_u32 v3, s9, v1
	v_add_u32_e32 v3, v1, v3
	v_lshrrev_b32_e32 v3, s10, v3
	v_mul_lo_u32 v5, v3, s8
	v_mul_hi_u32 v7, s12, v3
	v_sub_u32_e32 v1, v1, v5
	v_add_u32_e32 v5, v3, v7
	v_lshrrev_b32_e32 v5, s13, v5
	v_mul_lo_u32 v7, v5, s11
	v_mul_hi_u32 v9, s15, v5
	v_sub_u32_e32 v3, v3, v7
	v_add_u32_e32 v7, v5, v9
	v_mul_lo_u32 v1, v1, s16
	v_mul_lo_u32 v3, v3, s17
	v_lshrrev_b32_e32 v7, s0, v7
	v_add3_u32 v3, v1, v14, v3
	v_mul_lo_u32 v1, v7, s14
	v_mul_hi_u32 v9, s2, v7
	v_sub_u32_e32 v1, v5, v1
	v_add_u32_e32 v5, v7, v9
	v_mul_lo_u32 v9, v1, s18
	v_lshrrev_b32_e32 v1, s3, v5
	s_add_i32 s24, s24, 4
	v_mul_lo_u32 v5, v1, s1
	s_add_u32 s6, s6, 16
	v_sub_u32_e32 v5, v7, v5
	s_addc_u32 s7, s7, 0
	v_mul_lo_u32 v5, v5, s19
	s_cmp_lg_u32 s22, s24
	v_add3_u32 v14, v9, v3, v5
	s_cbranch_scc1 .LBB13_111
; %bb.112:
	s_and_b32 s6, s23, 3
	s_cmp_eq_u32 s6, 0
	s_cbranch_scc0 .LBB13_115
	s_branch .LBB13_117
.LBB13_113:
                                        ; implicit-def: $vgpr14
	s_branch .LBB13_118
.LBB13_114:
	v_mov_b32_e32 v1, v16
	s_and_b32 s6, s23, 3
	s_cmp_eq_u32 s6, 0
	s_cbranch_scc1 .LBB13_117
.LBB13_115:
	s_lshl_b32 s0, s22, 2
	s_add_u32 s0, s0, s4
	s_addc_u32 s1, 0, s5
	s_add_u32 s0, s0, 0xc4
	s_addc_u32 s1, s1, 0
	s_mul_i32 s2, s22, 12
	s_add_u32 s2, s4, s2
	s_addc_u32 s3, 0, s5
.LBB13_116:                             ; =>This Inner Loop Header: Depth=1
	s_load_dwordx2 s[8:9], s[2:3], 0x4
	s_load_dword s7, s[2:3], 0xc
	s_load_dword s10, s[0:1], 0x0
	s_add_u32 s2, s2, 12
	s_addc_u32 s3, s3, 0
	s_waitcnt lgkmcnt(0)
	v_mul_hi_u32 v3, s9, v1
	v_add_u32_e32 v3, v1, v3
	v_lshrrev_b32_e32 v3, s7, v3
	s_add_u32 s0, s0, 4
	v_mul_lo_u32 v5, v3, s8
	s_addc_u32 s1, s1, 0
	s_add_i32 s6, s6, -1
	v_sub_u32_e32 v5, v1, v5
	s_cmp_lg_u32 s6, 0
	v_mov_b32_e32 v1, v3
	v_mad_u64_u32 v[14:15], s[8:9], v5, s10, v[14:15]
	s_cbranch_scc1 .LBB13_116
.LBB13_117:
	s_cbranch_execnz .LBB13_120
.LBB13_118:
	s_load_dwordx4 s[0:3], s[4:5], 0x4
	s_waitcnt lgkmcnt(0)
	s_load_dword s3, s[4:5], 0xc4
	s_cmp_lt_u32 s33, 2
	v_mul_hi_u32 v1, s1, v16
	v_add_u32_e32 v1, v16, v1
	v_lshrrev_b32_e32 v1, s2, v1
	v_mul_lo_u32 v3, v1, s0
	v_sub_u32_e32 v3, v16, v3
	s_waitcnt lgkmcnt(0)
	v_mul_lo_u32 v14, v3, s3
	s_cbranch_scc1 .LBB13_120
; %bb.119:
	s_load_dwordx4 s[0:3], s[4:5], 0x10
	s_waitcnt lgkmcnt(0)
	s_load_dword s3, s[4:5], 0xc8
	v_mul_hi_u32 v3, s1, v1
	v_add_u32_e32 v3, v1, v3
	v_lshrrev_b32_e32 v3, s2, v3
	v_mul_lo_u32 v3, v3, s0
	v_sub_u32_e32 v1, v1, v3
	s_waitcnt lgkmcnt(0)
	v_mad_u64_u32 v[14:15], s[0:1], v1, s3, v[14:15]
.LBB13_120:
	s_load_dword s2, s[4:5], 0x110
	s_load_dwordx2 s[0:1], s[4:5], 0x108
	s_waitcnt lgkmcnt(0)
	v_mov_b32_e32 v1, s2
	s_nop 0
	global_store_byte v0, v1, s[0:1]
	global_store_byte v2, v1, s[0:1]
	;; [unrolled: 1-line block ×8, first 2 shown]
	s_endpgm
.LBB13_121:
	v_mov_b32_e32 v0, 0
	s_branch .LBB13_127
.LBB13_122:
	v_mov_b32_e32 v0, 0
	s_branch .LBB13_143
.LBB13_123:
	v_mov_b32_e32 v2, v12
.LBB13_124:
	s_and_b32 s12, s51, 3
	s_cmp_eq_u32 s12, 0
	s_cbranch_scc1 .LBB13_127
; %bb.125:
	s_lshl_b32 s8, s50, 2
	s_add_u32 s8, s8, s4
	s_addc_u32 s9, s5, 0
	s_add_u32 s8, s8, 0xc4
	s_addc_u32 s9, s9, 0
	s_mul_i32 s10, s50, 12
	s_add_u32 s10, s4, s10
	s_addc_u32 s11, s5, 0
.LBB13_126:                             ; =>This Inner Loop Header: Depth=1
	s_load_dwordx2 s[14:15], s[10:11], 0x4
	s_load_dword s13, s[10:11], 0xc
	s_load_dword s16, s[8:9], 0x0
	s_add_u32 s10, s10, 12
	s_addc_u32 s11, s11, 0
	s_waitcnt lgkmcnt(0)
	v_mul_hi_u32 v1, s15, v2
	v_add_u32_e32 v1, v2, v1
	v_lshrrev_b32_e32 v1, s13, v1
	s_add_u32 s8, s8, 4
	v_mul_lo_u32 v3, v1, s14
	s_addc_u32 s9, s9, 0
	s_add_i32 s12, s12, -1
	v_sub_u32_e32 v3, v2, v3
	s_cmp_lg_u32 s12, 0
	v_mov_b32_e32 v2, v1
	v_mad_u64_u32 v[0:1], s[14:15], v3, s16, v[0:1]
	s_cbranch_scc1 .LBB13_126
.LBB13_127:
	s_cbranch_execnz .LBB13_130
.LBB13_128:
	s_waitcnt lgkmcnt(0)
	v_mul_hi_u32 v0, s1, v12
	v_add_u32_e32 v0, v12, v0
	v_lshrrev_b32_e32 v1, s2, v0
	v_mul_lo_u32 v0, v1, s0
	v_sub_u32_e32 v0, v12, v0
	s_andn2_b64 vcc, exec, s[34:35]
	v_mul_lo_u32 v0, v0, s28
	s_cbranch_vccnz .LBB13_130
; %bb.129:
	v_mul_hi_u32 v2, s30, v1
	v_add_u32_e32 v2, v1, v2
	v_lshrrev_b32_e32 v2, s31, v2
	v_mul_lo_u32 v2, v2, s3
	v_sub_u32_e32 v1, v1, v2
	v_mad_u64_u32 v[0:1], s[8:9], v1, s29, v[0:1]
.LBB13_130:
	s_waitcnt lgkmcnt(0)
	v_mov_b32_e32 v1, s47
	v_add_u32_e32 v12, 0x80, v12
	global_store_byte v0, v1, s[26:27]
	s_or_b64 exec, exec, s[40:41]
	v_cmp_gt_i32_e32 vcc, s48, v12
	s_and_saveexec_b64 s[40:41], vcc
	s_cbranch_execnz .LBB13_15
.LBB13_131:
	s_or_b64 exec, exec, s[40:41]
	v_cmp_gt_i32_e32 vcc, s48, v12
	s_and_saveexec_b64 s[40:41], vcc
	s_cbranch_execz .LBB13_147
.LBB13_132:
	s_andn2_b64 vcc, exec, s[6:7]
	s_cbranch_vccnz .LBB13_137
; %bb.133:
	s_andn2_b64 vcc, exec, s[38:39]
	s_cbranch_vccnz .LBB13_138
; %bb.134:
	s_add_i32 s51, s49, 1
	s_mov_b32 s50, 0
	s_cmp_eq_u32 s46, 2
	v_mov_b32_e32 v0, 0
	s_cbranch_scc1 .LBB13_155
; %bb.135:
	s_and_b32 s50, s51, 28
	s_mov_b32 s52, 0
	v_mov_b32_e32 v0, 0
	s_mov_b64 s[42:43], s[4:5]
	s_mov_b64 s[44:45], s[36:37]
	v_mov_b32_e32 v2, v12
.LBB13_136:                             ; =>This Inner Loop Header: Depth=1
	s_load_dwordx8 s[8:15], s[42:43], 0x4
	s_load_dwordx4 s[16:19], s[42:43], 0x24
	s_load_dwordx4 s[20:23], s[44:45], 0x0
	s_add_u32 s42, s42, 48
	s_addc_u32 s43, s43, 0
	s_waitcnt lgkmcnt(0)
	v_mul_hi_u32 v1, s9, v2
	v_add_u32_e32 v1, v2, v1
	v_lshrrev_b32_e32 v1, s10, v1
	v_mul_lo_u32 v3, v1, s8
	v_mul_hi_u32 v4, s12, v1
	v_sub_u32_e32 v2, v2, v3
	v_add_u32_e32 v3, v1, v4
	v_lshrrev_b32_e32 v3, s13, v3
	v_mul_lo_u32 v4, v3, s11
	v_mul_hi_u32 v5, s15, v3
	v_sub_u32_e32 v1, v1, v4
	v_add_u32_e32 v4, v3, v5
	v_mul_lo_u32 v2, v2, s20
	v_mul_lo_u32 v1, v1, s21
	v_lshrrev_b32_e32 v4, s16, v4
	v_add3_u32 v0, v2, v0, v1
	v_mul_hi_u32 v2, s18, v4
	v_add_u32_e32 v2, v4, v2
	v_mul_lo_u32 v1, v4, s14
	v_lshrrev_b32_e32 v2, s19, v2
	s_add_i32 s52, s52, 4
	v_sub_u32_e32 v1, v3, v1
	v_mul_lo_u32 v3, v2, s17
	s_add_u32 s44, s44, 16
	v_sub_u32_e32 v3, v4, v3
	s_addc_u32 s45, s45, 0
	v_mul_lo_u32 v1, v1, s22
	v_mul_lo_u32 v3, v3, s23
	s_cmp_eq_u32 s50, s52
	v_add3_u32 v0, v1, v0, v3
	s_cbranch_scc0 .LBB13_136
	s_branch .LBB13_156
.LBB13_137:
                                        ; implicit-def: $vgpr0
	s_branch .LBB13_160
.LBB13_138:
	v_mov_b32_e32 v0, 0
	s_branch .LBB13_159
.LBB13_139:
	v_mov_b32_e32 v2, v12
.LBB13_140:
	s_and_b32 s12, s51, 3
	s_cmp_eq_u32 s12, 0
	s_cbranch_scc1 .LBB13_143
; %bb.141:
	s_lshl_b32 s8, s50, 2
	s_add_u32 s8, s8, s4
	s_addc_u32 s9, s5, 0
	s_add_u32 s8, s8, 0xc4
	s_addc_u32 s9, s9, 0
	s_mul_i32 s10, s50, 12
	s_add_u32 s10, s4, s10
	s_addc_u32 s11, s5, 0
.LBB13_142:                             ; =>This Inner Loop Header: Depth=1
	s_load_dwordx2 s[14:15], s[10:11], 0x4
	s_load_dword s13, s[10:11], 0xc
	s_load_dword s16, s[8:9], 0x0
	s_add_u32 s10, s10, 12
	s_addc_u32 s11, s11, 0
	s_waitcnt lgkmcnt(0)
	v_mul_hi_u32 v1, s15, v2
	v_add_u32_e32 v1, v2, v1
	v_lshrrev_b32_e32 v1, s13, v1
	s_add_u32 s8, s8, 4
	v_mul_lo_u32 v3, v1, s14
	s_addc_u32 s9, s9, 0
	s_add_i32 s12, s12, -1
	v_sub_u32_e32 v3, v2, v3
	s_cmp_lg_u32 s12, 0
	v_mov_b32_e32 v2, v1
	v_mad_u64_u32 v[0:1], s[14:15], v3, s16, v[0:1]
	s_cbranch_scc1 .LBB13_142
.LBB13_143:
	s_cbranch_execnz .LBB13_146
.LBB13_144:
	s_waitcnt lgkmcnt(0)
	v_mul_hi_u32 v0, s1, v12
	v_add_u32_e32 v0, v12, v0
	v_lshrrev_b32_e32 v1, s2, v0
	v_mul_lo_u32 v0, v1, s0
	v_sub_u32_e32 v0, v12, v0
	s_andn2_b64 vcc, exec, s[34:35]
	v_mul_lo_u32 v0, v0, s28
	s_cbranch_vccnz .LBB13_146
; %bb.145:
	v_mul_hi_u32 v2, s30, v1
	v_add_u32_e32 v2, v1, v2
	v_lshrrev_b32_e32 v2, s31, v2
	v_mul_lo_u32 v2, v2, s3
	v_sub_u32_e32 v1, v1, v2
	v_mad_u64_u32 v[0:1], s[8:9], v1, s29, v[0:1]
.LBB13_146:
	s_waitcnt lgkmcnt(0)
	v_mov_b32_e32 v1, s47
	v_add_u32_e32 v12, 0x80, v12
	global_store_byte v0, v1, s[26:27]
	s_or_b64 exec, exec, s[40:41]
	v_cmp_gt_i32_e32 vcc, s48, v12
	s_and_saveexec_b64 s[40:41], vcc
	s_cbranch_execnz .LBB13_132
.LBB13_147:
	s_or_b64 exec, exec, s[40:41]
	v_cmp_gt_i32_e32 vcc, s48, v12
	s_and_saveexec_b64 s[40:41], vcc
	s_cbranch_execz .LBB13_163
.LBB13_148:
	s_andn2_b64 vcc, exec, s[6:7]
	s_cbranch_vccnz .LBB13_153
; %bb.149:
	s_andn2_b64 vcc, exec, s[38:39]
	s_cbranch_vccnz .LBB13_154
; %bb.150:
	s_add_i32 s51, s49, 1
	s_mov_b32 s50, 0
	s_cmp_eq_u32 s46, 2
	v_mov_b32_e32 v0, 0
	s_cbranch_scc1 .LBB13_171
; %bb.151:
	s_and_b32 s50, s51, 28
	s_mov_b32 s52, 0
	v_mov_b32_e32 v0, 0
	s_mov_b64 s[42:43], s[4:5]
	s_mov_b64 s[44:45], s[36:37]
	v_mov_b32_e32 v2, v12
.LBB13_152:                             ; =>This Inner Loop Header: Depth=1
	s_load_dwordx8 s[8:15], s[42:43], 0x4
	s_load_dwordx4 s[16:19], s[42:43], 0x24
	s_load_dwordx4 s[20:23], s[44:45], 0x0
	s_add_u32 s42, s42, 48
	s_addc_u32 s43, s43, 0
	s_waitcnt lgkmcnt(0)
	v_mul_hi_u32 v1, s9, v2
	v_add_u32_e32 v1, v2, v1
	v_lshrrev_b32_e32 v1, s10, v1
	v_mul_lo_u32 v3, v1, s8
	v_mul_hi_u32 v4, s12, v1
	v_sub_u32_e32 v2, v2, v3
	v_add_u32_e32 v3, v1, v4
	v_lshrrev_b32_e32 v3, s13, v3
	v_mul_lo_u32 v4, v3, s11
	v_mul_hi_u32 v5, s15, v3
	v_sub_u32_e32 v1, v1, v4
	v_add_u32_e32 v4, v3, v5
	v_mul_lo_u32 v2, v2, s20
	v_mul_lo_u32 v1, v1, s21
	v_lshrrev_b32_e32 v4, s16, v4
	v_add3_u32 v0, v2, v0, v1
	v_mul_hi_u32 v2, s18, v4
	v_add_u32_e32 v2, v4, v2
	v_mul_lo_u32 v1, v4, s14
	v_lshrrev_b32_e32 v2, s19, v2
	s_add_i32 s52, s52, 4
	v_sub_u32_e32 v1, v3, v1
	v_mul_lo_u32 v3, v2, s17
	s_add_u32 s44, s44, 16
	v_sub_u32_e32 v3, v4, v3
	s_addc_u32 s45, s45, 0
	v_mul_lo_u32 v1, v1, s22
	v_mul_lo_u32 v3, v3, s23
	s_cmp_eq_u32 s50, s52
	v_add3_u32 v0, v1, v0, v3
	s_cbranch_scc0 .LBB13_152
	s_branch .LBB13_172
.LBB13_153:
                                        ; implicit-def: $vgpr0
	s_branch .LBB13_176
.LBB13_154:
	v_mov_b32_e32 v0, 0
	s_branch .LBB13_175
.LBB13_155:
	v_mov_b32_e32 v2, v12
.LBB13_156:
	s_and_b32 s12, s51, 3
	s_cmp_eq_u32 s12, 0
	s_cbranch_scc1 .LBB13_159
; %bb.157:
	s_lshl_b32 s8, s50, 2
	s_add_u32 s8, s8, s4
	s_addc_u32 s9, s5, 0
	s_add_u32 s8, s8, 0xc4
	s_addc_u32 s9, s9, 0
	s_mul_i32 s10, s50, 12
	s_add_u32 s10, s4, s10
	s_addc_u32 s11, s5, 0
.LBB13_158:                             ; =>This Inner Loop Header: Depth=1
	s_load_dwordx2 s[14:15], s[10:11], 0x4
	s_load_dword s13, s[10:11], 0xc
	s_load_dword s16, s[8:9], 0x0
	s_add_u32 s10, s10, 12
	s_addc_u32 s11, s11, 0
	s_waitcnt lgkmcnt(0)
	v_mul_hi_u32 v1, s15, v2
	v_add_u32_e32 v1, v2, v1
	v_lshrrev_b32_e32 v1, s13, v1
	s_add_u32 s8, s8, 4
	v_mul_lo_u32 v3, v1, s14
	s_addc_u32 s9, s9, 0
	s_add_i32 s12, s12, -1
	v_sub_u32_e32 v3, v2, v3
	s_cmp_lg_u32 s12, 0
	v_mov_b32_e32 v2, v1
	v_mad_u64_u32 v[0:1], s[14:15], v3, s16, v[0:1]
	s_cbranch_scc1 .LBB13_158
.LBB13_159:
	s_cbranch_execnz .LBB13_162
.LBB13_160:
	s_waitcnt lgkmcnt(0)
	v_mul_hi_u32 v0, s1, v12
	v_add_u32_e32 v0, v12, v0
	v_lshrrev_b32_e32 v1, s2, v0
	v_mul_lo_u32 v0, v1, s0
	v_sub_u32_e32 v0, v12, v0
	s_andn2_b64 vcc, exec, s[34:35]
	v_mul_lo_u32 v0, v0, s28
	s_cbranch_vccnz .LBB13_162
; %bb.161:
	v_mul_hi_u32 v2, s30, v1
	v_add_u32_e32 v2, v1, v2
	v_lshrrev_b32_e32 v2, s31, v2
	v_mul_lo_u32 v2, v2, s3
	v_sub_u32_e32 v1, v1, v2
	v_mad_u64_u32 v[0:1], s[8:9], v1, s29, v[0:1]
.LBB13_162:
	s_waitcnt lgkmcnt(0)
	v_mov_b32_e32 v1, s47
	v_add_u32_e32 v12, 0x80, v12
	global_store_byte v0, v1, s[26:27]
	s_or_b64 exec, exec, s[40:41]
	v_cmp_gt_i32_e32 vcc, s48, v12
	s_and_saveexec_b64 s[40:41], vcc
	s_cbranch_execnz .LBB13_148
.LBB13_163:
	s_or_b64 exec, exec, s[40:41]
	v_cmp_gt_i32_e32 vcc, s48, v12
	s_and_saveexec_b64 s[40:41], vcc
	s_cbranch_execz .LBB13_179
.LBB13_164:
	s_andn2_b64 vcc, exec, s[6:7]
	s_cbranch_vccnz .LBB13_169
; %bb.165:
	s_andn2_b64 vcc, exec, s[38:39]
	s_cbranch_vccnz .LBB13_170
; %bb.166:
	s_add_i32 s51, s49, 1
	s_mov_b32 s50, 0
	s_cmp_eq_u32 s46, 2
	v_mov_b32_e32 v0, 0
	s_cbranch_scc1 .LBB13_187
; %bb.167:
	s_and_b32 s50, s51, 28
	s_mov_b32 s52, 0
	v_mov_b32_e32 v0, 0
	s_mov_b64 s[42:43], s[4:5]
	s_mov_b64 s[44:45], s[36:37]
	v_mov_b32_e32 v2, v12
.LBB13_168:                             ; =>This Inner Loop Header: Depth=1
	s_load_dwordx8 s[8:15], s[42:43], 0x4
	s_load_dwordx4 s[16:19], s[42:43], 0x24
	s_load_dwordx4 s[20:23], s[44:45], 0x0
	s_add_u32 s42, s42, 48
	s_addc_u32 s43, s43, 0
	s_waitcnt lgkmcnt(0)
	v_mul_hi_u32 v1, s9, v2
	v_add_u32_e32 v1, v2, v1
	v_lshrrev_b32_e32 v1, s10, v1
	v_mul_lo_u32 v3, v1, s8
	v_mul_hi_u32 v4, s12, v1
	v_sub_u32_e32 v2, v2, v3
	v_add_u32_e32 v3, v1, v4
	v_lshrrev_b32_e32 v3, s13, v3
	v_mul_lo_u32 v4, v3, s11
	v_mul_hi_u32 v5, s15, v3
	v_sub_u32_e32 v1, v1, v4
	v_add_u32_e32 v4, v3, v5
	v_mul_lo_u32 v2, v2, s20
	v_mul_lo_u32 v1, v1, s21
	v_lshrrev_b32_e32 v4, s16, v4
	v_add3_u32 v0, v2, v0, v1
	v_mul_hi_u32 v2, s18, v4
	v_add_u32_e32 v2, v4, v2
	v_mul_lo_u32 v1, v4, s14
	v_lshrrev_b32_e32 v2, s19, v2
	s_add_i32 s52, s52, 4
	v_sub_u32_e32 v1, v3, v1
	v_mul_lo_u32 v3, v2, s17
	s_add_u32 s44, s44, 16
	v_sub_u32_e32 v3, v4, v3
	s_addc_u32 s45, s45, 0
	v_mul_lo_u32 v1, v1, s22
	v_mul_lo_u32 v3, v3, s23
	s_cmp_eq_u32 s50, s52
	v_add3_u32 v0, v1, v0, v3
	s_cbranch_scc0 .LBB13_168
	s_branch .LBB13_188
.LBB13_169:
                                        ; implicit-def: $vgpr0
	s_branch .LBB13_192
.LBB13_170:
	v_mov_b32_e32 v0, 0
	s_branch .LBB13_191
.LBB13_171:
	v_mov_b32_e32 v2, v12
.LBB13_172:
	s_and_b32 s12, s51, 3
	s_cmp_eq_u32 s12, 0
	s_cbranch_scc1 .LBB13_175
; %bb.173:
	s_lshl_b32 s8, s50, 2
	s_add_u32 s8, s8, s4
	s_addc_u32 s9, s5, 0
	s_add_u32 s8, s8, 0xc4
	s_addc_u32 s9, s9, 0
	s_mul_i32 s10, s50, 12
	s_add_u32 s10, s4, s10
	s_addc_u32 s11, s5, 0
.LBB13_174:                             ; =>This Inner Loop Header: Depth=1
	s_load_dwordx2 s[14:15], s[10:11], 0x4
	s_load_dword s13, s[10:11], 0xc
	s_load_dword s16, s[8:9], 0x0
	s_add_u32 s10, s10, 12
	s_addc_u32 s11, s11, 0
	s_waitcnt lgkmcnt(0)
	v_mul_hi_u32 v1, s15, v2
	v_add_u32_e32 v1, v2, v1
	v_lshrrev_b32_e32 v1, s13, v1
	s_add_u32 s8, s8, 4
	v_mul_lo_u32 v3, v1, s14
	s_addc_u32 s9, s9, 0
	s_add_i32 s12, s12, -1
	v_sub_u32_e32 v3, v2, v3
	s_cmp_lg_u32 s12, 0
	v_mov_b32_e32 v2, v1
	v_mad_u64_u32 v[0:1], s[14:15], v3, s16, v[0:1]
	s_cbranch_scc1 .LBB13_174
.LBB13_175:
	s_cbranch_execnz .LBB13_178
.LBB13_176:
	s_waitcnt lgkmcnt(0)
	v_mul_hi_u32 v0, s1, v12
	v_add_u32_e32 v0, v12, v0
	v_lshrrev_b32_e32 v1, s2, v0
	v_mul_lo_u32 v0, v1, s0
	v_sub_u32_e32 v0, v12, v0
	s_andn2_b64 vcc, exec, s[34:35]
	v_mul_lo_u32 v0, v0, s28
	s_cbranch_vccnz .LBB13_178
; %bb.177:
	v_mul_hi_u32 v2, s30, v1
	v_add_u32_e32 v2, v1, v2
	v_lshrrev_b32_e32 v2, s31, v2
	v_mul_lo_u32 v2, v2, s3
	v_sub_u32_e32 v1, v1, v2
	v_mad_u64_u32 v[0:1], s[8:9], v1, s29, v[0:1]
.LBB13_178:
	s_waitcnt lgkmcnt(0)
	v_mov_b32_e32 v1, s47
	v_add_u32_e32 v12, 0x80, v12
	global_store_byte v0, v1, s[26:27]
	s_or_b64 exec, exec, s[40:41]
	v_cmp_gt_i32_e32 vcc, s48, v12
	s_and_saveexec_b64 s[40:41], vcc
	s_cbranch_execnz .LBB13_164
.LBB13_179:
	s_or_b64 exec, exec, s[40:41]
	v_cmp_gt_i32_e32 vcc, s48, v12
	s_and_saveexec_b64 s[40:41], vcc
	s_cbranch_execz .LBB13_195
.LBB13_180:
	s_andn2_b64 vcc, exec, s[6:7]
	s_cbranch_vccnz .LBB13_185
; %bb.181:
	s_andn2_b64 vcc, exec, s[38:39]
	s_cbranch_vccnz .LBB13_186
; %bb.182:
	s_add_i32 s51, s49, 1
	s_mov_b32 s50, 0
	s_cmp_eq_u32 s46, 2
	v_mov_b32_e32 v0, 0
	s_cbranch_scc1 .LBB13_203
; %bb.183:
	s_and_b32 s50, s51, 28
	s_mov_b32 s52, 0
	v_mov_b32_e32 v0, 0
	s_mov_b64 s[42:43], s[4:5]
	s_mov_b64 s[44:45], s[36:37]
	v_mov_b32_e32 v2, v12
.LBB13_184:                             ; =>This Inner Loop Header: Depth=1
	s_load_dwordx8 s[8:15], s[42:43], 0x4
	s_load_dwordx4 s[16:19], s[42:43], 0x24
	s_load_dwordx4 s[20:23], s[44:45], 0x0
	s_add_u32 s42, s42, 48
	s_addc_u32 s43, s43, 0
	s_waitcnt lgkmcnt(0)
	v_mul_hi_u32 v1, s9, v2
	v_add_u32_e32 v1, v2, v1
	v_lshrrev_b32_e32 v1, s10, v1
	v_mul_lo_u32 v3, v1, s8
	v_mul_hi_u32 v4, s12, v1
	v_sub_u32_e32 v2, v2, v3
	v_add_u32_e32 v3, v1, v4
	v_lshrrev_b32_e32 v3, s13, v3
	v_mul_lo_u32 v4, v3, s11
	v_mul_hi_u32 v5, s15, v3
	v_sub_u32_e32 v1, v1, v4
	v_add_u32_e32 v4, v3, v5
	v_mul_lo_u32 v2, v2, s20
	v_mul_lo_u32 v1, v1, s21
	v_lshrrev_b32_e32 v4, s16, v4
	v_add3_u32 v0, v2, v0, v1
	v_mul_hi_u32 v2, s18, v4
	v_add_u32_e32 v2, v4, v2
	v_mul_lo_u32 v1, v4, s14
	v_lshrrev_b32_e32 v2, s19, v2
	s_add_i32 s52, s52, 4
	v_sub_u32_e32 v1, v3, v1
	v_mul_lo_u32 v3, v2, s17
	s_add_u32 s44, s44, 16
	v_sub_u32_e32 v3, v4, v3
	s_addc_u32 s45, s45, 0
	v_mul_lo_u32 v1, v1, s22
	v_mul_lo_u32 v3, v3, s23
	s_cmp_eq_u32 s50, s52
	v_add3_u32 v0, v1, v0, v3
	s_cbranch_scc0 .LBB13_184
	s_branch .LBB13_204
.LBB13_185:
                                        ; implicit-def: $vgpr0
	s_branch .LBB13_208
.LBB13_186:
	v_mov_b32_e32 v0, 0
	s_branch .LBB13_207
.LBB13_187:
	v_mov_b32_e32 v2, v12
.LBB13_188:
	s_and_b32 s12, s51, 3
	s_cmp_eq_u32 s12, 0
	s_cbranch_scc1 .LBB13_191
; %bb.189:
	s_lshl_b32 s8, s50, 2
	s_add_u32 s8, s8, s4
	s_addc_u32 s9, s5, 0
	s_add_u32 s8, s8, 0xc4
	s_addc_u32 s9, s9, 0
	s_mul_i32 s10, s50, 12
	s_add_u32 s10, s4, s10
	s_addc_u32 s11, s5, 0
.LBB13_190:                             ; =>This Inner Loop Header: Depth=1
	s_load_dwordx2 s[14:15], s[10:11], 0x4
	s_load_dword s13, s[10:11], 0xc
	s_load_dword s16, s[8:9], 0x0
	s_add_u32 s10, s10, 12
	s_addc_u32 s11, s11, 0
	s_waitcnt lgkmcnt(0)
	v_mul_hi_u32 v1, s15, v2
	v_add_u32_e32 v1, v2, v1
	v_lshrrev_b32_e32 v1, s13, v1
	s_add_u32 s8, s8, 4
	v_mul_lo_u32 v3, v1, s14
	s_addc_u32 s9, s9, 0
	s_add_i32 s12, s12, -1
	v_sub_u32_e32 v3, v2, v3
	s_cmp_lg_u32 s12, 0
	v_mov_b32_e32 v2, v1
	v_mad_u64_u32 v[0:1], s[14:15], v3, s16, v[0:1]
	s_cbranch_scc1 .LBB13_190
.LBB13_191:
	s_cbranch_execnz .LBB13_194
.LBB13_192:
	s_waitcnt lgkmcnt(0)
	v_mul_hi_u32 v0, s1, v12
	v_add_u32_e32 v0, v12, v0
	v_lshrrev_b32_e32 v1, s2, v0
	v_mul_lo_u32 v0, v1, s0
	v_sub_u32_e32 v0, v12, v0
	s_andn2_b64 vcc, exec, s[34:35]
	v_mul_lo_u32 v0, v0, s28
	s_cbranch_vccnz .LBB13_194
; %bb.193:
	v_mul_hi_u32 v2, s30, v1
	v_add_u32_e32 v2, v1, v2
	v_lshrrev_b32_e32 v2, s31, v2
	v_mul_lo_u32 v2, v2, s3
	v_sub_u32_e32 v1, v1, v2
	v_mad_u64_u32 v[0:1], s[8:9], v1, s29, v[0:1]
.LBB13_194:
	s_waitcnt lgkmcnt(0)
	v_mov_b32_e32 v1, s47
	v_add_u32_e32 v12, 0x80, v12
	global_store_byte v0, v1, s[26:27]
	s_or_b64 exec, exec, s[40:41]
	v_cmp_gt_i32_e32 vcc, s48, v12
	s_and_saveexec_b64 s[40:41], vcc
	s_cbranch_execnz .LBB13_180
.LBB13_195:
	s_or_b64 exec, exec, s[40:41]
	v_cmp_gt_i32_e32 vcc, s48, v12
	s_and_saveexec_b64 s[40:41], vcc
	s_cbranch_execz .LBB13_211
.LBB13_196:
	s_andn2_b64 vcc, exec, s[6:7]
	s_cbranch_vccnz .LBB13_201
; %bb.197:
	s_andn2_b64 vcc, exec, s[38:39]
	s_cbranch_vccnz .LBB13_202
; %bb.198:
	s_add_i32 s51, s49, 1
	s_mov_b32 s50, 0
	s_cmp_eq_u32 s46, 2
	v_mov_b32_e32 v0, 0
	s_cbranch_scc1 .LBB13_214
; %bb.199:
	s_and_b32 s50, s51, 28
	s_mov_b32 s52, 0
	v_mov_b32_e32 v0, 0
	s_mov_b64 s[42:43], s[4:5]
	s_mov_b64 s[44:45], s[36:37]
	v_mov_b32_e32 v2, v12
.LBB13_200:                             ; =>This Inner Loop Header: Depth=1
	s_load_dwordx8 s[8:15], s[42:43], 0x4
	s_load_dwordx4 s[16:19], s[42:43], 0x24
	s_load_dwordx4 s[20:23], s[44:45], 0x0
	s_add_u32 s42, s42, 48
	s_addc_u32 s43, s43, 0
	s_waitcnt lgkmcnt(0)
	v_mul_hi_u32 v1, s9, v2
	v_add_u32_e32 v1, v2, v1
	v_lshrrev_b32_e32 v1, s10, v1
	v_mul_lo_u32 v3, v1, s8
	v_mul_hi_u32 v4, s12, v1
	v_sub_u32_e32 v2, v2, v3
	v_add_u32_e32 v3, v1, v4
	v_lshrrev_b32_e32 v3, s13, v3
	v_mul_lo_u32 v4, v3, s11
	v_mul_hi_u32 v5, s15, v3
	v_sub_u32_e32 v1, v1, v4
	v_add_u32_e32 v4, v3, v5
	v_mul_lo_u32 v2, v2, s20
	v_mul_lo_u32 v1, v1, s21
	v_lshrrev_b32_e32 v4, s16, v4
	v_add3_u32 v0, v2, v0, v1
	v_mul_hi_u32 v2, s18, v4
	v_add_u32_e32 v2, v4, v2
	v_mul_lo_u32 v1, v4, s14
	v_lshrrev_b32_e32 v2, s19, v2
	s_add_i32 s52, s52, 4
	v_sub_u32_e32 v1, v3, v1
	v_mul_lo_u32 v3, v2, s17
	s_add_u32 s44, s44, 16
	v_sub_u32_e32 v3, v4, v3
	s_addc_u32 s45, s45, 0
	v_mul_lo_u32 v1, v1, s22
	v_mul_lo_u32 v3, v3, s23
	s_cmp_eq_u32 s50, s52
	v_add3_u32 v0, v1, v0, v3
	s_cbranch_scc0 .LBB13_200
	s_branch .LBB13_215
.LBB13_201:
                                        ; implicit-def: $vgpr0
	s_branch .LBB13_219
.LBB13_202:
	v_mov_b32_e32 v0, 0
	s_branch .LBB13_218
.LBB13_203:
	v_mov_b32_e32 v2, v12
.LBB13_204:
	s_and_b32 s12, s51, 3
	s_cmp_eq_u32 s12, 0
	s_cbranch_scc1 .LBB13_207
; %bb.205:
	s_lshl_b32 s8, s50, 2
	s_add_u32 s8, s8, s4
	s_addc_u32 s9, s5, 0
	s_add_u32 s8, s8, 0xc4
	s_addc_u32 s9, s9, 0
	s_mul_i32 s10, s50, 12
	s_add_u32 s10, s4, s10
	s_addc_u32 s11, s5, 0
.LBB13_206:                             ; =>This Inner Loop Header: Depth=1
	s_load_dwordx2 s[14:15], s[10:11], 0x4
	s_load_dword s13, s[10:11], 0xc
	s_load_dword s16, s[8:9], 0x0
	s_add_u32 s10, s10, 12
	s_addc_u32 s11, s11, 0
	s_waitcnt lgkmcnt(0)
	v_mul_hi_u32 v1, s15, v2
	v_add_u32_e32 v1, v2, v1
	v_lshrrev_b32_e32 v1, s13, v1
	s_add_u32 s8, s8, 4
	v_mul_lo_u32 v3, v1, s14
	s_addc_u32 s9, s9, 0
	s_add_i32 s12, s12, -1
	v_sub_u32_e32 v3, v2, v3
	s_cmp_lg_u32 s12, 0
	v_mov_b32_e32 v2, v1
	v_mad_u64_u32 v[0:1], s[14:15], v3, s16, v[0:1]
	s_cbranch_scc1 .LBB13_206
.LBB13_207:
	s_cbranch_execnz .LBB13_210
.LBB13_208:
	s_waitcnt lgkmcnt(0)
	v_mul_hi_u32 v0, s1, v12
	v_add_u32_e32 v0, v12, v0
	v_lshrrev_b32_e32 v1, s2, v0
	v_mul_lo_u32 v0, v1, s0
	v_sub_u32_e32 v0, v12, v0
	s_andn2_b64 vcc, exec, s[34:35]
	v_mul_lo_u32 v0, v0, s28
	s_cbranch_vccnz .LBB13_210
; %bb.209:
	v_mul_hi_u32 v2, s30, v1
	v_add_u32_e32 v2, v1, v2
	v_lshrrev_b32_e32 v2, s31, v2
	v_mul_lo_u32 v2, v2, s3
	v_sub_u32_e32 v1, v1, v2
	v_mad_u64_u32 v[0:1], s[8:9], v1, s29, v[0:1]
.LBB13_210:
	s_waitcnt lgkmcnt(0)
	v_mov_b32_e32 v1, s47
	v_add_u32_e32 v12, 0x80, v12
	global_store_byte v0, v1, s[26:27]
	s_or_b64 exec, exec, s[40:41]
	v_cmp_gt_i32_e32 vcc, s48, v12
	s_and_saveexec_b64 s[40:41], vcc
	s_cbranch_execnz .LBB13_196
.LBB13_211:
	s_or_b64 exec, exec, s[40:41]
	v_cmp_gt_i32_e32 vcc, s48, v12
	s_and_saveexec_b64 s[40:41], vcc
	s_cbranch_execnz .LBB13_222
.LBB13_212:
	s_or_b64 exec, exec, s[40:41]
                                        ; implicit-def: $vgpr16
                                        ; implicit-def: $vgpr12
	s_waitcnt lgkmcnt(0)
	s_andn2_saveexec_b64 s[0:1], s[24:25]
	s_cbranch_execnz .LBB13_8
.LBB13_213:
	s_endpgm
.LBB13_214:
	v_mov_b32_e32 v2, v12
.LBB13_215:
	s_and_b32 s12, s51, 3
	s_cmp_eq_u32 s12, 0
	s_cbranch_scc1 .LBB13_218
; %bb.216:
	s_lshl_b32 s8, s50, 2
	s_add_u32 s8, s8, s4
	s_addc_u32 s9, s5, 0
	s_add_u32 s8, s8, 0xc4
	s_addc_u32 s9, s9, 0
	s_mul_i32 s10, s50, 12
	s_add_u32 s10, s4, s10
	s_addc_u32 s11, s5, 0
.LBB13_217:                             ; =>This Inner Loop Header: Depth=1
	s_load_dwordx2 s[14:15], s[10:11], 0x4
	s_load_dword s13, s[10:11], 0xc
	s_load_dword s16, s[8:9], 0x0
	s_add_u32 s10, s10, 12
	s_addc_u32 s11, s11, 0
	s_waitcnt lgkmcnt(0)
	v_mul_hi_u32 v1, s15, v2
	v_add_u32_e32 v1, v2, v1
	v_lshrrev_b32_e32 v1, s13, v1
	s_add_u32 s8, s8, 4
	v_mul_lo_u32 v3, v1, s14
	s_addc_u32 s9, s9, 0
	s_add_i32 s12, s12, -1
	v_sub_u32_e32 v3, v2, v3
	s_cmp_lg_u32 s12, 0
	v_mov_b32_e32 v2, v1
	v_mad_u64_u32 v[0:1], s[14:15], v3, s16, v[0:1]
	s_cbranch_scc1 .LBB13_217
.LBB13_218:
	s_cbranch_execnz .LBB13_221
.LBB13_219:
	s_waitcnt lgkmcnt(0)
	v_mul_hi_u32 v0, s1, v12
	v_add_u32_e32 v0, v12, v0
	v_lshrrev_b32_e32 v1, s2, v0
	v_mul_lo_u32 v0, v1, s0
	v_sub_u32_e32 v0, v12, v0
	s_andn2_b64 vcc, exec, s[34:35]
	v_mul_lo_u32 v0, v0, s28
	s_cbranch_vccnz .LBB13_221
; %bb.220:
	v_mul_hi_u32 v2, s30, v1
	v_add_u32_e32 v2, v1, v2
	v_lshrrev_b32_e32 v2, s31, v2
	v_mul_lo_u32 v2, v2, s3
	v_sub_u32_e32 v1, v1, v2
	v_mad_u64_u32 v[0:1], s[8:9], v1, s29, v[0:1]
.LBB13_221:
	s_waitcnt lgkmcnt(0)
	v_mov_b32_e32 v1, s47
	v_add_u32_e32 v12, 0x80, v12
	global_store_byte v0, v1, s[26:27]
	s_or_b64 exec, exec, s[40:41]
	v_cmp_gt_i32_e32 vcc, s48, v12
	s_and_saveexec_b64 s[40:41], vcc
	s_cbranch_execz .LBB13_212
.LBB13_222:
	s_andn2_b64 vcc, exec, s[6:7]
	s_cbranch_vccnz .LBB13_227
; %bb.223:
	s_andn2_b64 vcc, exec, s[38:39]
	s_cbranch_vccnz .LBB13_228
; %bb.224:
	s_add_i32 s49, s49, 1
	s_mov_b32 s42, 0
	s_cmp_eq_u32 s46, 2
	v_mov_b32_e32 v0, 0
	s_cbranch_scc1 .LBB13_229
; %bb.225:
	s_and_b32 s42, s49, 28
	s_mov_b32 s43, 0
	v_mov_b32_e32 v0, 0
	s_mov_b64 s[38:39], s[4:5]
	v_mov_b32_e32 v2, v12
.LBB13_226:                             ; =>This Inner Loop Header: Depth=1
	s_load_dwordx8 s[8:15], s[38:39], 0x4
	s_load_dwordx4 s[16:19], s[38:39], 0x24
	s_load_dwordx4 s[20:23], s[36:37], 0x0
	s_add_u32 s38, s38, 48
	s_addc_u32 s39, s39, 0
	s_waitcnt lgkmcnt(0)
	v_mul_hi_u32 v1, s9, v2
	v_add_u32_e32 v1, v2, v1
	v_lshrrev_b32_e32 v1, s10, v1
	v_mul_lo_u32 v3, v1, s8
	v_mul_hi_u32 v4, s12, v1
	v_sub_u32_e32 v2, v2, v3
	v_add_u32_e32 v3, v1, v4
	v_lshrrev_b32_e32 v3, s13, v3
	v_mul_lo_u32 v4, v3, s11
	v_mul_hi_u32 v5, s15, v3
	v_sub_u32_e32 v1, v1, v4
	v_add_u32_e32 v4, v3, v5
	v_mul_lo_u32 v2, v2, s20
	v_mul_lo_u32 v1, v1, s21
	v_lshrrev_b32_e32 v4, s16, v4
	v_add3_u32 v0, v2, v0, v1
	v_mul_hi_u32 v2, s18, v4
	v_add_u32_e32 v2, v4, v2
	v_mul_lo_u32 v1, v4, s14
	v_lshrrev_b32_e32 v2, s19, v2
	s_add_i32 s43, s43, 4
	v_sub_u32_e32 v1, v3, v1
	v_mul_lo_u32 v3, v2, s17
	s_add_u32 s36, s36, 16
	v_sub_u32_e32 v3, v4, v3
	s_addc_u32 s37, s37, 0
	v_mul_lo_u32 v1, v1, s22
	v_mul_lo_u32 v3, v3, s23
	s_cmp_eq_u32 s42, s43
	v_add3_u32 v0, v1, v0, v3
	s_cbranch_scc0 .LBB13_226
	s_branch .LBB13_230
.LBB13_227:
                                        ; implicit-def: $vgpr0
	s_branch .LBB13_234
.LBB13_228:
	v_mov_b32_e32 v0, 0
	s_branch .LBB13_233
.LBB13_229:
	v_mov_b32_e32 v2, v12
.LBB13_230:
	s_and_b32 s12, s49, 3
	s_cmp_eq_u32 s12, 0
	s_cbranch_scc1 .LBB13_233
; %bb.231:
	s_lshl_b32 s8, s42, 2
	s_add_u32 s8, s8, s4
	s_addc_u32 s9, s5, 0
	s_add_u32 s8, s8, 0xc4
	s_addc_u32 s9, s9, 0
	s_mul_i32 s10, s42, 12
	s_add_u32 s10, s4, s10
	s_addc_u32 s11, s5, 0
.LBB13_232:                             ; =>This Inner Loop Header: Depth=1
	s_load_dwordx2 s[14:15], s[10:11], 0x4
	s_load_dword s13, s[10:11], 0xc
	s_load_dword s16, s[8:9], 0x0
	s_add_u32 s10, s10, 12
	s_addc_u32 s11, s11, 0
	s_waitcnt lgkmcnt(0)
	v_mul_hi_u32 v1, s15, v2
	v_add_u32_e32 v1, v2, v1
	v_lshrrev_b32_e32 v1, s13, v1
	s_add_u32 s8, s8, 4
	v_mul_lo_u32 v3, v1, s14
	s_addc_u32 s9, s9, 0
	s_add_i32 s12, s12, -1
	v_sub_u32_e32 v3, v2, v3
	s_cmp_lg_u32 s12, 0
	v_mov_b32_e32 v2, v1
	v_mad_u64_u32 v[0:1], s[14:15], v3, s16, v[0:1]
	s_cbranch_scc1 .LBB13_232
.LBB13_233:
	s_cbranch_execnz .LBB13_236
.LBB13_234:
	s_waitcnt lgkmcnt(0)
	v_mul_hi_u32 v0, s1, v12
	v_add_u32_e32 v0, v12, v0
	v_lshrrev_b32_e32 v1, s2, v0
	v_mul_lo_u32 v0, v1, s0
	v_sub_u32_e32 v0, v12, v0
	s_andn2_b64 vcc, exec, s[34:35]
	v_mul_lo_u32 v0, v0, s28
	s_cbranch_vccnz .LBB13_236
; %bb.235:
	v_mul_hi_u32 v2, s30, v1
	v_add_u32_e32 v2, v1, v2
	v_lshrrev_b32_e32 v2, s31, v2
	v_mul_lo_u32 v2, v2, s3
	v_sub_u32_e32 v1, v1, v2
	v_mad_u64_u32 v[0:1], s[0:1], v1, s29, v[0:1]
.LBB13_236:
	s_waitcnt lgkmcnt(0)
	v_mov_b32_e32 v1, s47
	global_store_byte v0, v1, s[26:27]
	s_or_b64 exec, exec, s[40:41]
                                        ; implicit-def: $vgpr16
                                        ; implicit-def: $vgpr12
	s_andn2_saveexec_b64 s[0:1], s[24:25]
	s_cbranch_execz .LBB13_213
	s_branch .LBB13_8
	.section	.rodata,"a",@progbits
	.p2align	6, 0x0
	.amdhsa_kernel _ZN2at6native32elementwise_kernel_manual_unrollILi128ELi8EZNS0_22gpu_kernel_impl_nocastINS0_11FillFunctorIaEEEEvRNS_18TensorIteratorBaseERKT_EUlibE_EEviT1_
		.amdhsa_group_segment_fixed_size 0
		.amdhsa_private_segment_fixed_size 0
		.amdhsa_kernarg_size 288
		.amdhsa_user_sgpr_count 6
		.amdhsa_user_sgpr_private_segment_buffer 1
		.amdhsa_user_sgpr_dispatch_ptr 0
		.amdhsa_user_sgpr_queue_ptr 0
		.amdhsa_user_sgpr_kernarg_segment_ptr 1
		.amdhsa_user_sgpr_dispatch_id 0
		.amdhsa_user_sgpr_flat_scratch_init 0
		.amdhsa_user_sgpr_kernarg_preload_length 0
		.amdhsa_user_sgpr_kernarg_preload_offset 0
		.amdhsa_user_sgpr_private_segment_size 0
		.amdhsa_uses_dynamic_stack 0
		.amdhsa_system_sgpr_private_segment_wavefront_offset 0
		.amdhsa_system_sgpr_workgroup_id_x 1
		.amdhsa_system_sgpr_workgroup_id_y 0
		.amdhsa_system_sgpr_workgroup_id_z 0
		.amdhsa_system_sgpr_workgroup_info 0
		.amdhsa_system_vgpr_workitem_id 0
		.amdhsa_next_free_vgpr 17
		.amdhsa_next_free_sgpr 53
		.amdhsa_accum_offset 20
		.amdhsa_reserve_vcc 1
		.amdhsa_reserve_flat_scratch 0
		.amdhsa_float_round_mode_32 0
		.amdhsa_float_round_mode_16_64 0
		.amdhsa_float_denorm_mode_32 3
		.amdhsa_float_denorm_mode_16_64 3
		.amdhsa_dx10_clamp 1
		.amdhsa_ieee_mode 1
		.amdhsa_fp16_overflow 0
		.amdhsa_tg_split 0
		.amdhsa_exception_fp_ieee_invalid_op 0
		.amdhsa_exception_fp_denorm_src 0
		.amdhsa_exception_fp_ieee_div_zero 0
		.amdhsa_exception_fp_ieee_overflow 0
		.amdhsa_exception_fp_ieee_underflow 0
		.amdhsa_exception_fp_ieee_inexact 0
		.amdhsa_exception_int_div_zero 0
	.end_amdhsa_kernel
	.section	.text._ZN2at6native32elementwise_kernel_manual_unrollILi128ELi8EZNS0_22gpu_kernel_impl_nocastINS0_11FillFunctorIaEEEEvRNS_18TensorIteratorBaseERKT_EUlibE_EEviT1_,"axG",@progbits,_ZN2at6native32elementwise_kernel_manual_unrollILi128ELi8EZNS0_22gpu_kernel_impl_nocastINS0_11FillFunctorIaEEEEvRNS_18TensorIteratorBaseERKT_EUlibE_EEviT1_,comdat
.Lfunc_end13:
	.size	_ZN2at6native32elementwise_kernel_manual_unrollILi128ELi8EZNS0_22gpu_kernel_impl_nocastINS0_11FillFunctorIaEEEEvRNS_18TensorIteratorBaseERKT_EUlibE_EEviT1_, .Lfunc_end13-_ZN2at6native32elementwise_kernel_manual_unrollILi128ELi8EZNS0_22gpu_kernel_impl_nocastINS0_11FillFunctorIaEEEEvRNS_18TensorIteratorBaseERKT_EUlibE_EEviT1_
                                        ; -- End function
	.section	.AMDGPU.csdata,"",@progbits
; Kernel info:
; codeLenInByte = 9664
; NumSgprs: 57
; NumVgprs: 17
; NumAgprs: 0
; TotalNumVgprs: 17
; ScratchSize: 0
; MemoryBound: 0
; FloatMode: 240
; IeeeMode: 1
; LDSByteSize: 0 bytes/workgroup (compile time only)
; SGPRBlocks: 7
; VGPRBlocks: 2
; NumSGPRsForWavesPerEU: 57
; NumVGPRsForWavesPerEU: 17
; AccumOffset: 20
; Occupancy: 8
; WaveLimiterHint : 1
; COMPUTE_PGM_RSRC2:SCRATCH_EN: 0
; COMPUTE_PGM_RSRC2:USER_SGPR: 6
; COMPUTE_PGM_RSRC2:TRAP_HANDLER: 0
; COMPUTE_PGM_RSRC2:TGID_X_EN: 1
; COMPUTE_PGM_RSRC2:TGID_Y_EN: 0
; COMPUTE_PGM_RSRC2:TGID_Z_EN: 0
; COMPUTE_PGM_RSRC2:TIDIG_COMP_CNT: 0
; COMPUTE_PGM_RSRC3_GFX90A:ACCUM_OFFSET: 4
; COMPUTE_PGM_RSRC3_GFX90A:TG_SPLIT: 0
	.section	.text._ZN2at6native32elementwise_kernel_manual_unrollILi128ELi4EZNS0_15gpu_kernel_implINS0_11FillFunctorIaEEEEvRNS_18TensorIteratorBaseERKT_EUlibE_EEviT1_,"axG",@progbits,_ZN2at6native32elementwise_kernel_manual_unrollILi128ELi4EZNS0_15gpu_kernel_implINS0_11FillFunctorIaEEEEvRNS_18TensorIteratorBaseERKT_EUlibE_EEviT1_,comdat
	.protected	_ZN2at6native32elementwise_kernel_manual_unrollILi128ELi4EZNS0_15gpu_kernel_implINS0_11FillFunctorIaEEEEvRNS_18TensorIteratorBaseERKT_EUlibE_EEviT1_ ; -- Begin function _ZN2at6native32elementwise_kernel_manual_unrollILi128ELi4EZNS0_15gpu_kernel_implINS0_11FillFunctorIaEEEEvRNS_18TensorIteratorBaseERKT_EUlibE_EEviT1_
	.globl	_ZN2at6native32elementwise_kernel_manual_unrollILi128ELi4EZNS0_15gpu_kernel_implINS0_11FillFunctorIaEEEEvRNS_18TensorIteratorBaseERKT_EUlibE_EEviT1_
	.p2align	8
	.type	_ZN2at6native32elementwise_kernel_manual_unrollILi128ELi4EZNS0_15gpu_kernel_implINS0_11FillFunctorIaEEEEvRNS_18TensorIteratorBaseERKT_EUlibE_EEviT1_,@function
_ZN2at6native32elementwise_kernel_manual_unrollILi128ELi4EZNS0_15gpu_kernel_implINS0_11FillFunctorIaEEEEvRNS_18TensorIteratorBaseERKT_EUlibE_EEviT1_: ; @_ZN2at6native32elementwise_kernel_manual_unrollILi128ELi4EZNS0_15gpu_kernel_implINS0_11FillFunctorIaEEEEvRNS_18TensorIteratorBaseERKT_EUlibE_EEviT1_
; %bb.0:
	s_load_dwordx4 s[8:11], s[4:5], 0x8
	s_load_dword s48, s[4:5], 0x0
	v_lshl_or_b32 v18, s6, 9, v0
	v_or_b32_e32 v0, 0x180, v18
	s_mov_b64 s[6:7], 0
	s_waitcnt lgkmcnt(0)
	v_lshrrev_b16_e64 v10, 8, s11
	v_cmp_le_i32_e32 vcc, s48, v0
	s_mov_b64 s[2:3], 0
	s_and_saveexec_b64 s[0:1], vcc
	s_xor_b64 s[12:13], exec, s[0:1]
	s_cbranch_execz .LBB14_404
; %bb.1:
	s_bfe_i32 s33, s11, 0x80000
	s_sext_i32_i16 s34, s33
	v_cvt_f32_i32_e32 v6, s34
	s_movk_i32 s0, 0xff
	v_mov_b32_e32 v0, s11
	v_bfe_i32 v4, v0, 0, 8
	v_and_b32_e32 v3, 0x400000, v6
	v_bfe_u32 v2, v6, 23, 8
	v_cmp_ne_u32_e32 vcc, 0, v3
	v_and_b32_e32 v3, 0x3fffff, v6
	v_cmp_eq_u32_e64 s[4:5], s0, v2
	v_or_b32_e32 v2, v2, v3
	v_cmp_ne_u32_e64 s[0:1], 0, v2
	v_readfirstlane_b32 s16, v6
	s_and_b64 s[0:1], vcc, s[0:1]
	s_and_b32 s30, s16, 0x7fffffff
	s_cmp_lt_u32 s30, 0x43800000
	s_cselect_b64 s[26:27], -1, 0
	s_cmp_gt_u32 s30, 0x3bffffff
	v_cndmask_b32_e64 v2, 0, 1, s[0:1]
	s_cselect_b64 s[2:3], -1, 0
	s_bfe_u32 s0, s16, 0x10014
	s_add_i32 s17, s16, s0
	s_add_i32 s0, s17, 0x487ffff
	s_lshr_b32 s60, s0, 20
	s_mov_b32 s0, 0x46000000
	v_add_f32_e64 v16, |v6|, s0
	v_readfirstlane_b32 s0, v16
	s_and_b32 s0, s0, 0xff
	s_cmp_lg_u32 s0, 0
	s_cselect_b64 s[28:29], -1, 0
	s_cmp_gt_u32 s30, 0x477fffff
	s_cselect_b64 s[14:15], -1, 0
	s_cmp_lt_u32 s30, 0x47800000
	s_movk_i32 s0, 0x80
	s_cselect_b64 s[22:23], -1, 0
	s_cmp_gt_u32 s30, 0x37ffffff
	v_and_b32_sdwa v13, v6, s0 dst_sel:DWORD dst_unused:UNUSED_PAD src0_sel:BYTE_3 src1_sel:DWORD
	s_cselect_b64 s[0:1], -1, 0
	s_bfe_u32 s18, s16, 0x10015
	s_add_i32 s31, s16, s18
	s_add_i32 s16, s31, 0x88fffff
	s_lshr_b32 s58, s16, 21
	s_mov_b32 s16, 0x42800000
	v_add_f32_e64 v15, |v6|, s16
	v_readfirstlane_b32 s16, v15
	s_and_b32 s16, s16, 0xff
	s_cmp_lg_u32 s16, 0
	s_cselect_b64 s[24:25], -1, 0
	s_cmp_gt_u32 s30, 0x43efffff
	s_cselect_b64 s[18:19], -1, 0
	s_cmp_lt_u32 s30, 0x3c800000
	s_cselect_b64 s[20:21], -1, 0
	s_add_i32 s17, s17, 0x407ffff
	s_lshr_b32 s16, s17, 20
	s_and_b32 s17, s17, 0xff00000
	s_cmp_lg_u32 s17, 0x7f00000
	v_lshrrev_b32_e32 v0, 23, v6
	s_cselect_b32 s56, s16, 0x7e
	s_mov_b32 s16, 0x46800000
	s_cmp_lt_u32 s30, 0x38800000
	v_add_u32_e32 v17, v0, v2
	v_add_f32_e64 v0, |v6|, s16
	s_cselect_b64 s[16:17], -1, 0
	s_add_i32 s31, s31, 0x80fffff
	s_lshr_b32 s53, s31, 21
	s_cmp_gt_u32 s30, 0x7f800000
	s_movk_i32 s30, 0x7f
	s_cselect_b32 s59, s30, 0x7e
	s_mov_b32 s30, 0x43000000
	v_readfirstlane_b32 s57, v0
	v_add_f32_e64 v0, |v6|, s30
	v_readfirstlane_b32 s54, v0
	v_bfe_u32 v0, v6, 16, 1
	v_mov_b32_e32 v1, 0
	s_movk_i32 s30, 0x7c
	v_add_u32_e32 v0, v6, v0
	s_cselect_b32 s55, 0x7f, s30
	v_add_u32_e32 v0, 0x7fff, v0
	v_cmp_ne_u16_sdwa s[30:31], s11, v1 src0_sel:BYTE_0 src1_sel:DWORD
	s_sext_i32_i8 s52, s11
	v_ashrrev_i32_e32 v5, 31, v4
	v_lshrrev_b32_e32 v14, 16, v0
	v_cndmask_b32_e64 v12, 0, 1, s[30:31]
	v_cvt_f64_i32_e32 v[0:1], s34
	v_cvt_f16_i16_e32 v11, s33
	v_cmp_gt_i32_e32 vcc, s48, v18
	s_mov_b64 s[36:37], -1
	s_mov_b64 s[38:39], 0
	s_mov_b64 s[30:31], 0
	s_and_saveexec_b64 s[34:35], vcc
	s_cbranch_execz .LBB14_100
; %bb.2:
	v_mul_lo_u32 v2, v18, s10
	v_ashrrev_i32_e32 v3, 31, v2
	v_mov_b32_e32 v7, s9
	v_add_co_u32_e32 v8, vcc, s8, v2
	v_addc_co_u32_e32 v9, vcc, v7, v3, vcc
	v_cmp_gt_i16_e32 vcc, 11, v10
	s_cbranch_vccnz .LBB14_9
; %bb.3:
	v_cmp_lt_i16_e32 vcc, 25, v10
	s_cbranch_vccz .LBB14_12
; %bb.4:
	v_cmp_lt_i16_e32 vcc, 28, v10
	s_cbranch_vccz .LBB14_13
; %bb.5:
	v_cmp_lt_i16_e32 vcc, 43, v10
	s_cbranch_vccz .LBB14_14
; %bb.6:
	v_cmp_lt_i16_e32 vcc, 45, v10
	s_cbranch_vccz .LBB14_15
; %bb.7:
	v_cmp_eq_u16_e32 vcc, 46, v10
	s_mov_b64 s[40:41], 0
	s_mov_b64 s[30:31], -1
	s_mov_b64 s[36:37], 0
	s_cbranch_vccz .LBB14_16
; %bb.8:
	global_store_dword v[8:9], v14, off
	s_mov_b64 s[36:37], -1
	s_mov_b64 s[30:31], 0
	s_branch .LBB14_16
.LBB14_9:
	s_mov_b64 s[36:37], 0
	s_cbranch_execnz .LBB14_60
.LBB14_10:
	s_andn2_b64 vcc, exec, s[36:37]
	s_cbranch_vccnz .LBB14_98
.LBB14_11:
	v_add_u32_e32 v18, 0x80, v18
	s_mov_b64 s[36:37], -1
	s_branch .LBB14_99
.LBB14_12:
	s_mov_b64 s[36:37], 0
	s_cbranch_execnz .LBB14_38
	s_branch .LBB14_59
.LBB14_13:
	s_mov_b64 s[40:41], -1
	s_mov_b64 s[36:37], 0
	s_branch .LBB14_24
.LBB14_14:
	s_mov_b64 s[40:41], -1
	s_mov_b64 s[36:37], 0
	s_branch .LBB14_20
.LBB14_15:
	s_mov_b64 s[40:41], -1
	s_mov_b64 s[36:37], 0
.LBB14_16:
	s_and_b64 vcc, exec, s[40:41]
	s_cbranch_vccz .LBB14_19
; %bb.17:
	v_cmp_eq_u16_e32 vcc, 44, v10
	s_mov_b64 s[30:31], -1
	s_cbranch_vccz .LBB14_19
; %bb.18:
	v_mov_b32_e32 v2, 0xff
	v_cndmask_b32_e64 v2, v17, v2, s[4:5]
	global_store_byte v[8:9], v2, off
	s_mov_b64 s[36:37], -1
	s_mov_b64 s[30:31], 0
.LBB14_19:
	s_mov_b64 s[40:41], 0
.LBB14_20:
	s_and_b64 vcc, exec, s[40:41]
	s_cbranch_vccz .LBB14_23
; %bb.21:
	v_cmp_eq_u16_e32 vcc, 29, v10
	s_mov_b64 s[30:31], -1
	s_cbranch_vccz .LBB14_23
; %bb.22:
	global_store_dwordx2 v[8:9], v[4:5], off
	s_mov_b64 s[36:37], -1
	s_mov_b64 s[30:31], 0
.LBB14_23:
	s_mov_b64 s[40:41], 0
.LBB14_24:
	s_and_b64 vcc, exec, s[40:41]
	s_cbranch_vccz .LBB14_37
; %bb.25:
	v_cmp_gt_i16_e32 vcc, 27, v10
	s_mov_b64 s[36:37], -1
	s_cbranch_vccnz .LBB14_31
; %bb.26:
	v_cmp_lt_i16_e32 vcc, 27, v10
	s_cbranch_vccz .LBB14_28
; %bb.27:
	v_mov_b32_e32 v2, s52
	s_mov_b64 s[36:37], 0
	global_store_dword v[8:9], v2, off
.LBB14_28:
	s_andn2_b64 vcc, exec, s[36:37]
	s_cbranch_vccnz .LBB14_30
; %bb.29:
	v_mov_b32_e32 v2, s33
	global_store_short v[8:9], v2, off
.LBB14_30:
	s_mov_b64 s[36:37], 0
.LBB14_31:
	s_andn2_b64 vcc, exec, s[36:37]
	s_cbranch_vccnz .LBB14_36
; %bb.32:
	s_andn2_b64 vcc, exec, s[26:27]
	v_mov_b32_e32 v2, 0x80
	s_cbranch_vccnz .LBB14_35
; %bb.33:
	s_or_b64 s[36:37], s[2:3], s[28:29]
	s_andn2_b64 vcc, exec, s[36:37]
	v_mov_b32_e32 v2, 0
	s_cbranch_vccnz .LBB14_35
; %bb.34:
	v_mov_b32_e32 v2, s60
	v_cndmask_b32_e64 v2, v16, v2, s[2:3]
	v_or_b32_e32 v2, v2, v13
.LBB14_35:
	global_store_byte v[8:9], v2, off
.LBB14_36:
	s_mov_b64 s[36:37], -1
.LBB14_37:
	s_branch .LBB14_59
.LBB14_38:
	v_cmp_lt_i16_e32 vcc, 22, v10
	s_mov_b64 s[40:41], -1
	s_cbranch_vccz .LBB14_51
; %bb.39:
	v_cmp_gt_i16_e32 vcc, 24, v10
	s_mov_b64 s[36:37], -1
	s_cbranch_vccnz .LBB14_48
; %bb.40:
	v_cmp_lt_i16_e32 vcc, 24, v10
	s_cbranch_vccz .LBB14_45
; %bb.41:
	s_andn2_b64 vcc, exec, s[22:23]
	v_mov_b32_e32 v2, 0x80
	s_cbranch_vccnz .LBB14_44
; %bb.42:
	s_or_b64 s[36:37], s[0:1], s[24:25]
	s_andn2_b64 vcc, exec, s[36:37]
	v_mov_b32_e32 v2, 0
	s_cbranch_vccnz .LBB14_44
; %bb.43:
	v_mov_b32_e32 v2, s58
	v_cndmask_b32_e64 v2, v15, v2, s[0:1]
	v_or_b32_e32 v2, v2, v13
.LBB14_44:
	s_mov_b64 s[36:37], 0
	global_store_byte v[8:9], v2, off
.LBB14_45:
	s_and_b64 vcc, exec, s[36:37]
	s_cbranch_vccz .LBB14_47
; %bb.46:
	s_and_b64 s[36:37], s[20:21], exec
	s_cselect_b32 s40, s57, s56
	s_and_b64 s[36:37], s[18:19], exec
	s_cselect_b32 s36, s59, s40
	v_or_b32_e32 v2, s36, v13
	global_store_byte v[8:9], v2, off
.LBB14_47:
	s_mov_b64 s[36:37], 0
.LBB14_48:
	s_andn2_b64 vcc, exec, s[36:37]
	s_cbranch_vccnz .LBB14_50
; %bb.49:
	s_and_b64 s[36:37], s[16:17], exec
	s_cselect_b32 s40, s54, s53
	s_and_b64 s[36:37], s[14:15], exec
	s_cselect_b32 s36, s55, s40
	v_or_b32_e32 v2, s36, v13
	global_store_byte v[8:9], v2, off
.LBB14_50:
	s_mov_b64 s[40:41], 0
	s_mov_b64 s[36:37], -1
.LBB14_51:
	s_andn2_b64 vcc, exec, s[40:41]
	s_cbranch_vccnz .LBB14_59
; %bb.52:
	v_cmp_lt_i16_e32 vcc, 14, v10
	s_mov_b64 s[40:41], -1
	s_cbranch_vccz .LBB14_56
; %bb.53:
	v_cmp_eq_u16_e32 vcc, 15, v10
	s_mov_b64 s[30:31], -1
	s_cbranch_vccz .LBB14_55
; %bb.54:
	global_store_short v[8:9], v14, off
	s_mov_b64 s[36:37], -1
	s_mov_b64 s[30:31], 0
.LBB14_55:
	s_mov_b64 s[40:41], 0
.LBB14_56:
	s_and_b64 vcc, exec, s[40:41]
	s_cbranch_vccz .LBB14_59
; %bb.57:
	v_cmp_eq_u16_e32 vcc, 11, v10
	s_mov_b64 s[30:31], -1
	s_cbranch_vccz .LBB14_59
; %bb.58:
	s_mov_b64 s[36:37], -1
	s_mov_b64 s[30:31], 0
	global_store_byte v[8:9], v12, off
.LBB14_59:
	s_branch .LBB14_10
.LBB14_60:
	v_cmp_gt_i16_e32 vcc, 5, v10
	s_mov_b64 s[36:37], -1
	s_cbranch_vccnz .LBB14_81
; %bb.61:
	v_cmp_gt_i16_e32 vcc, 8, v10
	s_cbranch_vccnz .LBB14_71
; %bb.62:
	v_cmp_gt_i16_e32 vcc, 9, v10
	s_cbranch_vccnz .LBB14_68
; %bb.63:
	v_cmp_lt_i16_e32 vcc, 9, v10
	s_cbranch_vccz .LBB14_65
; %bb.64:
	v_mov_b32_e32 v2, 0
	v_mov_b32_e32 v3, v2
	global_store_dwordx4 v[8:9], v[0:3], off
	s_mov_b64 s[36:37], 0
.LBB14_65:
	s_andn2_b64 vcc, exec, s[36:37]
	s_cbranch_vccnz .LBB14_67
; %bb.66:
	v_mov_b32_e32 v7, 0
	global_store_dwordx2 v[8:9], v[6:7], off
.LBB14_67:
	s_mov_b64 s[36:37], 0
.LBB14_68:
	s_andn2_b64 vcc, exec, s[36:37]
	s_cbranch_vccnz .LBB14_70
; %bb.69:
	global_store_dword v[8:9], v11, off
.LBB14_70:
	s_mov_b64 s[36:37], 0
.LBB14_71:
	s_andn2_b64 vcc, exec, s[36:37]
	s_cbranch_vccnz .LBB14_80
; %bb.72:
	v_cmp_gt_i16_e32 vcc, 6, v10
	s_mov_b64 s[36:37], -1
	s_cbranch_vccnz .LBB14_78
; %bb.73:
	v_cmp_lt_i16_e32 vcc, 6, v10
	s_cbranch_vccz .LBB14_75
; %bb.74:
	global_store_dwordx2 v[8:9], v[0:1], off
	s_mov_b64 s[36:37], 0
.LBB14_75:
	s_andn2_b64 vcc, exec, s[36:37]
	s_cbranch_vccnz .LBB14_77
; %bb.76:
	global_store_dword v[8:9], v6, off
.LBB14_77:
	s_mov_b64 s[36:37], 0
.LBB14_78:
	s_andn2_b64 vcc, exec, s[36:37]
	s_cbranch_vccnz .LBB14_80
; %bb.79:
	global_store_short v[8:9], v11, off
.LBB14_80:
	s_mov_b64 s[36:37], 0
.LBB14_81:
	s_andn2_b64 vcc, exec, s[36:37]
	s_cbranch_vccnz .LBB14_97
; %bb.82:
	v_cmp_gt_i16_e32 vcc, 2, v10
	s_mov_b64 s[36:37], -1
	s_cbranch_vccnz .LBB14_92
; %bb.83:
	v_cmp_gt_i16_e32 vcc, 3, v10
	s_cbranch_vccnz .LBB14_89
; %bb.84:
	v_cmp_lt_i16_e32 vcc, 3, v10
	s_cbranch_vccz .LBB14_86
; %bb.85:
	global_store_dwordx2 v[8:9], v[4:5], off
	s_mov_b64 s[36:37], 0
.LBB14_86:
	s_andn2_b64 vcc, exec, s[36:37]
	s_cbranch_vccnz .LBB14_88
; %bb.87:
	v_mov_b32_e32 v2, s52
	global_store_dword v[8:9], v2, off
.LBB14_88:
	s_mov_b64 s[36:37], 0
.LBB14_89:
	s_andn2_b64 vcc, exec, s[36:37]
	s_cbranch_vccnz .LBB14_91
; %bb.90:
	v_mov_b32_e32 v2, s33
	global_store_short v[8:9], v2, off
.LBB14_91:
	s_mov_b64 s[36:37], 0
.LBB14_92:
	s_andn2_b64 vcc, exec, s[36:37]
	s_cbranch_vccnz .LBB14_97
; %bb.93:
	v_cmp_lt_i16_e32 vcc, 0, v10
	s_mov_b64 s[36:37], -1
	s_cbranch_vccz .LBB14_95
; %bb.94:
	v_mov_b32_e32 v2, s11
	global_store_byte v[8:9], v2, off
	s_mov_b64 s[36:37], 0
.LBB14_95:
	s_andn2_b64 vcc, exec, s[36:37]
	s_cbranch_vccnz .LBB14_97
; %bb.96:
	v_mov_b32_e32 v2, s11
	global_store_byte v[8:9], v2, off
.LBB14_97:
	s_branch .LBB14_11
.LBB14_98:
	s_mov_b64 s[36:37], 0
                                        ; implicit-def: $vgpr18
.LBB14_99:
	s_and_b64 s[30:31], s[30:31], exec
	s_orn2_b64 s[36:37], s[36:37], exec
.LBB14_100:
	s_or_b64 exec, exec, s[34:35]
	s_mov_b64 s[40:41], 0
                                        ; implicit-def: $vgpr8_vgpr9
	s_and_saveexec_b64 s[34:35], s[36:37]
	s_cbranch_execz .LBB14_109
; %bb.101:
	v_cmp_gt_i32_e32 vcc, s48, v18
	s_mov_b64 s[42:43], -1
	s_mov_b64 s[36:37], s[30:31]
	s_and_saveexec_b64 s[38:39], vcc
	s_cbranch_execz .LBB14_204
; %bb.102:
	v_mul_lo_u32 v2, v18, s10
	v_ashrrev_i32_e32 v3, 31, v2
	v_mov_b32_e32 v7, s9
	v_add_co_u32_e32 v8, vcc, s8, v2
	v_addc_co_u32_e32 v9, vcc, v7, v3, vcc
	v_cmp_gt_i16_e32 vcc, 11, v10
	s_cbranch_vccnz .LBB14_112
; %bb.103:
	v_cmp_lt_i16_e32 vcc, 25, v10
	s_cbranch_vccz .LBB14_115
; %bb.104:
	v_cmp_lt_i16_e32 vcc, 28, v10
	s_cbranch_vccz .LBB14_116
	;; [unrolled: 3-line block ×4, first 2 shown]
; %bb.107:
	v_cmp_eq_u16_e32 vcc, 46, v10
	s_mov_b64 s[42:43], 0
	s_mov_b64 s[36:37], -1
	s_cbranch_vccz .LBB14_119
; %bb.108:
	global_store_dword v[8:9], v14, off
	s_mov_b64 s[40:41], -1
	s_mov_b64 s[36:37], 0
	s_branch .LBB14_119
.LBB14_109:
	s_or_b64 exec, exec, s[34:35]
	s_mov_b64 s[0:1], 0
	s_and_saveexec_b64 s[2:3], s[30:31]
	s_cbranch_execnz .LBB14_364
.LBB14_110:
	s_or_b64 exec, exec, s[2:3]
	s_and_saveexec_b64 s[2:3], s[38:39]
	s_xor_b64 s[2:3], exec, s[2:3]
	s_cbranch_execz .LBB14_365
.LBB14_111:
	global_store_byte v[8:9], v12, off
	s_or_b64 exec, exec, s[2:3]
	s_and_saveexec_b64 s[2:3], s[40:41]
	s_xor_b64 s[2:3], exec, s[2:3]
	s_cbranch_execz .LBB14_403
	s_branch .LBB14_366
.LBB14_112:
	s_mov_b64 s[36:37], s[30:31]
	s_and_b64 vcc, exec, s[42:43]
	s_cbranch_vccnz .LBB14_164
.LBB14_113:
	s_andn2_b64 vcc, exec, s[40:41]
	s_cbranch_vccnz .LBB14_202
.LBB14_114:
	v_add_u32_e32 v18, 0x80, v18
	s_mov_b64 s[40:41], -1
	s_branch .LBB14_203
.LBB14_115:
	s_mov_b64 s[36:37], s[30:31]
	s_branch .LBB14_141
.LBB14_116:
	s_mov_b64 s[36:37], s[30:31]
	s_branch .LBB14_127
.LBB14_117:
	s_mov_b64 s[36:37], s[30:31]
	s_branch .LBB14_123
.LBB14_118:
	s_mov_b64 s[36:37], s[30:31]
.LBB14_119:
	s_and_b64 vcc, exec, s[42:43]
	s_cbranch_vccz .LBB14_122
; %bb.120:
	v_cmp_eq_u16_e32 vcc, 44, v10
	s_mov_b64 s[36:37], -1
	s_cbranch_vccz .LBB14_122
; %bb.121:
	v_mov_b32_e32 v2, 0xff
	v_cndmask_b32_e64 v2, v17, v2, s[4:5]
	s_mov_b64 s[40:41], -1
	s_mov_b64 s[36:37], 0
	global_store_byte v[8:9], v2, off
.LBB14_122:
	s_mov_b64 s[42:43], 0
.LBB14_123:
	s_and_b64 vcc, exec, s[42:43]
	s_cbranch_vccz .LBB14_126
; %bb.124:
	v_cmp_eq_u16_e32 vcc, 29, v10
	s_mov_b64 s[36:37], -1
	s_cbranch_vccz .LBB14_126
; %bb.125:
	global_store_dwordx2 v[8:9], v[4:5], off
	s_mov_b64 s[40:41], -1
	s_mov_b64 s[36:37], 0
.LBB14_126:
	s_mov_b64 s[42:43], 0
.LBB14_127:
	s_and_b64 vcc, exec, s[42:43]
	s_cbranch_vccz .LBB14_140
; %bb.128:
	v_cmp_gt_i16_e32 vcc, 27, v10
	s_mov_b64 s[40:41], -1
	s_cbranch_vccnz .LBB14_134
; %bb.129:
	v_cmp_lt_i16_e32 vcc, 27, v10
	s_cbranch_vccz .LBB14_131
; %bb.130:
	v_mov_b32_e32 v2, s52
	s_mov_b64 s[40:41], 0
	global_store_dword v[8:9], v2, off
.LBB14_131:
	s_andn2_b64 vcc, exec, s[40:41]
	s_cbranch_vccnz .LBB14_133
; %bb.132:
	v_mov_b32_e32 v2, s33
	global_store_short v[8:9], v2, off
.LBB14_133:
	s_mov_b64 s[40:41], 0
.LBB14_134:
	s_andn2_b64 vcc, exec, s[40:41]
	s_cbranch_vccnz .LBB14_139
; %bb.135:
	s_andn2_b64 vcc, exec, s[26:27]
	v_mov_b32_e32 v2, 0x80
	s_cbranch_vccnz .LBB14_138
; %bb.136:
	s_or_b64 s[40:41], s[2:3], s[28:29]
	s_andn2_b64 vcc, exec, s[40:41]
	v_mov_b32_e32 v2, 0
	s_cbranch_vccnz .LBB14_138
; %bb.137:
	v_mov_b32_e32 v2, s60
	v_cndmask_b32_e64 v2, v16, v2, s[2:3]
	v_or_b32_e32 v2, v2, v13
.LBB14_138:
	global_store_byte v[8:9], v2, off
.LBB14_139:
	s_mov_b64 s[40:41], -1
.LBB14_140:
	s_mov_b64 s[42:43], 0
.LBB14_141:
	s_and_b64 vcc, exec, s[42:43]
	s_cbranch_vccz .LBB14_163
; %bb.142:
	v_cmp_lt_i16_e32 vcc, 22, v10
	s_mov_b64 s[42:43], -1
	s_cbranch_vccz .LBB14_155
; %bb.143:
	v_cmp_gt_i16_e32 vcc, 24, v10
	s_mov_b64 s[40:41], -1
	s_cbranch_vccnz .LBB14_152
; %bb.144:
	v_cmp_lt_i16_e32 vcc, 24, v10
	s_cbranch_vccz .LBB14_149
; %bb.145:
	s_andn2_b64 vcc, exec, s[22:23]
	v_mov_b32_e32 v2, 0x80
	s_cbranch_vccnz .LBB14_148
; %bb.146:
	s_or_b64 s[40:41], s[0:1], s[24:25]
	s_andn2_b64 vcc, exec, s[40:41]
	v_mov_b32_e32 v2, 0
	s_cbranch_vccnz .LBB14_148
; %bb.147:
	v_mov_b32_e32 v2, s58
	v_cndmask_b32_e64 v2, v15, v2, s[0:1]
	v_or_b32_e32 v2, v2, v13
.LBB14_148:
	s_mov_b64 s[40:41], 0
	global_store_byte v[8:9], v2, off
.LBB14_149:
	s_and_b64 vcc, exec, s[40:41]
	s_cbranch_vccz .LBB14_151
; %bb.150:
	s_and_b64 s[40:41], s[20:21], exec
	s_cselect_b32 s42, s57, s56
	s_and_b64 s[40:41], s[18:19], exec
	s_cselect_b32 s40, s59, s42
	v_or_b32_e32 v2, s40, v13
	global_store_byte v[8:9], v2, off
.LBB14_151:
	s_mov_b64 s[40:41], 0
.LBB14_152:
	s_andn2_b64 vcc, exec, s[40:41]
	s_cbranch_vccnz .LBB14_154
; %bb.153:
	s_and_b64 s[40:41], s[16:17], exec
	s_cselect_b32 s42, s54, s53
	s_and_b64 s[40:41], s[14:15], exec
	s_cselect_b32 s40, s55, s42
	v_or_b32_e32 v2, s40, v13
	global_store_byte v[8:9], v2, off
.LBB14_154:
	s_mov_b64 s[42:43], 0
	s_mov_b64 s[40:41], -1
.LBB14_155:
	s_andn2_b64 vcc, exec, s[42:43]
	s_cbranch_vccnz .LBB14_163
; %bb.156:
	v_cmp_lt_i16_e32 vcc, 14, v10
	s_mov_b64 s[42:43], -1
	s_cbranch_vccz .LBB14_160
; %bb.157:
	v_cmp_eq_u16_e32 vcc, 15, v10
	s_mov_b64 s[36:37], -1
	s_cbranch_vccz .LBB14_159
; %bb.158:
	global_store_short v[8:9], v14, off
	s_mov_b64 s[40:41], -1
	s_mov_b64 s[36:37], 0
.LBB14_159:
	s_mov_b64 s[42:43], 0
.LBB14_160:
	s_and_b64 vcc, exec, s[42:43]
	s_cbranch_vccz .LBB14_163
; %bb.161:
	v_cmp_eq_u16_e32 vcc, 11, v10
	s_mov_b64 s[36:37], -1
	s_cbranch_vccz .LBB14_163
; %bb.162:
	s_mov_b64 s[40:41], -1
	s_mov_b64 s[36:37], 0
	global_store_byte v[8:9], v12, off
.LBB14_163:
	s_branch .LBB14_113
.LBB14_164:
	v_cmp_gt_i16_e32 vcc, 5, v10
	s_mov_b64 s[40:41], -1
	s_cbranch_vccnz .LBB14_185
; %bb.165:
	v_cmp_gt_i16_e32 vcc, 8, v10
	s_cbranch_vccnz .LBB14_175
; %bb.166:
	v_cmp_gt_i16_e32 vcc, 9, v10
	s_cbranch_vccnz .LBB14_172
; %bb.167:
	v_cmp_lt_i16_e32 vcc, 9, v10
	s_cbranch_vccz .LBB14_169
; %bb.168:
	v_mov_b32_e32 v2, 0
	v_mov_b32_e32 v3, v2
	s_mov_b64 s[40:41], 0
	global_store_dwordx4 v[8:9], v[0:3], off
.LBB14_169:
	s_andn2_b64 vcc, exec, s[40:41]
	s_cbranch_vccnz .LBB14_171
; %bb.170:
	v_mov_b32_e32 v7, 0
	global_store_dwordx2 v[8:9], v[6:7], off
.LBB14_171:
	s_mov_b64 s[40:41], 0
.LBB14_172:
	s_andn2_b64 vcc, exec, s[40:41]
	s_cbranch_vccnz .LBB14_174
; %bb.173:
	global_store_dword v[8:9], v11, off
.LBB14_174:
	s_mov_b64 s[40:41], 0
.LBB14_175:
	s_andn2_b64 vcc, exec, s[40:41]
	s_cbranch_vccnz .LBB14_184
; %bb.176:
	v_cmp_gt_i16_e32 vcc, 6, v10
	s_mov_b64 s[40:41], -1
	s_cbranch_vccnz .LBB14_182
; %bb.177:
	v_cmp_lt_i16_e32 vcc, 6, v10
	s_cbranch_vccz .LBB14_179
; %bb.178:
	s_mov_b64 s[40:41], 0
	global_store_dwordx2 v[8:9], v[0:1], off
.LBB14_179:
	s_andn2_b64 vcc, exec, s[40:41]
	s_cbranch_vccnz .LBB14_181
; %bb.180:
	global_store_dword v[8:9], v6, off
.LBB14_181:
	s_mov_b64 s[40:41], 0
.LBB14_182:
	s_andn2_b64 vcc, exec, s[40:41]
	s_cbranch_vccnz .LBB14_184
; %bb.183:
	global_store_short v[8:9], v11, off
.LBB14_184:
	s_mov_b64 s[40:41], 0
.LBB14_185:
	s_andn2_b64 vcc, exec, s[40:41]
	s_cbranch_vccnz .LBB14_201
; %bb.186:
	v_cmp_gt_i16_e32 vcc, 2, v10
	s_mov_b64 s[40:41], -1
	s_cbranch_vccnz .LBB14_196
; %bb.187:
	v_cmp_gt_i16_e32 vcc, 3, v10
	s_cbranch_vccnz .LBB14_193
; %bb.188:
	v_cmp_lt_i16_e32 vcc, 3, v10
	s_cbranch_vccz .LBB14_190
; %bb.189:
	s_mov_b64 s[40:41], 0
	global_store_dwordx2 v[8:9], v[4:5], off
.LBB14_190:
	s_andn2_b64 vcc, exec, s[40:41]
	s_cbranch_vccnz .LBB14_192
; %bb.191:
	v_mov_b32_e32 v2, s52
	global_store_dword v[8:9], v2, off
.LBB14_192:
	s_mov_b64 s[40:41], 0
.LBB14_193:
	s_andn2_b64 vcc, exec, s[40:41]
	s_cbranch_vccnz .LBB14_195
; %bb.194:
	v_mov_b32_e32 v2, s33
	global_store_short v[8:9], v2, off
.LBB14_195:
	s_mov_b64 s[40:41], 0
.LBB14_196:
	s_andn2_b64 vcc, exec, s[40:41]
	s_cbranch_vccnz .LBB14_201
; %bb.197:
	v_cmp_lt_i16_e32 vcc, 0, v10
	s_mov_b64 s[40:41], -1
	s_cbranch_vccz .LBB14_199
; %bb.198:
	v_mov_b32_e32 v2, s11
	s_mov_b64 s[40:41], 0
	global_store_byte v[8:9], v2, off
.LBB14_199:
	s_andn2_b64 vcc, exec, s[40:41]
	s_cbranch_vccnz .LBB14_201
; %bb.200:
	v_mov_b32_e32 v2, s11
	global_store_byte v[8:9], v2, off
.LBB14_201:
	s_branch .LBB14_114
.LBB14_202:
	s_mov_b64 s[40:41], 0
                                        ; implicit-def: $vgpr18
.LBB14_203:
	s_andn2_b64 s[42:43], s[30:31], exec
	s_and_b64 s[36:37], s[36:37], exec
	s_or_b64 s[36:37], s[42:43], s[36:37]
	s_orn2_b64 s[42:43], s[40:41], exec
.LBB14_204:
	s_or_b64 exec, exec, s[38:39]
	s_mov_b64 s[44:45], 0
	s_mov_b64 s[40:41], 0
                                        ; implicit-def: $vgpr8_vgpr9
	s_and_saveexec_b64 s[38:39], s[42:43]
	s_cbranch_execz .LBB14_363
; %bb.205:
	v_cmp_gt_i32_e32 vcc, s48, v18
	s_mov_b64 s[46:47], -1
	s_mov_b64 s[42:43], s[36:37]
	s_and_saveexec_b64 s[40:41], vcc
	s_cbranch_execz .LBB14_306
; %bb.206:
	v_mul_lo_u32 v2, v18, s10
	v_ashrrev_i32_e32 v3, 31, v2
	v_mov_b32_e32 v7, s9
	v_add_co_u32_e32 v8, vcc, s8, v2
	v_addc_co_u32_e32 v9, vcc, v7, v3, vcc
	v_cmp_gt_i16_e32 vcc, 11, v10
	s_cbranch_vccnz .LBB14_213
; %bb.207:
	v_cmp_lt_i16_e32 vcc, 25, v10
	s_cbranch_vccz .LBB14_214
; %bb.208:
	v_cmp_lt_i16_e32 vcc, 28, v10
	s_cbranch_vccz .LBB14_215
	;; [unrolled: 3-line block ×4, first 2 shown]
; %bb.211:
	v_cmp_eq_u16_e32 vcc, 46, v10
	s_mov_b64 s[46:47], 0
	s_mov_b64 s[42:43], -1
	s_cbranch_vccz .LBB14_218
; %bb.212:
	global_store_dword v[8:9], v14, off
	s_mov_b64 s[44:45], -1
	s_mov_b64 s[42:43], 0
	s_branch .LBB14_218
.LBB14_213:
	s_mov_b64 s[42:43], s[36:37]
	s_branch .LBB14_263
.LBB14_214:
	s_mov_b64 s[42:43], s[36:37]
	s_branch .LBB14_240
.LBB14_215:
	s_mov_b64 s[42:43], s[36:37]
	s_branch .LBB14_226
.LBB14_216:
	s_mov_b64 s[42:43], s[36:37]
	s_branch .LBB14_222
.LBB14_217:
	s_mov_b64 s[42:43], s[36:37]
.LBB14_218:
	s_and_b64 vcc, exec, s[46:47]
	s_cbranch_vccz .LBB14_221
; %bb.219:
	v_cmp_eq_u16_e32 vcc, 44, v10
	s_mov_b64 s[42:43], -1
	s_cbranch_vccz .LBB14_221
; %bb.220:
	v_mov_b32_e32 v2, 0xff
	v_cndmask_b32_e64 v2, v17, v2, s[4:5]
	s_mov_b64 s[44:45], -1
	s_mov_b64 s[42:43], 0
	global_store_byte v[8:9], v2, off
.LBB14_221:
	s_mov_b64 s[46:47], 0
.LBB14_222:
	s_and_b64 vcc, exec, s[46:47]
	s_cbranch_vccz .LBB14_225
; %bb.223:
	v_cmp_eq_u16_e32 vcc, 29, v10
	s_mov_b64 s[42:43], -1
	s_cbranch_vccz .LBB14_225
; %bb.224:
	global_store_dwordx2 v[8:9], v[4:5], off
	s_mov_b64 s[44:45], -1
	s_mov_b64 s[42:43], 0
.LBB14_225:
	s_mov_b64 s[46:47], 0
.LBB14_226:
	s_and_b64 vcc, exec, s[46:47]
	s_cbranch_vccz .LBB14_239
; %bb.227:
	v_cmp_gt_i16_e32 vcc, 27, v10
	s_mov_b64 s[44:45], -1
	s_cbranch_vccnz .LBB14_233
; %bb.228:
	v_cmp_lt_i16_e32 vcc, 27, v10
	s_cbranch_vccz .LBB14_230
; %bb.229:
	v_mov_b32_e32 v2, s52
	s_mov_b64 s[44:45], 0
	global_store_dword v[8:9], v2, off
.LBB14_230:
	s_andn2_b64 vcc, exec, s[44:45]
	s_cbranch_vccnz .LBB14_232
; %bb.231:
	v_mov_b32_e32 v2, s33
	global_store_short v[8:9], v2, off
.LBB14_232:
	s_mov_b64 s[44:45], 0
.LBB14_233:
	s_andn2_b64 vcc, exec, s[44:45]
	s_cbranch_vccnz .LBB14_238
; %bb.234:
	s_andn2_b64 vcc, exec, s[26:27]
	v_mov_b32_e32 v2, 0x80
	s_cbranch_vccnz .LBB14_237
; %bb.235:
	s_or_b64 s[44:45], s[2:3], s[28:29]
	s_andn2_b64 vcc, exec, s[44:45]
	v_mov_b32_e32 v2, 0
	s_cbranch_vccnz .LBB14_237
; %bb.236:
	v_mov_b32_e32 v2, s60
	v_cndmask_b32_e64 v2, v16, v2, s[2:3]
	v_or_b32_e32 v2, v2, v13
.LBB14_237:
	global_store_byte v[8:9], v2, off
.LBB14_238:
	s_mov_b64 s[44:45], -1
.LBB14_239:
	s_mov_b64 s[46:47], 0
.LBB14_240:
	s_and_b64 vcc, exec, s[46:47]
	s_cbranch_vccz .LBB14_262
; %bb.241:
	v_cmp_lt_i16_e32 vcc, 22, v10
	s_mov_b64 s[46:47], -1
	s_cbranch_vccz .LBB14_254
; %bb.242:
	v_cmp_gt_i16_e32 vcc, 24, v10
	s_mov_b64 s[44:45], -1
	s_cbranch_vccnz .LBB14_251
; %bb.243:
	v_cmp_lt_i16_e32 vcc, 24, v10
	s_cbranch_vccz .LBB14_248
; %bb.244:
	s_andn2_b64 vcc, exec, s[22:23]
	v_mov_b32_e32 v2, 0x80
	s_cbranch_vccnz .LBB14_247
; %bb.245:
	s_or_b64 s[44:45], s[0:1], s[24:25]
	s_andn2_b64 vcc, exec, s[44:45]
	v_mov_b32_e32 v2, 0
	s_cbranch_vccnz .LBB14_247
; %bb.246:
	v_mov_b32_e32 v2, s58
	v_cndmask_b32_e64 v2, v15, v2, s[0:1]
	v_or_b32_e32 v2, v2, v13
.LBB14_247:
	s_mov_b64 s[44:45], 0
	global_store_byte v[8:9], v2, off
.LBB14_248:
	s_and_b64 vcc, exec, s[44:45]
	s_cbranch_vccz .LBB14_250
; %bb.249:
	s_and_b64 s[44:45], s[20:21], exec
	s_cselect_b32 s46, s57, s56
	s_and_b64 s[44:45], s[18:19], exec
	s_cselect_b32 s44, s59, s46
	v_or_b32_e32 v2, s44, v13
	global_store_byte v[8:9], v2, off
.LBB14_250:
	s_mov_b64 s[44:45], 0
.LBB14_251:
	s_andn2_b64 vcc, exec, s[44:45]
	s_cbranch_vccnz .LBB14_253
; %bb.252:
	s_and_b64 s[44:45], s[16:17], exec
	s_cselect_b32 s46, s54, s53
	s_and_b64 s[44:45], s[14:15], exec
	s_cselect_b32 s44, s55, s46
	v_or_b32_e32 v2, s44, v13
	global_store_byte v[8:9], v2, off
.LBB14_253:
	s_mov_b64 s[46:47], 0
	s_mov_b64 s[44:45], -1
.LBB14_254:
	s_andn2_b64 vcc, exec, s[46:47]
	s_cbranch_vccnz .LBB14_262
; %bb.255:
	v_cmp_lt_i16_e32 vcc, 14, v10
	s_mov_b64 s[46:47], -1
	s_cbranch_vccz .LBB14_259
; %bb.256:
	v_cmp_eq_u16_e32 vcc, 15, v10
	s_mov_b64 s[42:43], -1
	s_cbranch_vccz .LBB14_258
; %bb.257:
	global_store_short v[8:9], v14, off
	s_mov_b64 s[44:45], -1
	s_mov_b64 s[42:43], 0
.LBB14_258:
	s_mov_b64 s[46:47], 0
.LBB14_259:
	s_and_b64 vcc, exec, s[46:47]
	s_cbranch_vccz .LBB14_262
; %bb.260:
	v_cmp_eq_u16_e32 vcc, 11, v10
	s_mov_b64 s[42:43], -1
	s_cbranch_vccz .LBB14_262
; %bb.261:
	s_mov_b64 s[44:45], -1
	s_mov_b64 s[42:43], 0
	global_store_byte v[8:9], v12, off
.LBB14_262:
	s_mov_b64 s[46:47], 0
.LBB14_263:
	s_and_b64 vcc, exec, s[46:47]
	s_cbranch_vccz .LBB14_302
; %bb.264:
	v_cmp_gt_i16_e32 vcc, 5, v10
	s_mov_b64 s[44:45], -1
	s_cbranch_vccnz .LBB14_285
; %bb.265:
	v_cmp_gt_i16_e32 vcc, 8, v10
	s_cbranch_vccnz .LBB14_275
; %bb.266:
	v_cmp_gt_i16_e32 vcc, 9, v10
	s_cbranch_vccnz .LBB14_272
; %bb.267:
	v_cmp_lt_i16_e32 vcc, 9, v10
	s_cbranch_vccz .LBB14_269
; %bb.268:
	v_mov_b32_e32 v2, 0
	v_mov_b32_e32 v3, v2
	s_mov_b64 s[44:45], 0
	global_store_dwordx4 v[8:9], v[0:3], off
.LBB14_269:
	s_andn2_b64 vcc, exec, s[44:45]
	s_cbranch_vccnz .LBB14_271
; %bb.270:
	v_mov_b32_e32 v7, 0
	global_store_dwordx2 v[8:9], v[6:7], off
.LBB14_271:
	s_mov_b64 s[44:45], 0
.LBB14_272:
	s_andn2_b64 vcc, exec, s[44:45]
	s_cbranch_vccnz .LBB14_274
; %bb.273:
	global_store_dword v[8:9], v11, off
.LBB14_274:
	s_mov_b64 s[44:45], 0
.LBB14_275:
	s_andn2_b64 vcc, exec, s[44:45]
	s_cbranch_vccnz .LBB14_284
; %bb.276:
	v_cmp_gt_i16_e32 vcc, 6, v10
	s_mov_b64 s[44:45], -1
	s_cbranch_vccnz .LBB14_282
; %bb.277:
	v_cmp_lt_i16_e32 vcc, 6, v10
	s_cbranch_vccz .LBB14_279
; %bb.278:
	s_mov_b64 s[44:45], 0
	global_store_dwordx2 v[8:9], v[0:1], off
.LBB14_279:
	s_andn2_b64 vcc, exec, s[44:45]
	s_cbranch_vccnz .LBB14_281
; %bb.280:
	global_store_dword v[8:9], v6, off
.LBB14_281:
	s_mov_b64 s[44:45], 0
.LBB14_282:
	s_andn2_b64 vcc, exec, s[44:45]
	s_cbranch_vccnz .LBB14_284
; %bb.283:
	global_store_short v[8:9], v11, off
.LBB14_284:
	s_mov_b64 s[44:45], 0
.LBB14_285:
	s_andn2_b64 vcc, exec, s[44:45]
	s_cbranch_vccnz .LBB14_301
; %bb.286:
	v_cmp_gt_i16_e32 vcc, 2, v10
	s_mov_b64 s[44:45], -1
	s_cbranch_vccnz .LBB14_296
; %bb.287:
	v_cmp_gt_i16_e32 vcc, 3, v10
	s_cbranch_vccnz .LBB14_293
; %bb.288:
	v_cmp_lt_i16_e32 vcc, 3, v10
	s_cbranch_vccz .LBB14_290
; %bb.289:
	s_mov_b64 s[44:45], 0
	global_store_dwordx2 v[8:9], v[4:5], off
.LBB14_290:
	s_andn2_b64 vcc, exec, s[44:45]
	s_cbranch_vccnz .LBB14_292
; %bb.291:
	v_mov_b32_e32 v2, s52
	global_store_dword v[8:9], v2, off
.LBB14_292:
	s_mov_b64 s[44:45], 0
.LBB14_293:
	s_andn2_b64 vcc, exec, s[44:45]
	s_cbranch_vccnz .LBB14_295
; %bb.294:
	v_mov_b32_e32 v2, s33
	global_store_short v[8:9], v2, off
.LBB14_295:
	s_mov_b64 s[44:45], 0
.LBB14_296:
	s_andn2_b64 vcc, exec, s[44:45]
	s_cbranch_vccnz .LBB14_301
; %bb.297:
	v_cmp_lt_i16_e32 vcc, 0, v10
	s_mov_b64 s[44:45], -1
	s_cbranch_vccz .LBB14_299
; %bb.298:
	v_mov_b32_e32 v2, s11
	s_mov_b64 s[44:45], 0
	global_store_byte v[8:9], v2, off
.LBB14_299:
	s_andn2_b64 vcc, exec, s[44:45]
	s_cbranch_vccnz .LBB14_301
; %bb.300:
	v_mov_b32_e32 v2, s11
	global_store_byte v[8:9], v2, off
.LBB14_301:
	s_mov_b64 s[44:45], -1
.LBB14_302:
	s_andn2_b64 vcc, exec, s[44:45]
	s_cbranch_vccnz .LBB14_304
; %bb.303:
	v_add_u32_e32 v18, 0x80, v18
	s_mov_b64 s[44:45], -1
	s_branch .LBB14_305
.LBB14_304:
	s_mov_b64 s[44:45], 0
                                        ; implicit-def: $vgpr18
.LBB14_305:
	s_andn2_b64 s[46:47], s[36:37], exec
	s_and_b64 s[42:43], s[42:43], exec
	s_or_b64 s[42:43], s[46:47], s[42:43]
	s_orn2_b64 s[46:47], s[44:45], exec
.LBB14_306:
	s_or_b64 exec, exec, s[40:41]
	s_mov_b64 s[44:45], 0
	s_mov_b64 s[50:51], 0
                                        ; implicit-def: $vgpr8_vgpr9
	s_and_saveexec_b64 s[40:41], s[46:47]
	s_cbranch_execz .LBB14_362
; %bb.307:
	v_cmp_gt_i32_e32 vcc, s48, v18
	s_mov_b64 s[48:49], 0
	s_mov_b64 s[46:47], s[42:43]
                                        ; implicit-def: $vgpr8_vgpr9
	s_and_saveexec_b64 s[44:45], vcc
	s_cbranch_execz .LBB14_361
; %bb.308:
	v_mul_lo_u32 v2, v18, s10
	v_ashrrev_i32_e32 v3, 31, v2
	v_mov_b32_e32 v7, s9
	v_add_co_u32_e32 v8, vcc, s8, v2
	v_addc_co_u32_e32 v9, vcc, v7, v3, vcc
	v_cmp_gt_i16_e32 vcc, 11, v10
	s_cbranch_vccnz .LBB14_358
; %bb.309:
	v_cmp_lt_i16_e32 vcc, 25, v10
	s_mov_b64 s[48:49], -1
	s_mov_b64 s[46:47], s[42:43]
	s_cbranch_vccz .LBB14_337
; %bb.310:
	v_cmp_lt_i16_e32 vcc, 28, v10
	s_mov_b64 s[46:47], s[42:43]
	s_cbranch_vccz .LBB14_324
; %bb.311:
	v_cmp_lt_i16_e32 vcc, 43, v10
	;; [unrolled: 4-line block ×3, first 2 shown]
	s_mov_b64 s[46:47], s[42:43]
	s_cbranch_vccz .LBB14_316
; %bb.313:
	v_cmp_eq_u16_e32 vcc, 46, v10
	s_mov_b64 s[46:47], -1
	s_cbranch_vccz .LBB14_315
; %bb.314:
	global_store_dword v[8:9], v14, off
	s_mov_b64 s[46:47], 0
.LBB14_315:
	s_mov_b64 s[48:49], 0
.LBB14_316:
	s_and_b64 vcc, exec, s[48:49]
	s_cbranch_vccz .LBB14_319
; %bb.317:
	v_cmp_eq_u16_e32 vcc, 44, v10
	s_mov_b64 s[46:47], -1
	s_cbranch_vccz .LBB14_319
; %bb.318:
	v_mov_b32_e32 v2, 0xff
	v_cndmask_b32_e64 v2, v17, v2, s[4:5]
	global_store_byte v[8:9], v2, off
	s_mov_b64 s[46:47], 0
.LBB14_319:
	s_mov_b64 s[48:49], 0
.LBB14_320:
	s_and_b64 vcc, exec, s[48:49]
	s_cbranch_vccz .LBB14_323
; %bb.321:
	v_cmp_eq_u16_e32 vcc, 29, v10
	s_mov_b64 s[46:47], -1
	s_cbranch_vccz .LBB14_323
; %bb.322:
	global_store_dwordx2 v[8:9], v[4:5], off
	s_mov_b64 s[46:47], 0
.LBB14_323:
	s_mov_b64 s[48:49], 0
.LBB14_324:
	s_and_b64 vcc, exec, s[48:49]
	s_cbranch_vccz .LBB14_336
; %bb.325:
	v_cmp_gt_i16_e32 vcc, 27, v10
	s_mov_b64 s[4:5], -1
	s_cbranch_vccnz .LBB14_331
; %bb.326:
	v_cmp_lt_i16_e32 vcc, 27, v10
	s_cbranch_vccz .LBB14_328
; %bb.327:
	v_mov_b32_e32 v2, s52
	s_mov_b64 s[4:5], 0
	global_store_dword v[8:9], v2, off
.LBB14_328:
	s_andn2_b64 vcc, exec, s[4:5]
	s_cbranch_vccnz .LBB14_330
; %bb.329:
	v_mov_b32_e32 v2, s33
	global_store_short v[8:9], v2, off
.LBB14_330:
	s_mov_b64 s[4:5], 0
.LBB14_331:
	s_andn2_b64 vcc, exec, s[4:5]
	s_cbranch_vccnz .LBB14_336
; %bb.332:
	s_andn2_b64 vcc, exec, s[26:27]
	v_mov_b32_e32 v2, 0x80
	s_cbranch_vccnz .LBB14_335
; %bb.333:
	s_or_b64 s[4:5], s[2:3], s[28:29]
	s_andn2_b64 vcc, exec, s[4:5]
	v_mov_b32_e32 v2, 0
	s_cbranch_vccnz .LBB14_335
; %bb.334:
	v_mov_b32_e32 v2, s60
	v_cndmask_b32_e64 v2, v16, v2, s[2:3]
	v_or_b32_e32 v2, v2, v13
.LBB14_335:
	global_store_byte v[8:9], v2, off
.LBB14_336:
	s_mov_b64 s[48:49], 0
.LBB14_337:
	s_mov_b64 s[2:3], 0
	s_and_b64 vcc, exec, s[48:49]
	s_cbranch_vccz .LBB14_359
; %bb.338:
	v_cmp_lt_i16_e32 vcc, 22, v10
	s_mov_b64 s[4:5], -1
	s_cbranch_vccz .LBB14_351
; %bb.339:
	v_cmp_gt_i16_e32 vcc, 24, v10
	s_cbranch_vccnz .LBB14_348
; %bb.340:
	v_cmp_lt_i16_e32 vcc, 24, v10
	s_cbranch_vccz .LBB14_345
; %bb.341:
	s_andn2_b64 vcc, exec, s[22:23]
	v_mov_b32_e32 v2, 0x80
	s_cbranch_vccnz .LBB14_344
; %bb.342:
	s_or_b64 s[4:5], s[0:1], s[24:25]
	s_andn2_b64 vcc, exec, s[4:5]
	v_mov_b32_e32 v2, 0
	s_cbranch_vccnz .LBB14_344
; %bb.343:
	v_mov_b32_e32 v2, s58
	v_cndmask_b32_e64 v2, v15, v2, s[0:1]
	v_or_b32_e32 v2, v2, v13
.LBB14_344:
	s_mov_b64 s[4:5], 0
	global_store_byte v[8:9], v2, off
.LBB14_345:
	s_and_b64 vcc, exec, s[4:5]
	s_cbranch_vccz .LBB14_347
; %bb.346:
	s_and_b64 s[0:1], s[20:21], exec
	s_cselect_b32 s4, s57, s56
	s_and_b64 s[0:1], s[18:19], exec
	s_cselect_b32 s0, s59, s4
	v_or_b32_e32 v2, s0, v13
	global_store_byte v[8:9], v2, off
.LBB14_347:
	s_mov_b64 s[4:5], 0
.LBB14_348:
	s_andn2_b64 vcc, exec, s[4:5]
	s_cbranch_vccnz .LBB14_350
; %bb.349:
	s_and_b64 s[0:1], s[16:17], exec
	s_cselect_b32 s4, s54, s53
	s_and_b64 s[0:1], s[14:15], exec
	s_cselect_b32 s0, s55, s4
	v_or_b32_e32 v2, s0, v13
	global_store_byte v[8:9], v2, off
.LBB14_350:
	s_mov_b64 s[4:5], 0
.LBB14_351:
	s_andn2_b64 vcc, exec, s[4:5]
	s_mov_b64 s[0:1], 0
	s_cbranch_vccnz .LBB14_360
; %bb.352:
	v_cmp_lt_i16_e32 vcc, 14, v10
	s_mov_b64 s[4:5], -1
	s_cbranch_vccz .LBB14_356
; %bb.353:
	v_cmp_eq_u16_e32 vcc, 15, v10
	s_mov_b64 s[46:47], -1
	s_cbranch_vccz .LBB14_355
; %bb.354:
	global_store_short v[8:9], v14, off
	s_mov_b64 s[46:47], 0
.LBB14_355:
	s_mov_b64 s[4:5], 0
.LBB14_356:
	s_and_b64 vcc, exec, s[4:5]
	s_cbranch_vccz .LBB14_360
; %bb.357:
	v_cmp_ne_u16_e32 vcc, 11, v10
	s_andn2_b64 s[4:5], s[46:47], exec
	s_and_b64 s[14:15], vcc, exec
	s_mov_b64 s[0:1], -1
	s_or_b64 s[46:47], s[4:5], s[14:15]
	s_branch .LBB14_360
.LBB14_358:
	s_mov_b64 s[0:1], 0
	s_mov_b64 s[2:3], -1
	s_mov_b64 s[46:47], s[42:43]
	s_branch .LBB14_360
.LBB14_359:
	s_mov_b64 s[0:1], 0
.LBB14_360:
	s_and_b64 s[50:51], s[2:3], exec
	s_and_b64 s[48:49], s[0:1], exec
	s_andn2_b64 s[0:1], s[42:43], exec
	s_and_b64 s[2:3], s[46:47], exec
	s_or_b64 s[46:47], s[0:1], s[2:3]
.LBB14_361:
	s_or_b64 exec, exec, s[44:45]
	s_andn2_b64 s[0:1], s[42:43], exec
	s_and_b64 s[2:3], s[46:47], exec
	s_and_b64 s[50:51], s[50:51], exec
	;; [unrolled: 1-line block ×3, first 2 shown]
	s_or_b64 s[42:43], s[0:1], s[2:3]
.LBB14_362:
	s_or_b64 exec, exec, s[40:41]
	s_andn2_b64 s[0:1], s[36:37], exec
	s_and_b64 s[2:3], s[42:43], exec
	s_and_b64 s[40:41], s[50:51], exec
	;; [unrolled: 1-line block ×3, first 2 shown]
	s_or_b64 s[36:37], s[0:1], s[2:3]
.LBB14_363:
	s_or_b64 exec, exec, s[38:39]
	s_andn2_b64 s[0:1], s[30:31], exec
	s_and_b64 s[2:3], s[36:37], exec
	s_and_b64 s[40:41], s[40:41], exec
	;; [unrolled: 1-line block ×3, first 2 shown]
	s_or_b64 s[30:31], s[0:1], s[2:3]
	s_or_b64 exec, exec, s[34:35]
	s_mov_b64 s[0:1], 0
	s_and_saveexec_b64 s[2:3], s[30:31]
	s_cbranch_execz .LBB14_110
.LBB14_364:
	s_mov_b64 s[0:1], exec
	s_andn2_b64 s[38:39], s[38:39], exec
	s_trap 2
	s_or_b64 exec, exec, s[2:3]
	s_and_saveexec_b64 s[2:3], s[38:39]
	s_xor_b64 s[2:3], exec, s[2:3]
	s_cbranch_execnz .LBB14_111
.LBB14_365:
	s_or_b64 exec, exec, s[2:3]
	s_and_saveexec_b64 s[2:3], s[40:41]
	s_xor_b64 s[2:3], exec, s[2:3]
	s_cbranch_execz .LBB14_403
.LBB14_366:
	v_cmp_gt_i16_e32 vcc, 5, v10
	s_mov_b64 s[4:5], -1
	s_cbranch_vccnz .LBB14_387
; %bb.367:
	v_cmp_gt_i16_e32 vcc, 8, v10
	s_cbranch_vccnz .LBB14_377
; %bb.368:
	v_cmp_gt_i16_e32 vcc, 9, v10
	s_cbranch_vccnz .LBB14_374
; %bb.369:
	v_cmp_lt_i16_e32 vcc, 9, v10
	s_cbranch_vccz .LBB14_371
; %bb.370:
	v_mov_b32_e32 v2, 0
	v_mov_b32_e32 v3, v2
	s_mov_b64 s[4:5], 0
	global_store_dwordx4 v[8:9], v[0:3], off
.LBB14_371:
	s_andn2_b64 vcc, exec, s[4:5]
	s_cbranch_vccnz .LBB14_373
; %bb.372:
	v_mov_b32_e32 v7, 0
	global_store_dwordx2 v[8:9], v[6:7], off
.LBB14_373:
	s_mov_b64 s[4:5], 0
.LBB14_374:
	s_andn2_b64 vcc, exec, s[4:5]
	s_cbranch_vccnz .LBB14_376
; %bb.375:
	global_store_dword v[8:9], v11, off
.LBB14_376:
	s_mov_b64 s[4:5], 0
.LBB14_377:
	s_andn2_b64 vcc, exec, s[4:5]
	s_cbranch_vccnz .LBB14_386
; %bb.378:
	v_cmp_gt_i16_e32 vcc, 6, v10
	s_mov_b64 s[4:5], -1
	s_cbranch_vccnz .LBB14_384
; %bb.379:
	v_cmp_lt_i16_e32 vcc, 6, v10
	s_cbranch_vccz .LBB14_381
; %bb.380:
	s_mov_b64 s[4:5], 0
	global_store_dwordx2 v[8:9], v[0:1], off
.LBB14_381:
	s_andn2_b64 vcc, exec, s[4:5]
	s_cbranch_vccnz .LBB14_383
; %bb.382:
	global_store_dword v[8:9], v6, off
.LBB14_383:
	s_mov_b64 s[4:5], 0
.LBB14_384:
	s_andn2_b64 vcc, exec, s[4:5]
	s_cbranch_vccnz .LBB14_386
; %bb.385:
	global_store_short v[8:9], v11, off
.LBB14_386:
	s_mov_b64 s[4:5], 0
.LBB14_387:
	s_andn2_b64 vcc, exec, s[4:5]
	s_cbranch_vccnz .LBB14_403
; %bb.388:
	v_cmp_gt_i16_e32 vcc, 2, v10
	s_mov_b64 s[4:5], -1
	s_cbranch_vccnz .LBB14_398
; %bb.389:
	v_cmp_gt_i16_e32 vcc, 3, v10
	s_cbranch_vccnz .LBB14_395
; %bb.390:
	v_cmp_lt_i16_e32 vcc, 3, v10
	s_cbranch_vccz .LBB14_392
; %bb.391:
	s_mov_b64 s[4:5], 0
	global_store_dwordx2 v[8:9], v[4:5], off
.LBB14_392:
	s_andn2_b64 vcc, exec, s[4:5]
	s_cbranch_vccnz .LBB14_394
; %bb.393:
	v_mov_b32_e32 v0, s52
	global_store_dword v[8:9], v0, off
.LBB14_394:
	s_mov_b64 s[4:5], 0
.LBB14_395:
	s_andn2_b64 vcc, exec, s[4:5]
	s_cbranch_vccnz .LBB14_397
; %bb.396:
	v_mov_b32_e32 v0, s33
	global_store_short v[8:9], v0, off
.LBB14_397:
	s_mov_b64 s[4:5], 0
.LBB14_398:
	s_andn2_b64 vcc, exec, s[4:5]
	s_cbranch_vccnz .LBB14_403
; %bb.399:
	v_cmp_lt_i16_e32 vcc, 0, v10
	s_mov_b64 s[4:5], -1
	s_cbranch_vccz .LBB14_401
; %bb.400:
	v_mov_b32_e32 v0, s11
	s_mov_b64 s[4:5], 0
	global_store_byte v[8:9], v0, off
.LBB14_401:
	s_andn2_b64 vcc, exec, s[4:5]
	s_cbranch_vccnz .LBB14_403
; %bb.402:
	v_mov_b32_e32 v0, s11
	global_store_byte v[8:9], v0, off
.LBB14_403:
	s_or_b64 exec, exec, s[2:3]
	s_and_b64 s[2:3], s[0:1], exec
                                        ; implicit-def: $vgpr10
                                        ; implicit-def: $vgpr18
.LBB14_404:
	s_or_saveexec_b64 s[4:5], s[12:13]
	s_mov_b64 s[0:1], 0
                                        ; implicit-def: $vgpr0_vgpr1
	s_xor_b64 exec, exec, s[4:5]
	s_cbranch_execz .LBB14_433
; %bb.405:
	v_mul_lo_u32 v2, s10, v18
	v_ashrrev_i32_e32 v1, 31, v2
	v_mov_b32_e32 v3, s9
	v_add_co_u32_e32 v0, vcc, s8, v2
	v_addc_co_u32_e32 v1, vcc, v3, v1, vcc
	v_cmp_gt_i16_e64 s[0:1], 11, v10
	s_and_b64 vcc, exec, s[0:1]
	s_cbranch_vccnz .LBB14_436
; %bb.406:
	v_cmp_lt_i16_e32 vcc, 25, v10
	s_mov_b64 s[12:13], -1
	s_mov_b64 s[14:15], 0
	s_mov_b64 s[16:17], 0
	s_cbranch_vccz .LBB14_446
; %bb.407:
	v_cmp_lt_i16_e32 vcc, 28, v10
	s_cbranch_vccz .LBB14_422
; %bb.408:
	v_cmp_lt_i16_e32 vcc, 43, v10
	;; [unrolled: 3-line block ×3, first 2 shown]
	s_cbranch_vccz .LBB14_412
; %bb.410:
	v_cmp_eq_u16_e32 vcc, 46, v10
	s_mov_b64 s[6:7], -1
	s_mov_b64 s[12:13], 0
	s_cbranch_vccz .LBB14_412
; %bb.411:
	s_bfe_i32 s6, s11, 0x80000
	s_sext_i32_i16 s6, s6
	v_cvt_f32_i32_e32 v3, s6
	s_mov_b64 s[6:7], 0
	s_mov_b64 s[16:17], -1
	v_bfe_u32 v4, v3, 16, 1
	v_add_u32_e32 v3, v3, v4
	v_add_u32_e32 v3, 0x7fff, v3
	v_lshrrev_b32_e32 v3, 16, v3
	global_store_dword v[0:1], v3, off
.LBB14_412:
	s_and_b64 vcc, exec, s[12:13]
	s_cbranch_vccz .LBB14_417
; %bb.413:
	v_cmp_eq_u16_e32 vcc, 44, v10
	s_mov_b64 s[6:7], -1
	s_cbranch_vccz .LBB14_417
; %bb.414:
	s_bfe_i32 s6, s11, 0x80000
	s_sext_i32_i16 s6, s6
	v_cvt_f32_i32_e32 v3, s6
	v_mov_b32_e32 v4, 0xff
	v_readfirstlane_b32 s6, v3
	s_bfe_u32 s7, s6, 0x80017
	s_cmpk_eq_i32 s7, 0xff
	s_cbranch_scc1 .LBB14_416
; %bb.415:
	s_bitcmp1_b32 s6, 22
	s_cselect_b64 s[12:13], -1, 0
	s_and_b32 s6, s6, 0x3fffff
	s_or_b32 s6, s7, s6
	s_cmp_lg_u32 s6, 0
	s_cselect_b64 s[6:7], -1, 0
	s_and_b64 s[6:7], s[12:13], s[6:7]
	v_lshrrev_b32_e32 v3, 23, v3
	v_cndmask_b32_e64 v4, 0, 1, s[6:7]
	v_add_u32_e32 v4, v3, v4
.LBB14_416:
	s_mov_b64 s[6:7], 0
	s_mov_b64 s[16:17], -1
	global_store_byte v[0:1], v4, off
.LBB14_417:
	s_mov_b64 s[12:13], 0
.LBB14_418:
	s_and_b64 vcc, exec, s[12:13]
	s_cbranch_vccz .LBB14_421
; %bb.419:
	v_cmp_eq_u16_e32 vcc, 29, v10
	s_mov_b64 s[6:7], -1
	s_cbranch_vccz .LBB14_421
; %bb.420:
	v_mov_b32_e32 v4, s11
	v_bfe_i32 v4, v4, 0, 8
	v_ashrrev_i32_e32 v5, 31, v4
	global_store_dwordx2 v[0:1], v[4:5], off
	s_mov_b64 s[6:7], 0
	s_mov_b64 s[16:17], -1
.LBB14_421:
	s_mov_b64 s[12:13], 0
.LBB14_422:
	s_and_b64 vcc, exec, s[12:13]
	s_cbranch_vccz .LBB14_445
; %bb.423:
	v_cmp_gt_i16_e32 vcc, 27, v10
	s_mov_b64 s[12:13], -1
	s_cbranch_vccnz .LBB14_429
; %bb.424:
	v_cmp_lt_i16_e32 vcc, 27, v10
	s_cbranch_vccz .LBB14_426
; %bb.425:
	s_sext_i32_i8 s12, s11
	v_mov_b32_e32 v3, s12
	s_mov_b64 s[12:13], 0
	global_store_dword v[0:1], v3, off
.LBB14_426:
	s_andn2_b64 vcc, exec, s[12:13]
	s_cbranch_vccnz .LBB14_428
; %bb.427:
	s_bfe_i32 s12, s11, 0x80000
	v_mov_b32_e32 v3, s12
	global_store_short v[0:1], v3, off
.LBB14_428:
	s_mov_b64 s[12:13], 0
.LBB14_429:
	s_andn2_b64 vcc, exec, s[12:13]
	s_cbranch_vccnz .LBB14_444
; %bb.430:
	s_bfe_i32 s12, s11, 0x80000
	s_sext_i32_i16 s12, s12
	v_cvt_f32_i32_e32 v3, s12
	v_mov_b32_e32 v4, 0x80
	v_readfirstlane_b32 s18, v3
	s_and_b32 s12, s18, 0x7fffffff
	s_cmp_gt_u32 s12, 0x437fffff
	s_cbranch_scc1 .LBB14_443
; %bb.431:
	s_cmp_gt_u32 s12, 0x3bffffff
	s_cbranch_scc0 .LBB14_438
; %bb.432:
	s_bfe_u32 s12, s18, 0x10014
	s_add_i32 s12, s18, s12
	s_add_i32 s12, s12, 0x487ffff
	s_lshr_b32 s19, s12, 20
	s_mov_b64 s[16:17], 0
	s_mov_b64 s[12:13], -1
	s_branch .LBB14_439
.LBB14_433:
	s_or_b64 exec, exec, s[4:5]
	s_and_saveexec_b64 s[4:5], s[2:3]
	s_cbranch_execz .LBB14_834
.LBB14_434:
	; divergent unreachable
	s_or_b64 exec, exec, s[4:5]
	s_and_saveexec_b64 s[2:3], s[6:7]
	s_xor_b64 s[2:3], exec, s[2:3]
	s_cbranch_execnz .LBB14_835
.LBB14_435:
	s_or_b64 exec, exec, s[2:3]
	s_and_saveexec_b64 s[2:3], s[0:1]
	s_cbranch_execnz .LBB14_836
	s_branch .LBB14_873
.LBB14_436:
	s_mov_b64 s[16:17], 0
	s_mov_b64 s[12:13], s[2:3]
	s_cbranch_execnz .LBB14_496
.LBB14_437:
	s_andn2_b64 vcc, exec, s[16:17]
	s_cbranch_vccz .LBB14_534
	s_branch .LBB14_832
.LBB14_438:
	s_mov_b64 s[16:17], -1
	s_mov_b64 s[12:13], 0
                                        ; implicit-def: $sgpr19
.LBB14_439:
	s_andn2_b64 vcc, exec, s[16:17]
	v_mov_b32_e32 v3, s19
                                        ; implicit-def: $sgpr16
	s_cbranch_vccnz .LBB14_441
; %bb.440:
	v_mov_b32_e32 v3, 0x46000000
	v_add_f32_e64 v3, |s18|, v3
	v_and_b32_e32 v3, 0xff, v3
	s_mov_b32 s16, 0
	v_cmp_ne_u32_e64 s[12:13], 0, v3
.LBB14_441:
	s_andn2_b64 vcc, exec, s[12:13]
	v_mov_b32_e32 v4, s16
	s_cbranch_vccnz .LBB14_443
; %bb.442:
	s_lshr_b32 s12, s18, 24
	s_and_b32 s12, s12, 0x80
	v_or_b32_e32 v4, s12, v3
.LBB14_443:
	global_store_byte v[0:1], v4, off
.LBB14_444:
	s_mov_b64 s[16:17], -1
.LBB14_445:
	s_mov_b64 s[12:13], 0
.LBB14_446:
	s_and_b64 vcc, exec, s[12:13]
	s_cbranch_vccz .LBB14_492
; %bb.447:
	v_cmp_lt_i16_e32 vcc, 22, v10
	s_mov_b64 s[12:13], -1
	s_cbranch_vccz .LBB14_485
; %bb.448:
	v_cmp_gt_i16_e32 vcc, 24, v10
	s_cbranch_vccnz .LBB14_472
; %bb.449:
	v_cmp_lt_i16_e32 vcc, 24, v10
	s_cbranch_vccz .LBB14_459
; %bb.450:
	s_bfe_i32 s12, s11, 0x80000
	s_sext_i32_i16 s12, s12
	v_cvt_f32_i32_e32 v3, s12
	v_mov_b32_e32 v4, 0x80
	v_readfirstlane_b32 s16, v3
	s_and_b32 s12, s16, 0x7fffffff
	s_cmp_gt_u32 s12, 0x477fffff
	s_cbranch_scc1 .LBB14_458
; %bb.451:
	s_cmp_gt_u32 s12, 0x37ffffff
	s_cbranch_scc0 .LBB14_453
; %bb.452:
	s_bfe_u32 s12, s16, 0x10015
	s_add_i32 s12, s16, s12
	s_add_i32 s12, s12, 0x88fffff
	s_lshr_b32 s17, s12, 21
	s_mov_b64 s[12:13], -1
	s_branch .LBB14_454
.LBB14_453:
	s_mov_b64 s[14:15], -1
	s_mov_b64 s[12:13], 0
                                        ; implicit-def: $sgpr17
.LBB14_454:
	s_andn2_b64 vcc, exec, s[14:15]
	v_mov_b32_e32 v3, s17
                                        ; implicit-def: $sgpr14
	s_cbranch_vccnz .LBB14_456
; %bb.455:
	v_mov_b32_e32 v3, 0x42800000
	v_add_f32_e64 v3, |s16|, v3
	v_and_b32_e32 v3, 0xff, v3
	s_mov_b32 s14, 0
	v_cmp_ne_u32_e64 s[12:13], 0, v3
.LBB14_456:
	s_andn2_b64 vcc, exec, s[12:13]
	v_mov_b32_e32 v4, s14
	s_cbranch_vccnz .LBB14_458
; %bb.457:
	s_lshr_b32 s12, s16, 24
	s_and_b32 s12, s12, 0x80
	v_or_b32_e32 v4, s12, v3
.LBB14_458:
	s_mov_b64 s[12:13], 0
	global_store_byte v[0:1], v4, off
.LBB14_459:
	s_and_b64 vcc, exec, s[12:13]
	s_cbranch_vccz .LBB14_471
; %bb.460:
	s_bfe_i32 s12, s11, 0x80000
	s_sext_i32_i16 s12, s12
	v_cvt_f32_i32_e32 v3, s12
	v_readfirstlane_b32 s14, v3
	s_and_b32 s15, s14, 0x7fffffff
	s_cmp_lt_u32 s15, 0x43f00000
	s_cbranch_scc0 .LBB14_463
; %bb.461:
	s_cmp_gt_u32 s15, 0x3c7fffff
	s_cbranch_scc0 .LBB14_464
; %bb.462:
	s_bfe_u32 s12, s14, 0x10014
	s_add_i32 s12, s14, s12
	s_add_i32 s12, s12, 0x407ffff
	s_lshr_b32 s13, s12, 20
	s_and_b32 s12, s12, 0xff00000
	s_cmp_lg_u32 s12, 0x7f00000
	s_cselect_b32 s16, s13, 0x7e
	s_mov_b64 s[12:13], 0
	s_branch .LBB14_465
.LBB14_463:
	s_mov_b64 s[12:13], -1
                                        ; implicit-def: $vgpr4
	s_branch .LBB14_468
.LBB14_464:
	s_mov_b64 s[12:13], -1
                                        ; implicit-def: $sgpr16
.LBB14_465:
	s_andn2_b64 vcc, exec, s[12:13]
	v_mov_b32_e32 v4, s16
	s_cbranch_vccnz .LBB14_467
; %bb.466:
	s_mov_b32 s12, 0x46800000
	v_add_f32_e64 v4, |v3|, s12
.LBB14_467:
	s_mov_b64 s[12:13], 0
.LBB14_468:
	s_andn2_b64 vcc, exec, s[12:13]
	s_cbranch_vccnz .LBB14_470
; %bb.469:
	s_cmp_gt_u32 s15, 0x7f800000
	s_movk_i32 s12, 0x7f
	s_cselect_b32 s12, s12, 0x7e
	v_mov_b32_e32 v4, s12
.LBB14_470:
	s_lshr_b32 s12, s14, 24
	s_and_b32 s12, s12, 0x80
	v_or_b32_e32 v3, s12, v4
	global_store_byte v[0:1], v3, off
.LBB14_471:
	s_mov_b64 s[12:13], 0
.LBB14_472:
	s_andn2_b64 vcc, exec, s[12:13]
	s_cbranch_vccnz .LBB14_484
; %bb.473:
	s_bfe_i32 s12, s11, 0x80000
	s_sext_i32_i16 s12, s12
	v_cvt_f32_i32_e32 v3, s12
	v_readfirstlane_b32 s14, v3
	s_and_b32 s15, s14, 0x7fffffff
	s_cmp_lt_u32 s15, 0x47800000
	s_cbranch_scc0 .LBB14_476
; %bb.474:
	s_cmp_gt_u32 s15, 0x387fffff
	s_cbranch_scc0 .LBB14_477
; %bb.475:
	s_bfe_u32 s12, s14, 0x10015
	s_add_i32 s12, s14, s12
	s_add_i32 s12, s12, 0x80fffff
	s_lshr_b32 s16, s12, 21
	s_mov_b64 s[12:13], 0
	s_branch .LBB14_478
.LBB14_476:
	s_mov_b64 s[12:13], -1
                                        ; implicit-def: $vgpr4
	s_branch .LBB14_481
.LBB14_477:
	s_mov_b64 s[12:13], -1
                                        ; implicit-def: $sgpr16
.LBB14_478:
	s_andn2_b64 vcc, exec, s[12:13]
	v_mov_b32_e32 v4, s16
	s_cbranch_vccnz .LBB14_480
; %bb.479:
	s_mov_b32 s12, 0x43000000
	v_add_f32_e64 v4, |v3|, s12
.LBB14_480:
	s_mov_b64 s[12:13], 0
.LBB14_481:
	s_andn2_b64 vcc, exec, s[12:13]
	s_cbranch_vccnz .LBB14_483
; %bb.482:
	s_cmp_gt_u32 s15, 0x7f800000
	s_movk_i32 s12, 0x7f
	s_cselect_b32 s12, s12, 0x7c
	v_mov_b32_e32 v4, s12
.LBB14_483:
	s_lshr_b32 s12, s14, 24
	s_and_b32 s12, s12, 0x80
	v_or_b32_e32 v3, s12, v4
	global_store_byte v[0:1], v3, off
.LBB14_484:
	s_mov_b64 s[12:13], 0
	s_mov_b64 s[16:17], -1
.LBB14_485:
	s_andn2_b64 vcc, exec, s[12:13]
	s_mov_b64 s[14:15], 0
	s_cbranch_vccnz .LBB14_492
; %bb.486:
	v_cmp_lt_i16_e32 vcc, 14, v10
	s_mov_b64 s[12:13], -1
	s_cbranch_vccz .LBB14_490
; %bb.487:
	v_cmp_eq_u16_e32 vcc, 15, v10
	s_mov_b64 s[6:7], -1
	s_cbranch_vccz .LBB14_489
; %bb.488:
	s_bfe_i32 s6, s11, 0x80000
	s_sext_i32_i16 s6, s6
	v_cvt_f32_i32_e32 v3, s6
	s_mov_b64 s[6:7], 0
	s_mov_b64 s[16:17], -1
	v_bfe_u32 v4, v3, 16, 1
	v_add_u32_e32 v3, v3, v4
	v_add_u32_e32 v3, 0x7fff, v3
	global_store_short_d16_hi v[0:1], v3, off
.LBB14_489:
	s_mov_b64 s[12:13], 0
.LBB14_490:
	s_and_b64 vcc, exec, s[12:13]
	s_cbranch_vccz .LBB14_492
; %bb.491:
	v_cmp_ne_u16_e64 s[6:7], 11, v10
	s_mov_b64 s[14:15], -1
.LBB14_492:
	s_and_b64 vcc, exec, s[6:7]
	s_mov_b64 s[12:13], s[2:3]
	s_cbranch_vccnz .LBB14_564
; %bb.493:
	s_andn2_b64 vcc, exec, s[14:15]
	s_cbranch_vccnz .LBB14_495
.LBB14_494:
	v_mov_b32_e32 v3, 0
	v_cmp_ne_u16_sdwa s[6:7], s11, v3 src0_sel:BYTE_0 src1_sel:DWORD
	v_cndmask_b32_e64 v3, 0, 1, s[6:7]
	s_mov_b64 s[16:17], -1
	global_store_byte v[0:1], v3, off
.LBB14_495:
	s_branch .LBB14_437
.LBB14_496:
	v_cmp_gt_i16_e32 vcc, 5, v10
	s_mov_b64 s[6:7], -1
	s_cbranch_vccnz .LBB14_517
; %bb.497:
	v_cmp_gt_i16_e32 vcc, 8, v10
	s_cbranch_vccnz .LBB14_507
; %bb.498:
	v_cmp_gt_i16_e32 vcc, 9, v10
	s_cbranch_vccnz .LBB14_504
; %bb.499:
	v_cmp_lt_i16_e32 vcc, 9, v10
	s_cbranch_vccz .LBB14_501
; %bb.500:
	s_bfe_i32 s6, s11, 0x80000
	s_sext_i32_i16 s6, s6
	v_mov_b32_e32 v6, 0
	v_cvt_f64_i32_e32 v[4:5], s6
	v_mov_b32_e32 v7, v6
	global_store_dwordx4 v[0:1], v[4:7], off
	s_mov_b64 s[6:7], 0
.LBB14_501:
	s_andn2_b64 vcc, exec, s[6:7]
	s_cbranch_vccnz .LBB14_503
; %bb.502:
	s_bfe_i32 s6, s11, 0x80000
	s_sext_i32_i16 s6, s6
	v_cvt_f32_i32_e32 v4, s6
	v_mov_b32_e32 v5, 0
	global_store_dwordx2 v[0:1], v[4:5], off
.LBB14_503:
	s_mov_b64 s[6:7], 0
.LBB14_504:
	s_andn2_b64 vcc, exec, s[6:7]
	s_cbranch_vccnz .LBB14_506
; %bb.505:
	s_bfe_i32 s6, s11, 0x80000
	v_cvt_f16_i16_e32 v3, s6
	global_store_dword v[0:1], v3, off
.LBB14_506:
	s_mov_b64 s[6:7], 0
.LBB14_507:
	s_andn2_b64 vcc, exec, s[6:7]
	s_cbranch_vccnz .LBB14_516
; %bb.508:
	v_cmp_gt_i16_e32 vcc, 6, v10
	s_mov_b64 s[6:7], -1
	s_cbranch_vccnz .LBB14_514
; %bb.509:
	v_cmp_lt_i16_e32 vcc, 6, v10
	s_cbranch_vccz .LBB14_511
; %bb.510:
	s_bfe_i32 s6, s11, 0x80000
	s_sext_i32_i16 s6, s6
	v_cvt_f64_i32_e32 v[4:5], s6
	global_store_dwordx2 v[0:1], v[4:5], off
	s_mov_b64 s[6:7], 0
.LBB14_511:
	s_andn2_b64 vcc, exec, s[6:7]
	s_cbranch_vccnz .LBB14_513
; %bb.512:
	s_bfe_i32 s6, s11, 0x80000
	s_sext_i32_i16 s6, s6
	v_cvt_f32_i32_e32 v3, s6
	global_store_dword v[0:1], v3, off
.LBB14_513:
	s_mov_b64 s[6:7], 0
.LBB14_514:
	s_andn2_b64 vcc, exec, s[6:7]
	s_cbranch_vccnz .LBB14_516
; %bb.515:
	s_bfe_i32 s6, s11, 0x80000
	v_cvt_f16_i16_e32 v3, s6
	global_store_short v[0:1], v3, off
.LBB14_516:
	s_mov_b64 s[6:7], 0
.LBB14_517:
	s_andn2_b64 vcc, exec, s[6:7]
	s_cbranch_vccnz .LBB14_533
; %bb.518:
	v_cmp_gt_i16_e32 vcc, 2, v10
	s_mov_b64 s[6:7], -1
	s_cbranch_vccnz .LBB14_528
; %bb.519:
	v_cmp_gt_i16_e32 vcc, 3, v10
	s_cbranch_vccnz .LBB14_525
; %bb.520:
	v_cmp_lt_i16_e32 vcc, 3, v10
	s_cbranch_vccz .LBB14_522
; %bb.521:
	v_mov_b32_e32 v4, s11
	v_bfe_i32 v4, v4, 0, 8
	v_ashrrev_i32_e32 v5, 31, v4
	global_store_dwordx2 v[0:1], v[4:5], off
	s_mov_b64 s[6:7], 0
.LBB14_522:
	s_andn2_b64 vcc, exec, s[6:7]
	s_cbranch_vccnz .LBB14_524
; %bb.523:
	s_sext_i32_i8 s6, s11
	v_mov_b32_e32 v3, s6
	global_store_dword v[0:1], v3, off
.LBB14_524:
	s_mov_b64 s[6:7], 0
.LBB14_525:
	s_andn2_b64 vcc, exec, s[6:7]
	s_cbranch_vccnz .LBB14_527
; %bb.526:
	s_bfe_i32 s6, s11, 0x80000
	v_mov_b32_e32 v3, s6
	global_store_short v[0:1], v3, off
.LBB14_527:
	s_mov_b64 s[6:7], 0
.LBB14_528:
	s_andn2_b64 vcc, exec, s[6:7]
	s_cbranch_vccnz .LBB14_533
; %bb.529:
	v_cmp_lt_i16_e32 vcc, 0, v10
	s_mov_b64 s[6:7], -1
	s_cbranch_vccz .LBB14_531
; %bb.530:
	v_mov_b32_e32 v3, s11
	global_store_byte v[0:1], v3, off
	s_mov_b64 s[6:7], 0
.LBB14_531:
	s_andn2_b64 vcc, exec, s[6:7]
	s_cbranch_vccnz .LBB14_533
; %bb.532:
	v_mov_b32_e32 v3, s11
	global_store_byte v[0:1], v3, off
.LBB14_533:
.LBB14_534:
	s_lshl_b32 s10, s10, 7
	v_add_u32_e32 v2, s10, v2
	v_ashrrev_i32_e32 v1, 31, v2
	v_mov_b32_e32 v3, s9
	v_add_co_u32_e32 v0, vcc, s8, v2
	v_addc_co_u32_e32 v1, vcc, v3, v1, vcc
	s_and_b64 vcc, exec, s[0:1]
	s_cbranch_vccnz .LBB14_562
; %bb.535:
	v_cmp_lt_i16_e32 vcc, 25, v10
	s_mov_b64 s[18:19], -1
	s_mov_b64 s[14:15], 0
	s_mov_b64 s[16:17], 0
	;; [unrolled: 1-line block ×3, first 2 shown]
	s_cbranch_vccz .LBB14_573
; %bb.536:
	v_cmp_lt_i16_e32 vcc, 28, v10
	s_cbranch_vccz .LBB14_551
; %bb.537:
	v_cmp_lt_i16_e32 vcc, 43, v10
	;; [unrolled: 3-line block ×3, first 2 shown]
	s_cbranch_vccz .LBB14_541
; %bb.539:
	v_cmp_eq_u16_e32 vcc, 46, v10
	s_mov_b64 s[6:7], -1
	s_mov_b64 s[18:19], 0
	s_cbranch_vccz .LBB14_541
; %bb.540:
	s_bfe_i32 s6, s11, 0x80000
	s_sext_i32_i16 s6, s6
	v_cvt_f32_i32_e32 v3, s6
	s_mov_b64 s[6:7], 0
	s_mov_b64 s[16:17], -1
	v_bfe_u32 v4, v3, 16, 1
	v_add_u32_e32 v3, v3, v4
	v_add_u32_e32 v3, 0x7fff, v3
	v_lshrrev_b32_e32 v3, 16, v3
	global_store_dword v[0:1], v3, off
.LBB14_541:
	s_and_b64 vcc, exec, s[18:19]
	s_cbranch_vccz .LBB14_546
; %bb.542:
	v_cmp_eq_u16_e32 vcc, 44, v10
	s_mov_b64 s[6:7], -1
	s_cbranch_vccz .LBB14_546
; %bb.543:
	s_bfe_i32 s6, s11, 0x80000
	s_sext_i32_i16 s6, s6
	v_cvt_f32_i32_e32 v3, s6
	v_mov_b32_e32 v4, 0xff
	v_readfirstlane_b32 s6, v3
	s_bfe_u32 s7, s6, 0x80017
	s_cmpk_eq_i32 s7, 0xff
	s_cbranch_scc1 .LBB14_545
; %bb.544:
	s_bitcmp1_b32 s6, 22
	s_cselect_b64 s[16:17], -1, 0
	s_and_b32 s6, s6, 0x3fffff
	s_or_b32 s6, s7, s6
	s_cmp_lg_u32 s6, 0
	s_cselect_b64 s[6:7], -1, 0
	s_and_b64 s[6:7], s[16:17], s[6:7]
	v_lshrrev_b32_e32 v3, 23, v3
	v_cndmask_b32_e64 v4, 0, 1, s[6:7]
	v_add_u32_e32 v4, v3, v4
.LBB14_545:
	s_mov_b64 s[6:7], 0
	s_mov_b64 s[16:17], -1
	global_store_byte v[0:1], v4, off
.LBB14_546:
	s_mov_b64 s[18:19], 0
.LBB14_547:
	s_and_b64 vcc, exec, s[18:19]
	s_cbranch_vccz .LBB14_550
; %bb.548:
	v_cmp_eq_u16_e32 vcc, 29, v10
	s_mov_b64 s[6:7], -1
	s_cbranch_vccz .LBB14_550
; %bb.549:
	v_mov_b32_e32 v4, s11
	v_bfe_i32 v4, v4, 0, 8
	v_ashrrev_i32_e32 v5, 31, v4
	global_store_dwordx2 v[0:1], v[4:5], off
	s_mov_b64 s[6:7], 0
	s_mov_b64 s[16:17], -1
.LBB14_550:
	s_mov_b64 s[18:19], 0
.LBB14_551:
	s_and_b64 vcc, exec, s[18:19]
	s_cbranch_vccz .LBB14_572
; %bb.552:
	v_cmp_gt_i16_e32 vcc, 27, v10
	s_mov_b64 s[16:17], -1
	s_cbranch_vccnz .LBB14_558
; %bb.553:
	v_cmp_lt_i16_e32 vcc, 27, v10
	s_cbranch_vccz .LBB14_555
; %bb.554:
	s_sext_i32_i8 s16, s11
	v_mov_b32_e32 v3, s16
	s_mov_b64 s[16:17], 0
	global_store_dword v[0:1], v3, off
.LBB14_555:
	s_andn2_b64 vcc, exec, s[16:17]
	s_cbranch_vccnz .LBB14_557
; %bb.556:
	s_bfe_i32 s16, s11, 0x80000
	v_mov_b32_e32 v3, s16
	global_store_short v[0:1], v3, off
.LBB14_557:
	s_mov_b64 s[16:17], 0
.LBB14_558:
	s_andn2_b64 vcc, exec, s[16:17]
	s_cbranch_vccnz .LBB14_571
; %bb.559:
	s_bfe_i32 s16, s11, 0x80000
	s_sext_i32_i16 s16, s16
	v_cvt_f32_i32_e32 v3, s16
	v_mov_b32_e32 v4, 0x80
	v_readfirstlane_b32 s20, v3
	s_and_b32 s16, s20, 0x7fffffff
	s_cmp_gt_u32 s16, 0x437fffff
	s_cbranch_scc1 .LBB14_570
; %bb.560:
	s_cmp_gt_u32 s16, 0x3bffffff
	s_cbranch_scc0 .LBB14_565
; %bb.561:
	s_bfe_u32 s16, s20, 0x10014
	s_add_i32 s16, s20, s16
	s_add_i32 s16, s16, 0x487ffff
	s_lshr_b32 s21, s16, 20
	s_mov_b64 s[18:19], 0
	s_mov_b64 s[16:17], -1
	s_branch .LBB14_566
.LBB14_562:
	s_mov_b64 s[16:17], 0
	s_cbranch_execnz .LBB14_623
.LBB14_563:
	s_andn2_b64 vcc, exec, s[16:17]
	s_cbranch_vccz .LBB14_661
	s_branch .LBB14_832
.LBB14_564:
	s_or_b64 s[12:13], s[2:3], exec
	s_trap 2
	s_cbranch_execz .LBB14_494
	s_branch .LBB14_495
.LBB14_565:
	s_mov_b64 s[18:19], -1
	s_mov_b64 s[16:17], 0
                                        ; implicit-def: $sgpr21
.LBB14_566:
	s_andn2_b64 vcc, exec, s[18:19]
	v_mov_b32_e32 v3, s21
                                        ; implicit-def: $sgpr18
	s_cbranch_vccnz .LBB14_568
; %bb.567:
	v_mov_b32_e32 v3, 0x46000000
	v_add_f32_e64 v3, |s20|, v3
	v_and_b32_e32 v3, 0xff, v3
	s_mov_b32 s18, 0
	v_cmp_ne_u32_e64 s[16:17], 0, v3
.LBB14_568:
	s_andn2_b64 vcc, exec, s[16:17]
	v_mov_b32_e32 v4, s18
	s_cbranch_vccnz .LBB14_570
; %bb.569:
	s_lshr_b32 s16, s20, 24
	s_and_b32 s16, s16, 0x80
	v_or_b32_e32 v4, s16, v3
.LBB14_570:
	global_store_byte v[0:1], v4, off
.LBB14_571:
	s_mov_b64 s[16:17], -1
.LBB14_572:
	s_mov_b64 s[18:19], 0
.LBB14_573:
	s_and_b64 vcc, exec, s[18:19]
	s_cbranch_vccz .LBB14_619
; %bb.574:
	v_cmp_lt_i16_e32 vcc, 22, v10
	s_mov_b64 s[14:15], -1
	s_cbranch_vccz .LBB14_612
; %bb.575:
	v_cmp_gt_i16_e32 vcc, 24, v10
	s_cbranch_vccnz .LBB14_599
; %bb.576:
	v_cmp_lt_i16_e32 vcc, 24, v10
	s_cbranch_vccz .LBB14_586
; %bb.577:
	s_bfe_i32 s14, s11, 0x80000
	s_sext_i32_i16 s14, s14
	v_cvt_f32_i32_e32 v3, s14
	v_mov_b32_e32 v4, 0x80
	v_readfirstlane_b32 s18, v3
	s_and_b32 s14, s18, 0x7fffffff
	s_cmp_gt_u32 s14, 0x477fffff
	s_cbranch_scc1 .LBB14_585
; %bb.578:
	s_cmp_gt_u32 s14, 0x37ffffff
	s_cbranch_scc0 .LBB14_580
; %bb.579:
	s_bfe_u32 s14, s18, 0x10015
	s_add_i32 s14, s18, s14
	s_add_i32 s14, s14, 0x88fffff
	s_lshr_b32 s19, s14, 21
	s_mov_b64 s[16:17], 0
	s_mov_b64 s[14:15], -1
	s_branch .LBB14_581
.LBB14_580:
	s_mov_b64 s[16:17], -1
	s_mov_b64 s[14:15], 0
                                        ; implicit-def: $sgpr19
.LBB14_581:
	s_andn2_b64 vcc, exec, s[16:17]
	v_mov_b32_e32 v3, s19
                                        ; implicit-def: $sgpr16
	s_cbranch_vccnz .LBB14_583
; %bb.582:
	v_mov_b32_e32 v3, 0x42800000
	v_add_f32_e64 v3, |s18|, v3
	v_and_b32_e32 v3, 0xff, v3
	s_mov_b32 s16, 0
	v_cmp_ne_u32_e64 s[14:15], 0, v3
.LBB14_583:
	s_andn2_b64 vcc, exec, s[14:15]
	v_mov_b32_e32 v4, s16
	s_cbranch_vccnz .LBB14_585
; %bb.584:
	s_lshr_b32 s14, s18, 24
	s_and_b32 s14, s14, 0x80
	v_or_b32_e32 v4, s14, v3
.LBB14_585:
	s_mov_b64 s[14:15], 0
	global_store_byte v[0:1], v4, off
.LBB14_586:
	s_and_b64 vcc, exec, s[14:15]
	s_cbranch_vccz .LBB14_598
; %bb.587:
	s_bfe_i32 s14, s11, 0x80000
	s_sext_i32_i16 s14, s14
	v_cvt_f32_i32_e32 v3, s14
	v_readfirstlane_b32 s16, v3
	s_and_b32 s17, s16, 0x7fffffff
	s_cmp_lt_u32 s17, 0x43f00000
	s_cbranch_scc0 .LBB14_590
; %bb.588:
	s_cmp_gt_u32 s17, 0x3c7fffff
	s_cbranch_scc0 .LBB14_591
; %bb.589:
	s_bfe_u32 s14, s16, 0x10014
	s_add_i32 s14, s16, s14
	s_add_i32 s14, s14, 0x407ffff
	s_lshr_b32 s15, s14, 20
	s_and_b32 s14, s14, 0xff00000
	s_cmp_lg_u32 s14, 0x7f00000
	s_cselect_b32 s18, s15, 0x7e
	s_mov_b64 s[14:15], 0
	s_branch .LBB14_592
.LBB14_590:
	s_mov_b64 s[14:15], -1
                                        ; implicit-def: $vgpr4
	s_branch .LBB14_595
.LBB14_591:
	s_mov_b64 s[14:15], -1
                                        ; implicit-def: $sgpr18
.LBB14_592:
	s_andn2_b64 vcc, exec, s[14:15]
	v_mov_b32_e32 v4, s18
	s_cbranch_vccnz .LBB14_594
; %bb.593:
	s_mov_b32 s14, 0x46800000
	v_add_f32_e64 v4, |v3|, s14
.LBB14_594:
	s_mov_b64 s[14:15], 0
.LBB14_595:
	s_andn2_b64 vcc, exec, s[14:15]
	s_cbranch_vccnz .LBB14_597
; %bb.596:
	s_cmp_gt_u32 s17, 0x7f800000
	s_movk_i32 s14, 0x7f
	s_cselect_b32 s14, s14, 0x7e
	v_mov_b32_e32 v4, s14
.LBB14_597:
	s_lshr_b32 s14, s16, 24
	s_and_b32 s14, s14, 0x80
	v_or_b32_e32 v3, s14, v4
	global_store_byte v[0:1], v3, off
.LBB14_598:
	s_mov_b64 s[14:15], 0
.LBB14_599:
	s_andn2_b64 vcc, exec, s[14:15]
	s_cbranch_vccnz .LBB14_611
; %bb.600:
	s_bfe_i32 s14, s11, 0x80000
	s_sext_i32_i16 s14, s14
	v_cvt_f32_i32_e32 v3, s14
	v_readfirstlane_b32 s16, v3
	s_and_b32 s17, s16, 0x7fffffff
	s_cmp_lt_u32 s17, 0x47800000
	s_cbranch_scc0 .LBB14_603
; %bb.601:
	s_cmp_gt_u32 s17, 0x387fffff
	s_cbranch_scc0 .LBB14_604
; %bb.602:
	s_bfe_u32 s14, s16, 0x10015
	s_add_i32 s14, s16, s14
	s_add_i32 s14, s14, 0x80fffff
	s_lshr_b32 s18, s14, 21
	s_mov_b64 s[14:15], 0
	s_branch .LBB14_605
.LBB14_603:
	s_mov_b64 s[14:15], -1
                                        ; implicit-def: $vgpr4
	s_branch .LBB14_608
.LBB14_604:
	s_mov_b64 s[14:15], -1
                                        ; implicit-def: $sgpr18
.LBB14_605:
	s_andn2_b64 vcc, exec, s[14:15]
	v_mov_b32_e32 v4, s18
	s_cbranch_vccnz .LBB14_607
; %bb.606:
	s_mov_b32 s14, 0x43000000
	v_add_f32_e64 v4, |v3|, s14
.LBB14_607:
	s_mov_b64 s[14:15], 0
.LBB14_608:
	s_andn2_b64 vcc, exec, s[14:15]
	s_cbranch_vccnz .LBB14_610
; %bb.609:
	s_cmp_gt_u32 s17, 0x7f800000
	s_movk_i32 s14, 0x7f
	s_cselect_b32 s14, s14, 0x7c
	v_mov_b32_e32 v4, s14
.LBB14_610:
	s_lshr_b32 s14, s16, 24
	s_and_b32 s14, s14, 0x80
	v_or_b32_e32 v3, s14, v4
	global_store_byte v[0:1], v3, off
.LBB14_611:
	s_mov_b64 s[14:15], 0
	s_mov_b64 s[16:17], -1
.LBB14_612:
	s_andn2_b64 vcc, exec, s[14:15]
	s_mov_b64 s[14:15], 0
	s_cbranch_vccnz .LBB14_619
; %bb.613:
	v_cmp_lt_i16_e32 vcc, 14, v10
	s_mov_b64 s[18:19], -1
	s_cbranch_vccz .LBB14_617
; %bb.614:
	v_cmp_eq_u16_e32 vcc, 15, v10
	s_mov_b64 s[6:7], -1
	s_cbranch_vccz .LBB14_616
; %bb.615:
	s_bfe_i32 s6, s11, 0x80000
	s_sext_i32_i16 s6, s6
	v_cvt_f32_i32_e32 v3, s6
	s_mov_b64 s[6:7], 0
	s_mov_b64 s[16:17], -1
	v_bfe_u32 v4, v3, 16, 1
	v_add_u32_e32 v3, v3, v4
	v_add_u32_e32 v3, 0x7fff, v3
	global_store_short_d16_hi v[0:1], v3, off
.LBB14_616:
	s_mov_b64 s[18:19], 0
.LBB14_617:
	s_and_b64 vcc, exec, s[18:19]
	s_cbranch_vccz .LBB14_619
; %bb.618:
	v_cmp_ne_u16_e64 s[6:7], 11, v10
	s_mov_b64 s[14:15], -1
.LBB14_619:
	s_and_b64 vcc, exec, s[6:7]
	s_cbranch_vccnz .LBB14_721
; %bb.620:
	s_andn2_b64 vcc, exec, s[14:15]
	s_cbranch_vccnz .LBB14_622
.LBB14_621:
	v_mov_b32_e32 v3, 0
	v_cmp_ne_u16_sdwa s[6:7], s11, v3 src0_sel:BYTE_0 src1_sel:DWORD
	v_cndmask_b32_e64 v3, 0, 1, s[6:7]
	s_mov_b64 s[16:17], -1
	global_store_byte v[0:1], v3, off
.LBB14_622:
	s_branch .LBB14_563
.LBB14_623:
	v_cmp_gt_i16_e32 vcc, 5, v10
	s_mov_b64 s[6:7], -1
	s_cbranch_vccnz .LBB14_644
; %bb.624:
	v_cmp_gt_i16_e32 vcc, 8, v10
	s_cbranch_vccnz .LBB14_634
; %bb.625:
	v_cmp_gt_i16_e32 vcc, 9, v10
	s_cbranch_vccnz .LBB14_631
; %bb.626:
	v_cmp_lt_i16_e32 vcc, 9, v10
	s_cbranch_vccz .LBB14_628
; %bb.627:
	s_bfe_i32 s6, s11, 0x80000
	s_sext_i32_i16 s6, s6
	v_mov_b32_e32 v6, 0
	v_cvt_f64_i32_e32 v[4:5], s6
	v_mov_b32_e32 v7, v6
	global_store_dwordx4 v[0:1], v[4:7], off
	s_mov_b64 s[6:7], 0
.LBB14_628:
	s_andn2_b64 vcc, exec, s[6:7]
	s_cbranch_vccnz .LBB14_630
; %bb.629:
	s_bfe_i32 s6, s11, 0x80000
	s_sext_i32_i16 s6, s6
	v_cvt_f32_i32_e32 v4, s6
	v_mov_b32_e32 v5, 0
	global_store_dwordx2 v[0:1], v[4:5], off
.LBB14_630:
	s_mov_b64 s[6:7], 0
.LBB14_631:
	s_andn2_b64 vcc, exec, s[6:7]
	s_cbranch_vccnz .LBB14_633
; %bb.632:
	s_bfe_i32 s6, s11, 0x80000
	v_cvt_f16_i16_e32 v3, s6
	global_store_dword v[0:1], v3, off
.LBB14_633:
	s_mov_b64 s[6:7], 0
.LBB14_634:
	s_andn2_b64 vcc, exec, s[6:7]
	s_cbranch_vccnz .LBB14_643
; %bb.635:
	v_cmp_gt_i16_e32 vcc, 6, v10
	s_mov_b64 s[6:7], -1
	s_cbranch_vccnz .LBB14_641
; %bb.636:
	v_cmp_lt_i16_e32 vcc, 6, v10
	s_cbranch_vccz .LBB14_638
; %bb.637:
	s_bfe_i32 s6, s11, 0x80000
	s_sext_i32_i16 s6, s6
	v_cvt_f64_i32_e32 v[4:5], s6
	global_store_dwordx2 v[0:1], v[4:5], off
	s_mov_b64 s[6:7], 0
.LBB14_638:
	s_andn2_b64 vcc, exec, s[6:7]
	s_cbranch_vccnz .LBB14_640
; %bb.639:
	s_bfe_i32 s6, s11, 0x80000
	s_sext_i32_i16 s6, s6
	v_cvt_f32_i32_e32 v3, s6
	global_store_dword v[0:1], v3, off
.LBB14_640:
	s_mov_b64 s[6:7], 0
.LBB14_641:
	s_andn2_b64 vcc, exec, s[6:7]
	s_cbranch_vccnz .LBB14_643
; %bb.642:
	s_bfe_i32 s6, s11, 0x80000
	v_cvt_f16_i16_e32 v3, s6
	global_store_short v[0:1], v3, off
.LBB14_643:
	s_mov_b64 s[6:7], 0
.LBB14_644:
	s_andn2_b64 vcc, exec, s[6:7]
	s_cbranch_vccnz .LBB14_660
; %bb.645:
	v_cmp_gt_i16_e32 vcc, 2, v10
	s_mov_b64 s[6:7], -1
	s_cbranch_vccnz .LBB14_655
; %bb.646:
	v_cmp_gt_i16_e32 vcc, 3, v10
	s_cbranch_vccnz .LBB14_652
; %bb.647:
	v_cmp_lt_i16_e32 vcc, 3, v10
	s_cbranch_vccz .LBB14_649
; %bb.648:
	v_mov_b32_e32 v4, s11
	v_bfe_i32 v4, v4, 0, 8
	v_ashrrev_i32_e32 v5, 31, v4
	global_store_dwordx2 v[0:1], v[4:5], off
	s_mov_b64 s[6:7], 0
.LBB14_649:
	s_andn2_b64 vcc, exec, s[6:7]
	s_cbranch_vccnz .LBB14_651
; %bb.650:
	s_sext_i32_i8 s6, s11
	v_mov_b32_e32 v3, s6
	global_store_dword v[0:1], v3, off
.LBB14_651:
	s_mov_b64 s[6:7], 0
.LBB14_652:
	s_andn2_b64 vcc, exec, s[6:7]
	s_cbranch_vccnz .LBB14_654
; %bb.653:
	s_bfe_i32 s6, s11, 0x80000
	v_mov_b32_e32 v3, s6
	global_store_short v[0:1], v3, off
.LBB14_654:
	s_mov_b64 s[6:7], 0
.LBB14_655:
	s_andn2_b64 vcc, exec, s[6:7]
	s_cbranch_vccnz .LBB14_660
; %bb.656:
	v_cmp_lt_i16_e32 vcc, 0, v10
	s_mov_b64 s[6:7], -1
	s_cbranch_vccz .LBB14_658
; %bb.657:
	v_mov_b32_e32 v3, s11
	global_store_byte v[0:1], v3, off
	s_mov_b64 s[6:7], 0
.LBB14_658:
	s_andn2_b64 vcc, exec, s[6:7]
	s_cbranch_vccnz .LBB14_660
; %bb.659:
	v_mov_b32_e32 v3, s11
	global_store_byte v[0:1], v3, off
.LBB14_660:
.LBB14_661:
	v_add_u32_e32 v2, s10, v2
	v_ashrrev_i32_e32 v1, 31, v2
	v_mov_b32_e32 v3, s9
	v_add_co_u32_e32 v0, vcc, s8, v2
	v_addc_co_u32_e32 v1, vcc, v3, v1, vcc
	s_and_b64 vcc, exec, s[0:1]
	s_cbranch_vccnz .LBB14_689
; %bb.662:
	v_cmp_lt_i16_e32 vcc, 25, v10
	s_mov_b64 s[18:19], -1
	s_mov_b64 s[14:15], 0
	s_mov_b64 s[16:17], 0
	;; [unrolled: 1-line block ×3, first 2 shown]
	s_cbranch_vccz .LBB14_730
; %bb.663:
	v_cmp_lt_i16_e32 vcc, 28, v10
	s_cbranch_vccz .LBB14_678
; %bb.664:
	v_cmp_lt_i16_e32 vcc, 43, v10
	;; [unrolled: 3-line block ×3, first 2 shown]
	s_cbranch_vccz .LBB14_668
; %bb.666:
	v_cmp_eq_u16_e32 vcc, 46, v10
	s_mov_b64 s[6:7], -1
	s_mov_b64 s[18:19], 0
	s_cbranch_vccz .LBB14_668
; %bb.667:
	s_bfe_i32 s6, s11, 0x80000
	s_sext_i32_i16 s6, s6
	v_cvt_f32_i32_e32 v3, s6
	s_mov_b64 s[6:7], 0
	s_mov_b64 s[16:17], -1
	v_bfe_u32 v4, v3, 16, 1
	v_add_u32_e32 v3, v3, v4
	v_add_u32_e32 v3, 0x7fff, v3
	v_lshrrev_b32_e32 v3, 16, v3
	global_store_dword v[0:1], v3, off
.LBB14_668:
	s_and_b64 vcc, exec, s[18:19]
	s_cbranch_vccz .LBB14_673
; %bb.669:
	v_cmp_eq_u16_e32 vcc, 44, v10
	s_mov_b64 s[6:7], -1
	s_cbranch_vccz .LBB14_673
; %bb.670:
	s_bfe_i32 s6, s11, 0x80000
	s_sext_i32_i16 s6, s6
	v_cvt_f32_i32_e32 v3, s6
	v_mov_b32_e32 v4, 0xff
	v_readfirstlane_b32 s6, v3
	s_bfe_u32 s7, s6, 0x80017
	s_cmpk_eq_i32 s7, 0xff
	s_cbranch_scc1 .LBB14_672
; %bb.671:
	s_bitcmp1_b32 s6, 22
	s_cselect_b64 s[16:17], -1, 0
	s_and_b32 s6, s6, 0x3fffff
	s_or_b32 s6, s7, s6
	s_cmp_lg_u32 s6, 0
	s_cselect_b64 s[6:7], -1, 0
	s_and_b64 s[6:7], s[16:17], s[6:7]
	v_lshrrev_b32_e32 v3, 23, v3
	v_cndmask_b32_e64 v4, 0, 1, s[6:7]
	v_add_u32_e32 v4, v3, v4
.LBB14_672:
	s_mov_b64 s[6:7], 0
	s_mov_b64 s[16:17], -1
	global_store_byte v[0:1], v4, off
.LBB14_673:
	s_mov_b64 s[18:19], 0
.LBB14_674:
	s_and_b64 vcc, exec, s[18:19]
	s_cbranch_vccz .LBB14_677
; %bb.675:
	v_cmp_eq_u16_e32 vcc, 29, v10
	s_mov_b64 s[6:7], -1
	s_cbranch_vccz .LBB14_677
; %bb.676:
	v_mov_b32_e32 v4, s11
	v_bfe_i32 v4, v4, 0, 8
	v_ashrrev_i32_e32 v5, 31, v4
	global_store_dwordx2 v[0:1], v[4:5], off
	s_mov_b64 s[6:7], 0
	s_mov_b64 s[16:17], -1
.LBB14_677:
	s_mov_b64 s[18:19], 0
.LBB14_678:
	s_and_b64 vcc, exec, s[18:19]
	s_cbranch_vccz .LBB14_729
; %bb.679:
	v_cmp_gt_i16_e32 vcc, 27, v10
	s_mov_b64 s[16:17], -1
	s_cbranch_vccnz .LBB14_685
; %bb.680:
	v_cmp_lt_i16_e32 vcc, 27, v10
	s_cbranch_vccz .LBB14_682
; %bb.681:
	s_sext_i32_i8 s16, s11
	v_mov_b32_e32 v3, s16
	s_mov_b64 s[16:17], 0
	global_store_dword v[0:1], v3, off
.LBB14_682:
	s_andn2_b64 vcc, exec, s[16:17]
	s_cbranch_vccnz .LBB14_684
; %bb.683:
	s_bfe_i32 s16, s11, 0x80000
	v_mov_b32_e32 v3, s16
	global_store_short v[0:1], v3, off
.LBB14_684:
	s_mov_b64 s[16:17], 0
.LBB14_685:
	s_andn2_b64 vcc, exec, s[16:17]
	s_cbranch_vccnz .LBB14_728
; %bb.686:
	s_bfe_i32 s16, s11, 0x80000
	s_sext_i32_i16 s16, s16
	v_cvt_f32_i32_e32 v3, s16
	v_mov_b32_e32 v4, 0x80
	v_readfirstlane_b32 s20, v3
	s_and_b32 s16, s20, 0x7fffffff
	s_cmp_gt_u32 s16, 0x437fffff
	s_cbranch_scc1 .LBB14_727
; %bb.687:
	s_cmp_gt_u32 s16, 0x3bffffff
	s_cbranch_scc0 .LBB14_722
; %bb.688:
	s_bfe_u32 s16, s20, 0x10014
	s_add_i32 s16, s20, s16
	s_add_i32 s16, s16, 0x487ffff
	s_lshr_b32 s21, s16, 20
	s_mov_b64 s[18:19], 0
	s_mov_b64 s[16:17], -1
	s_branch .LBB14_723
.LBB14_689:
	s_mov_b64 s[16:17], 0
	s_cbranch_execnz .LBB14_794
.LBB14_690:
	s_andn2_b64 vcc, exec, s[16:17]
	s_cbranch_vccnz .LBB14_832
.LBB14_691:
	v_add_u32_e32 v0, s10, v2
	v_ashrrev_i32_e32 v1, 31, v0
	v_mov_b32_e32 v2, s9
	v_add_co_u32_e32 v0, vcc, s8, v0
	v_addc_co_u32_e32 v1, vcc, v2, v1, vcc
	s_and_b64 vcc, exec, s[0:1]
	s_cbranch_vccnz .LBB14_720
; %bb.692:
	v_cmp_lt_i16_e32 vcc, 25, v10
	s_mov_b64 s[8:9], -1
	s_mov_b64 s[6:7], 0
	s_mov_b64 s[0:1], 0
	s_cbranch_vccz .LBB14_744
; %bb.693:
	v_cmp_lt_i16_e32 vcc, 28, v10
	s_cbranch_vccz .LBB14_709
; %bb.694:
	v_cmp_lt_i16_e32 vcc, 43, v10
	;; [unrolled: 3-line block ×3, first 2 shown]
	s_cbranch_vccz .LBB14_699
; %bb.696:
	v_cmp_eq_u16_e32 vcc, 46, v10
	s_mov_b64 s[0:1], -1
	s_cbranch_vccz .LBB14_698
; %bb.697:
	s_bfe_i32 s0, s11, 0x80000
	s_sext_i32_i16 s0, s0
	v_cvt_f32_i32_e32 v2, s0
	s_mov_b64 s[0:1], 0
	v_bfe_u32 v3, v2, 16, 1
	v_add_u32_e32 v2, v2, v3
	v_add_u32_e32 v2, 0x7fff, v2
	v_lshrrev_b32_e32 v2, 16, v2
	global_store_dword v[0:1], v2, off
.LBB14_698:
	s_mov_b64 s[8:9], 0
.LBB14_699:
	s_and_b64 vcc, exec, s[8:9]
	s_cbranch_vccz .LBB14_704
; %bb.700:
	v_cmp_eq_u16_e32 vcc, 44, v10
	s_mov_b64 s[0:1], -1
	s_cbranch_vccz .LBB14_704
; %bb.701:
	s_bfe_i32 s0, s11, 0x80000
	s_sext_i32_i16 s0, s0
	v_cvt_f32_i32_e32 v2, s0
	v_mov_b32_e32 v3, 0xff
	v_readfirstlane_b32 s0, v2
	s_bfe_u32 s1, s0, 0x80017
	s_cmpk_eq_i32 s1, 0xff
	s_cbranch_scc1 .LBB14_703
; %bb.702:
	s_bitcmp1_b32 s0, 22
	s_cselect_b64 s[8:9], -1, 0
	s_and_b32 s0, s0, 0x3fffff
	s_or_b32 s0, s1, s0
	s_cmp_lg_u32 s0, 0
	s_cselect_b64 s[0:1], -1, 0
	s_and_b64 s[0:1], s[8:9], s[0:1]
	v_lshrrev_b32_e32 v2, 23, v2
	v_cndmask_b32_e64 v3, 0, 1, s[0:1]
	v_add_u32_e32 v3, v2, v3
.LBB14_703:
	s_mov_b64 s[0:1], 0
	global_store_byte v[0:1], v3, off
.LBB14_704:
	s_mov_b64 s[8:9], 0
.LBB14_705:
	s_and_b64 vcc, exec, s[8:9]
	s_cbranch_vccz .LBB14_708
; %bb.706:
	v_cmp_eq_u16_e32 vcc, 29, v10
	s_mov_b64 s[0:1], -1
	s_cbranch_vccz .LBB14_708
; %bb.707:
	v_mov_b32_e32 v2, s11
	v_bfe_i32 v2, v2, 0, 8
	v_ashrrev_i32_e32 v3, 31, v2
	global_store_dwordx2 v[0:1], v[2:3], off
	s_mov_b64 s[0:1], 0
.LBB14_708:
	s_mov_b64 s[8:9], 0
.LBB14_709:
	s_and_b64 vcc, exec, s[8:9]
	s_cbranch_vccz .LBB14_743
; %bb.710:
	v_cmp_gt_i16_e32 vcc, 27, v10
	s_mov_b64 s[8:9], -1
	s_cbranch_vccnz .LBB14_716
; %bb.711:
	v_cmp_lt_i16_e32 vcc, 27, v10
	s_cbranch_vccz .LBB14_713
; %bb.712:
	s_sext_i32_i8 s8, s11
	v_mov_b32_e32 v2, s8
	global_store_dword v[0:1], v2, off
	s_mov_b64 s[8:9], 0
.LBB14_713:
	s_andn2_b64 vcc, exec, s[8:9]
	s_cbranch_vccnz .LBB14_715
; %bb.714:
	s_bfe_i32 s8, s11, 0x80000
	v_mov_b32_e32 v2, s8
	global_store_short v[0:1], v2, off
.LBB14_715:
	s_mov_b64 s[8:9], 0
.LBB14_716:
	s_andn2_b64 vcc, exec, s[8:9]
	s_cbranch_vccnz .LBB14_743
; %bb.717:
	s_bfe_i32 s8, s11, 0x80000
	s_sext_i32_i16 s8, s8
	v_cvt_f32_i32_e32 v2, s8
	v_mov_b32_e32 v3, 0x80
	v_readfirstlane_b32 s10, v2
	s_and_b32 s8, s10, 0x7fffffff
	s_cmp_gt_u32 s8, 0x437fffff
	s_cbranch_scc1 .LBB14_742
; %bb.718:
	s_cmp_gt_u32 s8, 0x3bffffff
	s_cbranch_scc0 .LBB14_737
; %bb.719:
	s_bfe_u32 s8, s10, 0x10014
	s_add_i32 s8, s10, s8
	s_add_i32 s8, s8, 0x487ffff
	s_lshr_b32 s16, s8, 20
	s_mov_b64 s[14:15], 0
	s_mov_b64 s[8:9], -1
	s_branch .LBB14_738
.LBB14_720:
	s_mov_b64 s[6:7], 0
	s_mov_b64 s[0:1], -1
	s_branch .LBB14_833
.LBB14_721:
	s_trap 2
	s_or_b64 s[12:13], s[12:13], exec
	s_cbranch_execz .LBB14_621
	s_branch .LBB14_622
.LBB14_722:
	s_mov_b64 s[18:19], -1
	s_mov_b64 s[16:17], 0
                                        ; implicit-def: $sgpr21
.LBB14_723:
	s_andn2_b64 vcc, exec, s[18:19]
	v_mov_b32_e32 v3, s21
                                        ; implicit-def: $sgpr18
	s_cbranch_vccnz .LBB14_725
; %bb.724:
	v_mov_b32_e32 v3, 0x46000000
	v_add_f32_e64 v3, |s20|, v3
	v_and_b32_e32 v3, 0xff, v3
	s_mov_b32 s18, 0
	v_cmp_ne_u32_e64 s[16:17], 0, v3
.LBB14_725:
	s_andn2_b64 vcc, exec, s[16:17]
	v_mov_b32_e32 v4, s18
	s_cbranch_vccnz .LBB14_727
; %bb.726:
	s_lshr_b32 s16, s20, 24
	s_and_b32 s16, s16, 0x80
	v_or_b32_e32 v4, s16, v3
.LBB14_727:
	global_store_byte v[0:1], v4, off
.LBB14_728:
	s_mov_b64 s[16:17], -1
.LBB14_729:
	s_mov_b64 s[18:19], 0
.LBB14_730:
	s_and_b64 vcc, exec, s[18:19]
	s_cbranch_vccz .LBB14_790
; %bb.731:
	v_cmp_lt_i16_e32 vcc, 22, v10
	s_mov_b64 s[14:15], -1
	s_cbranch_vccz .LBB14_783
; %bb.732:
	v_cmp_gt_i16_e32 vcc, 24, v10
	s_cbranch_vccnz .LBB14_770
; %bb.733:
	v_cmp_lt_i16_e32 vcc, 24, v10
	s_cbranch_vccz .LBB14_757
; %bb.734:
	s_bfe_i32 s14, s11, 0x80000
	s_sext_i32_i16 s14, s14
	v_cvt_f32_i32_e32 v3, s14
	v_mov_b32_e32 v4, 0x80
	v_readfirstlane_b32 s18, v3
	s_and_b32 s14, s18, 0x7fffffff
	s_cmp_gt_u32 s14, 0x477fffff
	s_cbranch_scc1 .LBB14_756
; %bb.735:
	s_cmp_gt_u32 s14, 0x37ffffff
	s_cbranch_scc0 .LBB14_751
; %bb.736:
	s_bfe_u32 s14, s18, 0x10015
	s_add_i32 s14, s18, s14
	s_add_i32 s14, s14, 0x88fffff
	s_lshr_b32 s19, s14, 21
	s_mov_b64 s[16:17], 0
	s_mov_b64 s[14:15], -1
	s_branch .LBB14_752
.LBB14_737:
	s_mov_b64 s[14:15], -1
	s_mov_b64 s[8:9], 0
                                        ; implicit-def: $sgpr16
.LBB14_738:
	s_andn2_b64 vcc, exec, s[14:15]
	v_mov_b32_e32 v2, s16
                                        ; implicit-def: $sgpr14
	s_cbranch_vccnz .LBB14_740
; %bb.739:
	v_mov_b32_e32 v2, 0x46000000
	v_add_f32_e64 v2, |s10|, v2
	v_and_b32_e32 v2, 0xff, v2
	s_mov_b32 s14, 0
	v_cmp_ne_u32_e64 s[8:9], 0, v2
.LBB14_740:
	s_andn2_b64 vcc, exec, s[8:9]
	v_mov_b32_e32 v3, s14
	s_cbranch_vccnz .LBB14_742
; %bb.741:
	s_lshr_b32 s8, s10, 24
	s_and_b32 s8, s8, 0x80
	v_or_b32_e32 v3, s8, v2
.LBB14_742:
	global_store_byte v[0:1], v3, off
.LBB14_743:
	s_mov_b64 s[8:9], 0
.LBB14_744:
	s_and_b64 vcc, exec, s[8:9]
	s_cbranch_vccz .LBB14_914
; %bb.745:
	v_cmp_lt_i16_e32 vcc, 22, v10
	s_mov_b64 s[6:7], -1
	s_cbranch_vccz .LBB14_907
; %bb.746:
	v_cmp_gt_i16_e32 vcc, 24, v10
	s_cbranch_vccnz .LBB14_894
; %bb.747:
	v_cmp_lt_i16_e32 vcc, 24, v10
	s_cbranch_vccz .LBB14_881
; %bb.748:
	s_bfe_i32 s6, s11, 0x80000
	s_sext_i32_i16 s6, s6
	v_cvt_f32_i32_e32 v2, s6
	v_mov_b32_e32 v3, 0x80
	v_readfirstlane_b32 s10, v2
	s_and_b32 s6, s10, 0x7fffffff
	s_cmp_gt_u32 s6, 0x477fffff
	s_cbranch_scc1 .LBB14_880
; %bb.749:
	s_cmp_gt_u32 s6, 0x37ffffff
	s_cbranch_scc0 .LBB14_875
; %bb.750:
	s_bfe_u32 s6, s10, 0x10015
	s_add_i32 s6, s10, s6
	s_add_i32 s6, s6, 0x88fffff
	s_lshr_b32 s14, s6, 21
	s_mov_b64 s[8:9], 0
	s_mov_b64 s[6:7], -1
	s_branch .LBB14_876
.LBB14_751:
	s_mov_b64 s[16:17], -1
	s_mov_b64 s[14:15], 0
                                        ; implicit-def: $sgpr19
.LBB14_752:
	s_andn2_b64 vcc, exec, s[16:17]
	v_mov_b32_e32 v3, s19
                                        ; implicit-def: $sgpr16
	s_cbranch_vccnz .LBB14_754
; %bb.753:
	v_mov_b32_e32 v3, 0x42800000
	v_add_f32_e64 v3, |s18|, v3
	v_and_b32_e32 v3, 0xff, v3
	s_mov_b32 s16, 0
	v_cmp_ne_u32_e64 s[14:15], 0, v3
.LBB14_754:
	s_andn2_b64 vcc, exec, s[14:15]
	v_mov_b32_e32 v4, s16
	s_cbranch_vccnz .LBB14_756
; %bb.755:
	s_lshr_b32 s14, s18, 24
	s_and_b32 s14, s14, 0x80
	v_or_b32_e32 v4, s14, v3
.LBB14_756:
	s_mov_b64 s[14:15], 0
	global_store_byte v[0:1], v4, off
.LBB14_757:
	s_and_b64 vcc, exec, s[14:15]
	s_cbranch_vccz .LBB14_769
; %bb.758:
	s_bfe_i32 s14, s11, 0x80000
	s_sext_i32_i16 s14, s14
	v_cvt_f32_i32_e32 v3, s14
	v_readfirstlane_b32 s16, v3
	s_and_b32 s17, s16, 0x7fffffff
	s_cmp_lt_u32 s17, 0x43f00000
	s_cbranch_scc0 .LBB14_761
; %bb.759:
	s_cmp_gt_u32 s17, 0x3c7fffff
	s_cbranch_scc0 .LBB14_762
; %bb.760:
	s_bfe_u32 s14, s16, 0x10014
	s_add_i32 s14, s16, s14
	s_add_i32 s14, s14, 0x407ffff
	s_lshr_b32 s15, s14, 20
	s_and_b32 s14, s14, 0xff00000
	s_cmp_lg_u32 s14, 0x7f00000
	s_cselect_b32 s18, s15, 0x7e
	s_mov_b64 s[14:15], 0
	s_branch .LBB14_763
.LBB14_761:
	s_mov_b64 s[14:15], -1
                                        ; implicit-def: $vgpr4
	s_branch .LBB14_766
.LBB14_762:
	s_mov_b64 s[14:15], -1
                                        ; implicit-def: $sgpr18
.LBB14_763:
	s_andn2_b64 vcc, exec, s[14:15]
	v_mov_b32_e32 v4, s18
	s_cbranch_vccnz .LBB14_765
; %bb.764:
	s_mov_b32 s14, 0x46800000
	v_add_f32_e64 v4, |v3|, s14
.LBB14_765:
	s_mov_b64 s[14:15], 0
.LBB14_766:
	s_andn2_b64 vcc, exec, s[14:15]
	s_cbranch_vccnz .LBB14_768
; %bb.767:
	s_cmp_gt_u32 s17, 0x7f800000
	s_movk_i32 s14, 0x7f
	s_cselect_b32 s14, s14, 0x7e
	v_mov_b32_e32 v4, s14
.LBB14_768:
	s_lshr_b32 s14, s16, 24
	s_and_b32 s14, s14, 0x80
	v_or_b32_e32 v3, s14, v4
	global_store_byte v[0:1], v3, off
.LBB14_769:
	s_mov_b64 s[14:15], 0
.LBB14_770:
	s_andn2_b64 vcc, exec, s[14:15]
	s_cbranch_vccnz .LBB14_782
; %bb.771:
	s_bfe_i32 s14, s11, 0x80000
	s_sext_i32_i16 s14, s14
	v_cvt_f32_i32_e32 v3, s14
	v_readfirstlane_b32 s16, v3
	s_and_b32 s17, s16, 0x7fffffff
	s_cmp_lt_u32 s17, 0x47800000
	s_cbranch_scc0 .LBB14_774
; %bb.772:
	s_cmp_gt_u32 s17, 0x387fffff
	s_cbranch_scc0 .LBB14_775
; %bb.773:
	s_bfe_u32 s14, s16, 0x10015
	s_add_i32 s14, s16, s14
	s_add_i32 s14, s14, 0x80fffff
	s_lshr_b32 s18, s14, 21
	s_mov_b64 s[14:15], 0
	s_branch .LBB14_776
.LBB14_774:
	s_mov_b64 s[14:15], -1
                                        ; implicit-def: $vgpr4
	s_branch .LBB14_779
.LBB14_775:
	s_mov_b64 s[14:15], -1
                                        ; implicit-def: $sgpr18
.LBB14_776:
	s_andn2_b64 vcc, exec, s[14:15]
	v_mov_b32_e32 v4, s18
	s_cbranch_vccnz .LBB14_778
; %bb.777:
	s_mov_b32 s14, 0x43000000
	v_add_f32_e64 v4, |v3|, s14
.LBB14_778:
	s_mov_b64 s[14:15], 0
.LBB14_779:
	s_andn2_b64 vcc, exec, s[14:15]
	s_cbranch_vccnz .LBB14_781
; %bb.780:
	s_cmp_gt_u32 s17, 0x7f800000
	s_movk_i32 s14, 0x7f
	s_cselect_b32 s14, s14, 0x7c
	v_mov_b32_e32 v4, s14
.LBB14_781:
	s_lshr_b32 s14, s16, 24
	s_and_b32 s14, s14, 0x80
	v_or_b32_e32 v3, s14, v4
	global_store_byte v[0:1], v3, off
.LBB14_782:
	s_mov_b64 s[14:15], 0
	s_mov_b64 s[16:17], -1
.LBB14_783:
	s_andn2_b64 vcc, exec, s[14:15]
	s_mov_b64 s[14:15], 0
	s_cbranch_vccnz .LBB14_790
; %bb.784:
	v_cmp_lt_i16_e32 vcc, 14, v10
	s_mov_b64 s[18:19], -1
	s_cbranch_vccz .LBB14_788
; %bb.785:
	v_cmp_eq_u16_e32 vcc, 15, v10
	s_mov_b64 s[6:7], -1
	s_cbranch_vccz .LBB14_787
; %bb.786:
	s_bfe_i32 s6, s11, 0x80000
	s_sext_i32_i16 s6, s6
	v_cvt_f32_i32_e32 v3, s6
	s_mov_b64 s[6:7], 0
	s_mov_b64 s[16:17], -1
	v_bfe_u32 v4, v3, 16, 1
	v_add_u32_e32 v3, v3, v4
	v_add_u32_e32 v3, 0x7fff, v3
	global_store_short_d16_hi v[0:1], v3, off
.LBB14_787:
	s_mov_b64 s[18:19], 0
.LBB14_788:
	s_and_b64 vcc, exec, s[18:19]
	s_cbranch_vccz .LBB14_790
; %bb.789:
	v_cmp_ne_u16_e64 s[6:7], 11, v10
	s_mov_b64 s[14:15], -1
.LBB14_790:
	s_and_b64 vcc, exec, s[6:7]
	s_cbranch_vccnz .LBB14_874
; %bb.791:
	s_andn2_b64 vcc, exec, s[14:15]
	s_cbranch_vccnz .LBB14_793
.LBB14_792:
	v_mov_b32_e32 v3, 0
	v_cmp_ne_u16_sdwa s[6:7], s11, v3 src0_sel:BYTE_0 src1_sel:DWORD
	v_cndmask_b32_e64 v3, 0, 1, s[6:7]
	s_mov_b64 s[16:17], -1
	global_store_byte v[0:1], v3, off
.LBB14_793:
	s_branch .LBB14_690
.LBB14_794:
	v_cmp_gt_i16_e32 vcc, 5, v10
	s_mov_b64 s[6:7], -1
	s_cbranch_vccnz .LBB14_815
; %bb.795:
	v_cmp_gt_i16_e32 vcc, 8, v10
	s_cbranch_vccnz .LBB14_805
; %bb.796:
	v_cmp_gt_i16_e32 vcc, 9, v10
	s_cbranch_vccnz .LBB14_802
; %bb.797:
	v_cmp_lt_i16_e32 vcc, 9, v10
	s_cbranch_vccz .LBB14_799
; %bb.798:
	s_bfe_i32 s6, s11, 0x80000
	s_sext_i32_i16 s6, s6
	v_mov_b32_e32 v6, 0
	v_cvt_f64_i32_e32 v[4:5], s6
	v_mov_b32_e32 v7, v6
	global_store_dwordx4 v[0:1], v[4:7], off
	s_mov_b64 s[6:7], 0
.LBB14_799:
	s_andn2_b64 vcc, exec, s[6:7]
	s_cbranch_vccnz .LBB14_801
; %bb.800:
	s_bfe_i32 s6, s11, 0x80000
	s_sext_i32_i16 s6, s6
	v_cvt_f32_i32_e32 v4, s6
	v_mov_b32_e32 v5, 0
	global_store_dwordx2 v[0:1], v[4:5], off
.LBB14_801:
	s_mov_b64 s[6:7], 0
.LBB14_802:
	s_andn2_b64 vcc, exec, s[6:7]
	s_cbranch_vccnz .LBB14_804
; %bb.803:
	s_bfe_i32 s6, s11, 0x80000
	v_cvt_f16_i16_e32 v3, s6
	global_store_dword v[0:1], v3, off
.LBB14_804:
	s_mov_b64 s[6:7], 0
.LBB14_805:
	s_andn2_b64 vcc, exec, s[6:7]
	s_cbranch_vccnz .LBB14_814
; %bb.806:
	v_cmp_gt_i16_e32 vcc, 6, v10
	s_mov_b64 s[6:7], -1
	s_cbranch_vccnz .LBB14_812
; %bb.807:
	v_cmp_lt_i16_e32 vcc, 6, v10
	s_cbranch_vccz .LBB14_809
; %bb.808:
	s_bfe_i32 s6, s11, 0x80000
	s_sext_i32_i16 s6, s6
	v_cvt_f64_i32_e32 v[4:5], s6
	global_store_dwordx2 v[0:1], v[4:5], off
	s_mov_b64 s[6:7], 0
.LBB14_809:
	s_andn2_b64 vcc, exec, s[6:7]
	s_cbranch_vccnz .LBB14_811
; %bb.810:
	s_bfe_i32 s6, s11, 0x80000
	s_sext_i32_i16 s6, s6
	v_cvt_f32_i32_e32 v3, s6
	global_store_dword v[0:1], v3, off
.LBB14_811:
	s_mov_b64 s[6:7], 0
.LBB14_812:
	s_andn2_b64 vcc, exec, s[6:7]
	s_cbranch_vccnz .LBB14_814
; %bb.813:
	s_bfe_i32 s6, s11, 0x80000
	v_cvt_f16_i16_e32 v3, s6
	global_store_short v[0:1], v3, off
.LBB14_814:
	s_mov_b64 s[6:7], 0
.LBB14_815:
	s_andn2_b64 vcc, exec, s[6:7]
	s_cbranch_vccnz .LBB14_831
; %bb.816:
	v_cmp_gt_i16_e32 vcc, 2, v10
	s_mov_b64 s[6:7], -1
	s_cbranch_vccnz .LBB14_826
; %bb.817:
	v_cmp_gt_i16_e32 vcc, 3, v10
	s_cbranch_vccnz .LBB14_823
; %bb.818:
	v_cmp_lt_i16_e32 vcc, 3, v10
	s_cbranch_vccz .LBB14_820
; %bb.819:
	v_mov_b32_e32 v4, s11
	v_bfe_i32 v4, v4, 0, 8
	v_ashrrev_i32_e32 v5, 31, v4
	global_store_dwordx2 v[0:1], v[4:5], off
	s_mov_b64 s[6:7], 0
.LBB14_820:
	s_andn2_b64 vcc, exec, s[6:7]
	s_cbranch_vccnz .LBB14_822
; %bb.821:
	s_sext_i32_i8 s6, s11
	v_mov_b32_e32 v3, s6
	global_store_dword v[0:1], v3, off
.LBB14_822:
	s_mov_b64 s[6:7], 0
.LBB14_823:
	s_andn2_b64 vcc, exec, s[6:7]
	s_cbranch_vccnz .LBB14_825
; %bb.824:
	s_bfe_i32 s6, s11, 0x80000
	v_mov_b32_e32 v3, s6
	global_store_short v[0:1], v3, off
.LBB14_825:
	s_mov_b64 s[6:7], 0
.LBB14_826:
	s_andn2_b64 vcc, exec, s[6:7]
	s_cbranch_vccnz .LBB14_831
; %bb.827:
	v_cmp_lt_i16_e32 vcc, 0, v10
	s_mov_b64 s[6:7], -1
	s_cbranch_vccz .LBB14_829
; %bb.828:
	v_mov_b32_e32 v3, s11
	global_store_byte v[0:1], v3, off
	s_mov_b64 s[6:7], 0
.LBB14_829:
	s_andn2_b64 vcc, exec, s[6:7]
	s_cbranch_vccnz .LBB14_831
; %bb.830:
	v_mov_b32_e32 v3, s11
	global_store_byte v[0:1], v3, off
.LBB14_831:
	s_branch .LBB14_691
.LBB14_832:
	s_mov_b64 s[0:1], 0
	s_mov_b64 s[6:7], 0
                                        ; implicit-def: $vgpr10
                                        ; implicit-def: $vgpr0_vgpr1
.LBB14_833:
	s_andn2_b64 s[2:3], s[2:3], exec
	s_and_b64 s[8:9], s[12:13], exec
	s_and_b64 s[0:1], s[0:1], exec
	;; [unrolled: 1-line block ×3, first 2 shown]
	s_or_b64 s[2:3], s[2:3], s[8:9]
	s_or_b64 exec, exec, s[4:5]
	s_and_saveexec_b64 s[4:5], s[2:3]
	s_cbranch_execnz .LBB14_434
.LBB14_834:
	s_or_b64 exec, exec, s[4:5]
	s_and_saveexec_b64 s[2:3], s[6:7]
	s_xor_b64 s[2:3], exec, s[2:3]
	s_cbranch_execz .LBB14_435
.LBB14_835:
	v_mov_b32_e32 v2, 0
	v_cmp_ne_u16_sdwa s[4:5], s11, v2 src0_sel:BYTE_0 src1_sel:DWORD
	v_cndmask_b32_e64 v2, 0, 1, s[4:5]
	global_store_byte v[0:1], v2, off
	s_or_b64 exec, exec, s[2:3]
	s_and_saveexec_b64 s[2:3], s[0:1]
	s_cbranch_execz .LBB14_873
.LBB14_836:
	v_cmp_gt_i16_e32 vcc, 5, v10
	s_mov_b64 s[0:1], -1
	s_cbranch_vccnz .LBB14_857
; %bb.837:
	v_cmp_gt_i16_e32 vcc, 8, v10
	s_cbranch_vccnz .LBB14_847
; %bb.838:
	v_cmp_gt_i16_e32 vcc, 9, v10
	s_cbranch_vccnz .LBB14_844
; %bb.839:
	v_cmp_lt_i16_e32 vcc, 9, v10
	s_cbranch_vccz .LBB14_841
; %bb.840:
	s_bfe_i32 s0, s11, 0x80000
	s_sext_i32_i16 s0, s0
	v_mov_b32_e32 v4, 0
	v_cvt_f64_i32_e32 v[2:3], s0
	v_mov_b32_e32 v5, v4
	global_store_dwordx4 v[0:1], v[2:5], off
	s_mov_b64 s[0:1], 0
.LBB14_841:
	s_andn2_b64 vcc, exec, s[0:1]
	s_cbranch_vccnz .LBB14_843
; %bb.842:
	s_bfe_i32 s0, s11, 0x80000
	s_sext_i32_i16 s0, s0
	v_cvt_f32_i32_e32 v2, s0
	v_mov_b32_e32 v3, 0
	global_store_dwordx2 v[0:1], v[2:3], off
.LBB14_843:
	s_mov_b64 s[0:1], 0
.LBB14_844:
	s_andn2_b64 vcc, exec, s[0:1]
	s_cbranch_vccnz .LBB14_846
; %bb.845:
	s_bfe_i32 s0, s11, 0x80000
	v_cvt_f16_i16_e32 v2, s0
	global_store_dword v[0:1], v2, off
.LBB14_846:
	s_mov_b64 s[0:1], 0
.LBB14_847:
	s_andn2_b64 vcc, exec, s[0:1]
	s_cbranch_vccnz .LBB14_856
; %bb.848:
	v_cmp_gt_i16_e32 vcc, 6, v10
	s_mov_b64 s[0:1], -1
	s_cbranch_vccnz .LBB14_854
; %bb.849:
	v_cmp_lt_i16_e32 vcc, 6, v10
	s_cbranch_vccz .LBB14_851
; %bb.850:
	s_bfe_i32 s0, s11, 0x80000
	s_sext_i32_i16 s0, s0
	v_cvt_f64_i32_e32 v[2:3], s0
	global_store_dwordx2 v[0:1], v[2:3], off
	s_mov_b64 s[0:1], 0
.LBB14_851:
	s_andn2_b64 vcc, exec, s[0:1]
	s_cbranch_vccnz .LBB14_853
; %bb.852:
	s_bfe_i32 s0, s11, 0x80000
	s_sext_i32_i16 s0, s0
	v_cvt_f32_i32_e32 v2, s0
	global_store_dword v[0:1], v2, off
.LBB14_853:
	s_mov_b64 s[0:1], 0
.LBB14_854:
	s_andn2_b64 vcc, exec, s[0:1]
	s_cbranch_vccnz .LBB14_856
; %bb.855:
	s_bfe_i32 s0, s11, 0x80000
	v_cvt_f16_i16_e32 v2, s0
	global_store_short v[0:1], v2, off
.LBB14_856:
	s_mov_b64 s[0:1], 0
.LBB14_857:
	s_andn2_b64 vcc, exec, s[0:1]
	s_cbranch_vccnz .LBB14_873
; %bb.858:
	v_cmp_gt_i16_e32 vcc, 2, v10
	s_mov_b64 s[0:1], -1
	s_cbranch_vccnz .LBB14_868
; %bb.859:
	v_cmp_gt_i16_e32 vcc, 3, v10
	s_cbranch_vccnz .LBB14_865
; %bb.860:
	v_cmp_lt_i16_e32 vcc, 3, v10
	s_cbranch_vccz .LBB14_862
; %bb.861:
	v_mov_b32_e32 v2, s11
	v_bfe_i32 v2, v2, 0, 8
	v_ashrrev_i32_e32 v3, 31, v2
	global_store_dwordx2 v[0:1], v[2:3], off
	s_mov_b64 s[0:1], 0
.LBB14_862:
	s_andn2_b64 vcc, exec, s[0:1]
	s_cbranch_vccnz .LBB14_864
; %bb.863:
	s_sext_i32_i8 s0, s11
	v_mov_b32_e32 v2, s0
	global_store_dword v[0:1], v2, off
.LBB14_864:
	s_mov_b64 s[0:1], 0
.LBB14_865:
	s_andn2_b64 vcc, exec, s[0:1]
	s_cbranch_vccnz .LBB14_867
; %bb.866:
	s_bfe_i32 s0, s11, 0x80000
	v_mov_b32_e32 v2, s0
	global_store_short v[0:1], v2, off
.LBB14_867:
	s_mov_b64 s[0:1], 0
.LBB14_868:
	s_andn2_b64 vcc, exec, s[0:1]
	s_cbranch_vccnz .LBB14_873
; %bb.869:
	v_cmp_lt_i16_e32 vcc, 0, v10
	s_mov_b64 s[0:1], -1
	s_cbranch_vccz .LBB14_871
; %bb.870:
	v_mov_b32_e32 v2, s11
	global_store_byte v[0:1], v2, off
	s_mov_b64 s[0:1], 0
.LBB14_871:
	s_andn2_b64 vcc, exec, s[0:1]
	s_cbranch_vccnz .LBB14_873
; %bb.872:
	v_mov_b32_e32 v2, s11
	global_store_byte v[0:1], v2, off
	s_endpgm
.LBB14_873:
	s_endpgm
.LBB14_874:
	s_trap 2
	s_or_b64 s[12:13], s[12:13], exec
	s_cbranch_execz .LBB14_792
	s_branch .LBB14_793
.LBB14_875:
	s_mov_b64 s[8:9], -1
	s_mov_b64 s[6:7], 0
                                        ; implicit-def: $sgpr14
.LBB14_876:
	s_andn2_b64 vcc, exec, s[8:9]
	v_mov_b32_e32 v2, s14
                                        ; implicit-def: $sgpr8
	s_cbranch_vccnz .LBB14_878
; %bb.877:
	v_mov_b32_e32 v2, 0x42800000
	v_add_f32_e64 v2, |s10|, v2
	v_and_b32_e32 v2, 0xff, v2
	s_mov_b32 s8, 0
	v_cmp_ne_u32_e64 s[6:7], 0, v2
.LBB14_878:
	s_andn2_b64 vcc, exec, s[6:7]
	v_mov_b32_e32 v3, s8
	s_cbranch_vccnz .LBB14_880
; %bb.879:
	s_lshr_b32 s6, s10, 24
	s_and_b32 s6, s6, 0x80
	v_or_b32_e32 v3, s6, v2
.LBB14_880:
	s_mov_b64 s[6:7], 0
	global_store_byte v[0:1], v3, off
.LBB14_881:
	s_and_b64 vcc, exec, s[6:7]
	s_cbranch_vccz .LBB14_893
; %bb.882:
	s_bfe_i32 s6, s11, 0x80000
	s_sext_i32_i16 s6, s6
	v_cvt_f32_i32_e32 v2, s6
	v_readfirstlane_b32 s8, v2
	s_and_b32 s9, s8, 0x7fffffff
	s_cmp_lt_u32 s9, 0x43f00000
	s_cbranch_scc0 .LBB14_885
; %bb.883:
	s_cmp_gt_u32 s9, 0x3c7fffff
	s_cbranch_scc0 .LBB14_886
; %bb.884:
	s_bfe_u32 s6, s8, 0x10014
	s_add_i32 s6, s8, s6
	s_add_i32 s6, s6, 0x407ffff
	s_lshr_b32 s7, s6, 20
	s_and_b32 s6, s6, 0xff00000
	s_cmp_lg_u32 s6, 0x7f00000
	s_cselect_b32 s10, s7, 0x7e
	s_mov_b64 s[6:7], 0
	s_branch .LBB14_887
.LBB14_885:
	s_mov_b64 s[6:7], -1
                                        ; implicit-def: $vgpr3
	s_branch .LBB14_890
.LBB14_886:
	s_mov_b64 s[6:7], -1
                                        ; implicit-def: $sgpr10
.LBB14_887:
	s_andn2_b64 vcc, exec, s[6:7]
	v_mov_b32_e32 v3, s10
	s_cbranch_vccnz .LBB14_889
; %bb.888:
	s_mov_b32 s6, 0x46800000
	v_add_f32_e64 v3, |v2|, s6
.LBB14_889:
	s_mov_b64 s[6:7], 0
.LBB14_890:
	s_andn2_b64 vcc, exec, s[6:7]
	s_cbranch_vccnz .LBB14_892
; %bb.891:
	s_cmp_gt_u32 s9, 0x7f800000
	s_movk_i32 s6, 0x7f
	s_cselect_b32 s6, s6, 0x7e
	v_mov_b32_e32 v3, s6
.LBB14_892:
	s_lshr_b32 s6, s8, 24
	s_and_b32 s6, s6, 0x80
	v_or_b32_e32 v2, s6, v3
	global_store_byte v[0:1], v2, off
.LBB14_893:
	s_mov_b64 s[6:7], 0
.LBB14_894:
	s_andn2_b64 vcc, exec, s[6:7]
	s_cbranch_vccnz .LBB14_906
; %bb.895:
	s_bfe_i32 s6, s11, 0x80000
	s_sext_i32_i16 s6, s6
	v_cvt_f32_i32_e32 v2, s6
	v_readfirstlane_b32 s8, v2
	s_and_b32 s9, s8, 0x7fffffff
	s_cmp_lt_u32 s9, 0x47800000
	s_cbranch_scc0 .LBB14_898
; %bb.896:
	s_cmp_gt_u32 s9, 0x387fffff
	s_cbranch_scc0 .LBB14_899
; %bb.897:
	s_bfe_u32 s6, s8, 0x10015
	s_add_i32 s6, s8, s6
	s_add_i32 s6, s6, 0x80fffff
	s_lshr_b32 s10, s6, 21
	s_mov_b64 s[6:7], 0
	s_branch .LBB14_900
.LBB14_898:
	s_mov_b64 s[6:7], -1
                                        ; implicit-def: $vgpr3
	s_branch .LBB14_903
.LBB14_899:
	s_mov_b64 s[6:7], -1
                                        ; implicit-def: $sgpr10
.LBB14_900:
	s_andn2_b64 vcc, exec, s[6:7]
	v_mov_b32_e32 v3, s10
	s_cbranch_vccnz .LBB14_902
; %bb.901:
	s_mov_b32 s6, 0x43000000
	v_add_f32_e64 v3, |v2|, s6
.LBB14_902:
	s_mov_b64 s[6:7], 0
.LBB14_903:
	s_andn2_b64 vcc, exec, s[6:7]
	s_cbranch_vccnz .LBB14_905
; %bb.904:
	s_cmp_gt_u32 s9, 0x7f800000
	s_movk_i32 s6, 0x7f
	s_cselect_b32 s6, s6, 0x7c
	v_mov_b32_e32 v3, s6
.LBB14_905:
	s_lshr_b32 s6, s8, 24
	s_and_b32 s6, s6, 0x80
	v_or_b32_e32 v2, s6, v3
	global_store_byte v[0:1], v2, off
.LBB14_906:
	s_mov_b64 s[6:7], 0
.LBB14_907:
	s_andn2_b64 vcc, exec, s[6:7]
	s_mov_b64 s[6:7], 0
	s_cbranch_vccnz .LBB14_914
; %bb.908:
	v_cmp_lt_i16_e32 vcc, 14, v10
	s_mov_b64 s[8:9], -1
	s_cbranch_vccz .LBB14_912
; %bb.909:
	v_cmp_eq_u16_e32 vcc, 15, v10
	s_mov_b64 s[0:1], -1
	s_cbranch_vccz .LBB14_911
; %bb.910:
	s_bfe_i32 s0, s11, 0x80000
	s_sext_i32_i16 s0, s0
	v_cvt_f32_i32_e32 v2, s0
	s_mov_b64 s[0:1], 0
	v_bfe_u32 v3, v2, 16, 1
	v_add_u32_e32 v2, v2, v3
	v_add_u32_e32 v2, 0x7fff, v2
	global_store_short_d16_hi v[0:1], v2, off
.LBB14_911:
	s_mov_b64 s[8:9], 0
.LBB14_912:
	s_and_b64 vcc, exec, s[8:9]
	s_cbranch_vccz .LBB14_914
; %bb.913:
	v_cmp_ne_u16_e64 s[0:1], 11, v10
	s_mov_b64 s[6:7], -1
.LBB14_914:
	s_and_b64 vcc, exec, s[0:1]
	s_cbranch_vccnz .LBB14_916
.LBB14_915:
	s_mov_b64 s[0:1], 0
	s_branch .LBB14_833
.LBB14_916:
	s_mov_b64 s[6:7], 0
	s_or_b64 s[12:13], s[12:13], exec
	s_trap 2
	s_branch .LBB14_915
	.section	.rodata,"a",@progbits
	.p2align	6, 0x0
	.amdhsa_kernel _ZN2at6native32elementwise_kernel_manual_unrollILi128ELi4EZNS0_15gpu_kernel_implINS0_11FillFunctorIaEEEEvRNS_18TensorIteratorBaseERKT_EUlibE_EEviT1_
		.amdhsa_group_segment_fixed_size 0
		.amdhsa_private_segment_fixed_size 0
		.amdhsa_kernarg_size 24
		.amdhsa_user_sgpr_count 6
		.amdhsa_user_sgpr_private_segment_buffer 1
		.amdhsa_user_sgpr_dispatch_ptr 0
		.amdhsa_user_sgpr_queue_ptr 0
		.amdhsa_user_sgpr_kernarg_segment_ptr 1
		.amdhsa_user_sgpr_dispatch_id 0
		.amdhsa_user_sgpr_flat_scratch_init 0
		.amdhsa_user_sgpr_kernarg_preload_length 0
		.amdhsa_user_sgpr_kernarg_preload_offset 0
		.amdhsa_user_sgpr_private_segment_size 0
		.amdhsa_uses_dynamic_stack 0
		.amdhsa_system_sgpr_private_segment_wavefront_offset 0
		.amdhsa_system_sgpr_workgroup_id_x 1
		.amdhsa_system_sgpr_workgroup_id_y 0
		.amdhsa_system_sgpr_workgroup_id_z 0
		.amdhsa_system_sgpr_workgroup_info 0
		.amdhsa_system_vgpr_workitem_id 0
		.amdhsa_next_free_vgpr 19
		.amdhsa_next_free_sgpr 61
		.amdhsa_accum_offset 20
		.amdhsa_reserve_vcc 1
		.amdhsa_reserve_flat_scratch 0
		.amdhsa_float_round_mode_32 0
		.amdhsa_float_round_mode_16_64 0
		.amdhsa_float_denorm_mode_32 3
		.amdhsa_float_denorm_mode_16_64 3
		.amdhsa_dx10_clamp 1
		.amdhsa_ieee_mode 1
		.amdhsa_fp16_overflow 0
		.amdhsa_tg_split 0
		.amdhsa_exception_fp_ieee_invalid_op 0
		.amdhsa_exception_fp_denorm_src 0
		.amdhsa_exception_fp_ieee_div_zero 0
		.amdhsa_exception_fp_ieee_overflow 0
		.amdhsa_exception_fp_ieee_underflow 0
		.amdhsa_exception_fp_ieee_inexact 0
		.amdhsa_exception_int_div_zero 0
	.end_amdhsa_kernel
	.section	.text._ZN2at6native32elementwise_kernel_manual_unrollILi128ELi4EZNS0_15gpu_kernel_implINS0_11FillFunctorIaEEEEvRNS_18TensorIteratorBaseERKT_EUlibE_EEviT1_,"axG",@progbits,_ZN2at6native32elementwise_kernel_manual_unrollILi128ELi4EZNS0_15gpu_kernel_implINS0_11FillFunctorIaEEEEvRNS_18TensorIteratorBaseERKT_EUlibE_EEviT1_,comdat
.Lfunc_end14:
	.size	_ZN2at6native32elementwise_kernel_manual_unrollILi128ELi4EZNS0_15gpu_kernel_implINS0_11FillFunctorIaEEEEvRNS_18TensorIteratorBaseERKT_EUlibE_EEviT1_, .Lfunc_end14-_ZN2at6native32elementwise_kernel_manual_unrollILi128ELi4EZNS0_15gpu_kernel_implINS0_11FillFunctorIaEEEEvRNS_18TensorIteratorBaseERKT_EUlibE_EEviT1_
                                        ; -- End function
	.section	.AMDGPU.csdata,"",@progbits
; Kernel info:
; codeLenInByte = 12772
; NumSgprs: 65
; NumVgprs: 19
; NumAgprs: 0
; TotalNumVgprs: 19
; ScratchSize: 0
; MemoryBound: 0
; FloatMode: 240
; IeeeMode: 1
; LDSByteSize: 0 bytes/workgroup (compile time only)
; SGPRBlocks: 8
; VGPRBlocks: 2
; NumSGPRsForWavesPerEU: 65
; NumVGPRsForWavesPerEU: 19
; AccumOffset: 20
; Occupancy: 8
; WaveLimiterHint : 0
; COMPUTE_PGM_RSRC2:SCRATCH_EN: 0
; COMPUTE_PGM_RSRC2:USER_SGPR: 6
; COMPUTE_PGM_RSRC2:TRAP_HANDLER: 0
; COMPUTE_PGM_RSRC2:TGID_X_EN: 1
; COMPUTE_PGM_RSRC2:TGID_Y_EN: 0
; COMPUTE_PGM_RSRC2:TGID_Z_EN: 0
; COMPUTE_PGM_RSRC2:TIDIG_COMP_CNT: 0
; COMPUTE_PGM_RSRC3_GFX90A:ACCUM_OFFSET: 4
; COMPUTE_PGM_RSRC3_GFX90A:TG_SPLIT: 0
	.section	.text._ZN2at6native32elementwise_kernel_manual_unrollILi128ELi4EZNS0_15gpu_kernel_implINS0_11FillFunctorIaEEEEvRNS_18TensorIteratorBaseERKT_EUlibE0_EEviT1_,"axG",@progbits,_ZN2at6native32elementwise_kernel_manual_unrollILi128ELi4EZNS0_15gpu_kernel_implINS0_11FillFunctorIaEEEEvRNS_18TensorIteratorBaseERKT_EUlibE0_EEviT1_,comdat
	.protected	_ZN2at6native32elementwise_kernel_manual_unrollILi128ELi4EZNS0_15gpu_kernel_implINS0_11FillFunctorIaEEEEvRNS_18TensorIteratorBaseERKT_EUlibE0_EEviT1_ ; -- Begin function _ZN2at6native32elementwise_kernel_manual_unrollILi128ELi4EZNS0_15gpu_kernel_implINS0_11FillFunctorIaEEEEvRNS_18TensorIteratorBaseERKT_EUlibE0_EEviT1_
	.globl	_ZN2at6native32elementwise_kernel_manual_unrollILi128ELi4EZNS0_15gpu_kernel_implINS0_11FillFunctorIaEEEEvRNS_18TensorIteratorBaseERKT_EUlibE0_EEviT1_
	.p2align	8
	.type	_ZN2at6native32elementwise_kernel_manual_unrollILi128ELi4EZNS0_15gpu_kernel_implINS0_11FillFunctorIaEEEEvRNS_18TensorIteratorBaseERKT_EUlibE0_EEviT1_,@function
_ZN2at6native32elementwise_kernel_manual_unrollILi128ELi4EZNS0_15gpu_kernel_implINS0_11FillFunctorIaEEEEvRNS_18TensorIteratorBaseERKT_EUlibE0_EEviT1_: ; @_ZN2at6native32elementwise_kernel_manual_unrollILi128ELi4EZNS0_15gpu_kernel_implINS0_11FillFunctorIaEEEEvRNS_18TensorIteratorBaseERKT_EUlibE0_EEviT1_
; %bb.0:
	s_load_dword s92, s[4:5], 0x0
	s_load_dword s33, s[4:5], 0x8
	s_or_b32 s4, s4, 8
	v_lshl_or_b32 v10, s6, 9, v0
	v_or_b32_e32 v9, 0x180, v10
	s_waitcnt lgkmcnt(0)
	v_cmp_le_i32_e32 vcc, s92, v9
	s_add_i32 s37, s33, -1
	s_cmp_gt_u32 s37, 1
	s_cselect_b64 s[30:31], -1, 0
	s_mov_b64 s[28:29], 0
	s_mov_b64 s[6:7], 0
	s_and_saveexec_b64 s[0:1], vcc
	s_xor_b64 s[34:35], exec, s[0:1]
	s_cbranch_execz .LBB15_462
; %bb.1:
	s_cmp_lg_u32 s33, 0
	s_cselect_b64 s[66:67], -1, 0
	s_add_u32 s64, s4, 0xc4
	s_load_dwordx2 s[58:59], s[4:5], 0xc4
	s_load_dwordx2 s[56:57], s[4:5], 0x108
	s_load_dword s36, s[4:5], 0x110
	s_load_dwordx4 s[16:19], s[4:5], 0x4
	s_load_dwordx2 s[60:61], s[4:5], 0x14
	s_addc_u32 s65, s5, 0
	s_min_u32 s93, s37, 15
	s_cmp_gt_u32 s33, 1
	s_cselect_b64 s[62:63], -1, 0
	s_waitcnt lgkmcnt(0)
	s_bfe_i32 s82, s36, 0x80000
	s_sext_i32_i16 s10, s82
	v_cvt_f32_i32_e32 v4, s10
	s_movk_i32 s1, 0xff
	s_and_b32 s0, s36, 0xffff
	s_sext_i32_i8 s83, s0
	v_and_b32_e32 v2, 0x400000, v4
	v_bfe_u32 v1, v4, 23, 8
	v_cmp_ne_u32_e32 vcc, 0, v2
	v_and_b32_e32 v2, 0x3fffff, v4
	v_cmp_eq_u32_e64 s[6:7], s1, v1
	v_or_b32_e32 v1, v1, v2
	v_cmp_ne_u32_e64 s[0:1], 0, v1
	v_readfirstlane_b32 s8, v4
	s_bfe_i64 s[38:39], s[36:37], 0x80000
	s_and_b64 s[0:1], vcc, s[0:1]
	s_and_b32 s9, s8, 0x7fffffff
	s_cmp_lt_u32 s9, 0x43800000
	s_cselect_b64 s[52:53], -1, 0
	s_cmp_gt_u32 s9, 0x3bffffff
	v_cndmask_b32_e64 v1, 0, 1, s[0:1]
	s_cselect_b64 s[2:3], -1, 0
	s_bfe_u32 s0, s8, 0x10014
	s_add_i32 s11, s8, s0
	s_add_i32 s0, s11, 0x487ffff
	s_lshr_b32 s91, s0, 20
	s_mov_b32 s0, 0x46000000
	v_add_f32_e64 v15, |v4|, s0
	v_readfirstlane_b32 s0, v15
	s_and_b32 s0, s0, 0xff
	s_cmp_lg_u32 s0, 0
	s_cselect_b64 s[54:55], -1, 0
	s_cmp_gt_u32 s9, 0x477fffff
	s_cselect_b64 s[40:41], -1, 0
	s_cmp_lt_u32 s9, 0x47800000
	s_movk_i32 s0, 0x80
	s_cselect_b64 s[48:49], -1, 0
	s_cmp_gt_u32 s9, 0x37ffffff
	v_and_b32_sdwa v12, v4, s0 dst_sel:DWORD dst_unused:UNUSED_PAD src0_sel:BYTE_3 src1_sel:DWORD
	s_cselect_b64 s[0:1], -1, 0
	s_bfe_u32 s12, s8, 0x10015
	s_add_i32 s8, s8, s12
	s_add_i32 s12, s8, 0x88fffff
	s_lshr_b32 s89, s12, 21
	s_mov_b32 s12, 0x42800000
	v_add_f32_e64 v14, |v4|, s12
	v_readfirstlane_b32 s12, v14
	s_and_b32 s12, s12, 0xff
	s_cmp_lg_u32 s12, 0
	s_cselect_b64 s[50:51], -1, 0
	s_cmp_gt_u32 s9, 0x43efffff
	s_cselect_b64 s[44:45], -1, 0
	s_cmp_lt_u32 s9, 0x3c800000
	s_cselect_b64 s[46:47], -1, 0
	s_add_i32 s11, s11, 0x407ffff
	s_lshr_b32 s12, s11, 20
	s_and_b32 s11, s11, 0xff00000
	s_cmp_lg_u32 s11, 0x7f00000
	s_cselect_b32 s87, s12, 0x7e
	s_cmp_lt_u32 s9, 0x38800000
	s_cselect_b64 s[42:43], -1, 0
	s_add_i32 s8, s8, 0x80fffff
	s_lshr_b32 s84, s8, 21
	v_lshrrev_b32_e32 v0, 23, v4
	s_mov_b32 s11, 0x46800000
	s_cmp_gt_u32 s9, 0x7f800000
	s_movk_i32 s8, 0x7f
	v_add_u32_e32 v16, v0, v1
	v_add_f32_e64 v0, |v4|, s11
	s_cselect_b32 s90, s8, 0x7e
	s_mov_b32 s8, 0x43000000
	v_readfirstlane_b32 s88, v0
	v_add_f32_e64 v0, |v4|, s8
	v_readfirstlane_b32 s85, v0
	v_bfe_u32 v0, v4, 16, 1
	v_add_u32_e32 v0, v4, v0
	v_add_u32_e32 v0, 0x7fff, v0
	s_movk_i32 s8, 0x7c
	v_lshrrev_b32_e32 v13, 16, v0
	v_mov_b32_e32 v0, 0
	s_cselect_b32 s86, 0x7f, s8
	v_cmp_ne_u16_sdwa s[8:9], s36, v0 src0_sel:BYTE_0 src1_sel:DWORD
	v_lshrrev_b16_e64 v8, 8, s36
	v_cndmask_b32_e64 v11, 0, 1, s[8:9]
	v_cvt_f64_i32_e32 v[0:1], s10
	v_cvt_f16_i16_e32 v9, s82
	v_cmp_gt_i32_e32 vcc, s92, v10
	s_mov_b64 s[10:11], -1
	s_mov_b64 s[74:75], 0
	s_mov_b64 s[68:69], 0
	s_and_saveexec_b64 s[70:71], vcc
	s_cbranch_execz .LBB15_114
; %bb.2:
	s_andn2_b64 vcc, exec, s[30:31]
	s_cbranch_vccnz .LBB15_7
; %bb.3:
	s_andn2_b64 vcc, exec, s[66:67]
	s_cbranch_vccnz .LBB15_8
; %bb.4:
	s_add_i32 s77, s93, 1
	s_mov_b32 s76, 0
	s_cmp_eq_u32 s37, 2
	v_mov_b32_e32 v2, 0
	s_cbranch_scc1 .LBB15_9
; %bb.5:
	s_and_b32 s76, s77, 28
	s_mov_b32 s78, 0
	v_mov_b32_e32 v2, 0
	s_mov_b64 s[68:69], s[4:5]
	s_mov_b64 s[72:73], s[64:65]
	v_mov_b32_e32 v5, v10
.LBB15_6:                               ; =>This Inner Loop Header: Depth=1
	s_load_dwordx8 s[8:15], s[68:69], 0x4
	s_load_dwordx4 s[20:23], s[68:69], 0x24
	s_load_dwordx4 s[24:27], s[72:73], 0x0
	s_add_u32 s68, s68, 48
	s_addc_u32 s69, s69, 0
	s_waitcnt lgkmcnt(0)
	v_mul_hi_u32 v3, s9, v5
	v_add_u32_e32 v3, v5, v3
	v_lshrrev_b32_e32 v3, s10, v3
	v_mul_lo_u32 v6, v3, s8
	v_mul_hi_u32 v7, s12, v3
	v_sub_u32_e32 v5, v5, v6
	v_add_u32_e32 v6, v3, v7
	v_lshrrev_b32_e32 v6, s13, v6
	v_mul_lo_u32 v7, v6, s11
	v_mul_hi_u32 v17, s15, v6
	v_sub_u32_e32 v3, v3, v7
	v_add_u32_e32 v7, v6, v17
	v_mul_lo_u32 v5, v5, s24
	v_mul_lo_u32 v3, v3, s25
	v_lshrrev_b32_e32 v7, s20, v7
	v_add3_u32 v2, v5, v2, v3
	v_mul_hi_u32 v5, s22, v7
	v_add_u32_e32 v5, v7, v5
	v_mul_lo_u32 v3, v7, s14
	v_lshrrev_b32_e32 v5, s23, v5
	s_add_i32 s78, s78, 4
	v_sub_u32_e32 v3, v6, v3
	v_mul_lo_u32 v6, v5, s21
	s_add_u32 s72, s72, 16
	v_sub_u32_e32 v6, v7, v6
	s_addc_u32 s73, s73, 0
	v_mul_lo_u32 v3, v3, s26
	v_mul_lo_u32 v6, v6, s27
	s_cmp_lg_u32 s76, s78
	v_add3_u32 v2, v3, v2, v6
	s_cbranch_scc1 .LBB15_6
	s_branch .LBB15_10
.LBB15_7:
                                        ; implicit-def: $vgpr2
	s_branch .LBB15_14
.LBB15_8:
	v_mov_b32_e32 v2, 0
	s_branch .LBB15_13
.LBB15_9:
	v_mov_b32_e32 v5, v10
.LBB15_10:
	s_and_b32 s12, s77, 3
	s_cmp_eq_u32 s12, 0
	s_cbranch_scc1 .LBB15_13
; %bb.11:
	s_lshl_b32 s8, s76, 2
	s_add_u32 s8, s8, s4
	s_addc_u32 s9, s5, 0
	s_add_u32 s8, s8, 0xc4
	s_addc_u32 s9, s9, 0
	s_mul_i32 s10, s76, 12
	s_add_u32 s10, s4, s10
	s_addc_u32 s11, s5, 0
.LBB15_12:                              ; =>This Inner Loop Header: Depth=1
	s_load_dwordx2 s[14:15], s[10:11], 0x4
	s_load_dword s13, s[10:11], 0xc
	s_load_dword s20, s[8:9], 0x0
	s_add_u32 s10, s10, 12
	s_addc_u32 s11, s11, 0
	s_waitcnt lgkmcnt(0)
	v_mul_hi_u32 v3, s15, v5
	v_add_u32_e32 v3, v5, v3
	v_lshrrev_b32_e32 v3, s13, v3
	s_add_u32 s8, s8, 4
	v_mul_lo_u32 v6, v3, s14
	s_addc_u32 s9, s9, 0
	s_add_i32 s12, s12, -1
	v_sub_u32_e32 v6, v5, v6
	s_cmp_lg_u32 s12, 0
	v_mov_b32_e32 v5, v3
	v_mad_u64_u32 v[2:3], s[14:15], v6, s20, v[2:3]
	s_cbranch_scc1 .LBB15_12
.LBB15_13:
	s_cbranch_execnz .LBB15_16
.LBB15_14:
	v_mul_hi_u32 v2, s17, v10
	v_add_u32_e32 v2, v10, v2
	v_lshrrev_b32_e32 v3, s18, v2
	v_mul_lo_u32 v2, v3, s16
	v_sub_u32_e32 v2, v10, v2
	s_andn2_b64 vcc, exec, s[62:63]
	v_mul_lo_u32 v2, v2, s58
	s_cbranch_vccnz .LBB15_16
; %bb.15:
	v_mul_hi_u32 v5, s60, v3
	v_add_u32_e32 v5, v3, v5
	v_lshrrev_b32_e32 v5, s61, v5
	v_mul_lo_u32 v5, v5, s19
	v_sub_u32_e32 v3, v3, v5
	v_mad_u64_u32 v[2:3], s[8:9], v3, s59, v[2:3]
.LBB15_16:
	v_mov_b32_e32 v3, s57
	v_add_co_u32_e32 v6, vcc, s56, v2
	v_addc_co_u32_e32 v7, vcc, 0, v3, vcc
	v_cmp_gt_i16_e32 vcc, 11, v8
	s_cbranch_vccnz .LBB15_23
; %bb.17:
	v_cmp_lt_i16_e32 vcc, 25, v8
	s_cbranch_vccz .LBB15_26
; %bb.18:
	v_cmp_lt_i16_e32 vcc, 28, v8
	s_cbranch_vccz .LBB15_27
	;; [unrolled: 3-line block ×4, first 2 shown]
; %bb.21:
	v_cmp_eq_u16_e32 vcc, 46, v8
	s_mov_b64 s[12:13], 0
	s_mov_b64 s[8:9], -1
	s_mov_b64 s[10:11], 0
	s_cbranch_vccz .LBB15_30
; %bb.22:
	global_store_dword v[6:7], v13, off
	s_mov_b64 s[10:11], -1
	s_mov_b64 s[8:9], 0
	s_branch .LBB15_30
.LBB15_23:
	s_mov_b64 s[8:9], 0
	s_mov_b64 s[10:11], 0
	s_cbranch_execnz .LBB15_74
.LBB15_24:
	s_andn2_b64 vcc, exec, s[10:11]
	s_cbranch_vccnz .LBB15_112
.LBB15_25:
	v_add_u32_e32 v10, 0x80, v10
	s_mov_b64 s[10:11], -1
	s_branch .LBB15_113
.LBB15_26:
	s_mov_b64 s[8:9], 0
	s_mov_b64 s[10:11], 0
	s_cbranch_execnz .LBB15_52
	s_branch .LBB15_73
.LBB15_27:
	s_mov_b64 s[12:13], -1
	s_mov_b64 s[8:9], 0
	s_mov_b64 s[10:11], 0
	s_branch .LBB15_38
.LBB15_28:
	s_mov_b64 s[12:13], -1
	s_mov_b64 s[8:9], 0
	s_mov_b64 s[10:11], 0
	s_branch .LBB15_34
.LBB15_29:
	s_mov_b64 s[12:13], -1
	s_mov_b64 s[8:9], 0
	s_mov_b64 s[10:11], 0
.LBB15_30:
	s_and_b64 vcc, exec, s[12:13]
	s_cbranch_vccz .LBB15_33
; %bb.31:
	v_cmp_eq_u16_e32 vcc, 44, v8
	s_mov_b64 s[8:9], -1
	s_cbranch_vccz .LBB15_33
; %bb.32:
	v_mov_b32_e32 v2, 0xff
	v_cndmask_b32_e64 v2, v16, v2, s[6:7]
	global_store_byte v[6:7], v2, off
	s_mov_b64 s[10:11], -1
	s_mov_b64 s[8:9], 0
.LBB15_33:
	s_mov_b64 s[12:13], 0
.LBB15_34:
	s_and_b64 vcc, exec, s[12:13]
	s_cbranch_vccz .LBB15_37
; %bb.35:
	v_cmp_eq_u16_e32 vcc, 29, v8
	s_mov_b64 s[8:9], -1
	s_cbranch_vccz .LBB15_37
; %bb.36:
	v_pk_mov_b32 v[2:3], s[38:39], s[38:39] op_sel:[0,1]
	global_store_dwordx2 v[6:7], v[2:3], off
	s_mov_b64 s[10:11], -1
	s_mov_b64 s[8:9], 0
.LBB15_37:
	s_mov_b64 s[12:13], 0
.LBB15_38:
	s_and_b64 vcc, exec, s[12:13]
	s_cbranch_vccz .LBB15_51
; %bb.39:
	v_cmp_gt_i16_e32 vcc, 27, v8
	s_mov_b64 s[10:11], -1
	s_cbranch_vccnz .LBB15_45
; %bb.40:
	v_cmp_lt_i16_e32 vcc, 27, v8
	s_cbranch_vccz .LBB15_42
; %bb.41:
	v_mov_b32_e32 v2, s83
	s_mov_b64 s[10:11], 0
	global_store_dword v[6:7], v2, off
.LBB15_42:
	s_andn2_b64 vcc, exec, s[10:11]
	s_cbranch_vccnz .LBB15_44
; %bb.43:
	v_mov_b32_e32 v2, s82
	global_store_short v[6:7], v2, off
.LBB15_44:
	s_mov_b64 s[10:11], 0
.LBB15_45:
	s_andn2_b64 vcc, exec, s[10:11]
	s_cbranch_vccnz .LBB15_50
; %bb.46:
	s_andn2_b64 vcc, exec, s[52:53]
	v_mov_b32_e32 v2, 0x80
	s_cbranch_vccnz .LBB15_49
; %bb.47:
	s_or_b64 s[10:11], s[2:3], s[54:55]
	s_andn2_b64 vcc, exec, s[10:11]
	v_mov_b32_e32 v2, 0
	s_cbranch_vccnz .LBB15_49
; %bb.48:
	v_mov_b32_e32 v2, s91
	v_cndmask_b32_e64 v2, v15, v2, s[2:3]
	v_or_b32_e32 v2, v2, v12
.LBB15_49:
	global_store_byte v[6:7], v2, off
.LBB15_50:
	s_mov_b64 s[10:11], -1
.LBB15_51:
	s_branch .LBB15_73
.LBB15_52:
	v_cmp_lt_i16_e32 vcc, 22, v8
	s_mov_b64 s[12:13], -1
	s_cbranch_vccz .LBB15_65
; %bb.53:
	v_cmp_gt_i16_e32 vcc, 24, v8
	s_mov_b64 s[10:11], -1
	s_cbranch_vccnz .LBB15_62
; %bb.54:
	v_cmp_lt_i16_e32 vcc, 24, v8
	s_cbranch_vccz .LBB15_59
; %bb.55:
	s_andn2_b64 vcc, exec, s[48:49]
	v_mov_b32_e32 v2, 0x80
	s_cbranch_vccnz .LBB15_58
; %bb.56:
	s_or_b64 s[10:11], s[0:1], s[50:51]
	s_andn2_b64 vcc, exec, s[10:11]
	v_mov_b32_e32 v2, 0
	s_cbranch_vccnz .LBB15_58
; %bb.57:
	v_mov_b32_e32 v2, s89
	v_cndmask_b32_e64 v2, v14, v2, s[0:1]
	v_or_b32_e32 v2, v2, v12
.LBB15_58:
	s_mov_b64 s[10:11], 0
	global_store_byte v[6:7], v2, off
.LBB15_59:
	s_and_b64 vcc, exec, s[10:11]
	s_cbranch_vccz .LBB15_61
; %bb.60:
	s_and_b64 s[10:11], s[46:47], exec
	s_cselect_b32 s12, s88, s87
	s_and_b64 s[10:11], s[44:45], exec
	s_cselect_b32 s10, s90, s12
	v_or_b32_e32 v2, s10, v12
	global_store_byte v[6:7], v2, off
.LBB15_61:
	s_mov_b64 s[10:11], 0
.LBB15_62:
	s_andn2_b64 vcc, exec, s[10:11]
	s_cbranch_vccnz .LBB15_64
; %bb.63:
	s_and_b64 s[10:11], s[42:43], exec
	s_cselect_b32 s12, s85, s84
	s_and_b64 s[10:11], s[40:41], exec
	s_cselect_b32 s10, s86, s12
	v_or_b32_e32 v2, s10, v12
	global_store_byte v[6:7], v2, off
.LBB15_64:
	s_mov_b64 s[12:13], 0
	s_mov_b64 s[10:11], -1
.LBB15_65:
	s_andn2_b64 vcc, exec, s[12:13]
	s_cbranch_vccnz .LBB15_73
; %bb.66:
	v_cmp_lt_i16_e32 vcc, 14, v8
	s_mov_b64 s[12:13], -1
	s_cbranch_vccz .LBB15_70
; %bb.67:
	v_cmp_eq_u16_e32 vcc, 15, v8
	s_mov_b64 s[8:9], -1
	s_cbranch_vccz .LBB15_69
; %bb.68:
	global_store_short v[6:7], v13, off
	s_mov_b64 s[10:11], -1
	s_mov_b64 s[8:9], 0
.LBB15_69:
	s_mov_b64 s[12:13], 0
.LBB15_70:
	s_and_b64 vcc, exec, s[12:13]
	s_cbranch_vccz .LBB15_73
; %bb.71:
	v_cmp_eq_u16_e32 vcc, 11, v8
	s_mov_b64 s[8:9], -1
	s_cbranch_vccz .LBB15_73
; %bb.72:
	s_mov_b64 s[10:11], -1
	s_mov_b64 s[8:9], 0
	global_store_byte v[6:7], v11, off
.LBB15_73:
	s_branch .LBB15_24
.LBB15_74:
	v_cmp_gt_i16_e32 vcc, 5, v8
	s_mov_b64 s[10:11], -1
	s_cbranch_vccnz .LBB15_95
; %bb.75:
	v_cmp_gt_i16_e32 vcc, 8, v8
	s_cbranch_vccnz .LBB15_85
; %bb.76:
	v_cmp_gt_i16_e32 vcc, 9, v8
	s_cbranch_vccnz .LBB15_82
; %bb.77:
	v_cmp_lt_i16_e32 vcc, 9, v8
	s_cbranch_vccz .LBB15_79
; %bb.78:
	v_mov_b32_e32 v2, 0
	v_mov_b32_e32 v3, v2
	global_store_dwordx4 v[6:7], v[0:3], off
	s_mov_b64 s[10:11], 0
.LBB15_79:
	s_andn2_b64 vcc, exec, s[10:11]
	s_cbranch_vccnz .LBB15_81
; %bb.80:
	v_mov_b32_e32 v5, 0
	global_store_dwordx2 v[6:7], v[4:5], off
.LBB15_81:
	s_mov_b64 s[10:11], 0
.LBB15_82:
	s_andn2_b64 vcc, exec, s[10:11]
	s_cbranch_vccnz .LBB15_84
; %bb.83:
	global_store_dword v[6:7], v9, off
.LBB15_84:
	s_mov_b64 s[10:11], 0
.LBB15_85:
	s_andn2_b64 vcc, exec, s[10:11]
	s_cbranch_vccnz .LBB15_94
; %bb.86:
	v_cmp_gt_i16_e32 vcc, 6, v8
	s_mov_b64 s[10:11], -1
	s_cbranch_vccnz .LBB15_92
; %bb.87:
	v_cmp_lt_i16_e32 vcc, 6, v8
	s_cbranch_vccz .LBB15_89
; %bb.88:
	global_store_dwordx2 v[6:7], v[0:1], off
	s_mov_b64 s[10:11], 0
.LBB15_89:
	s_andn2_b64 vcc, exec, s[10:11]
	s_cbranch_vccnz .LBB15_91
; %bb.90:
	global_store_dword v[6:7], v4, off
.LBB15_91:
	s_mov_b64 s[10:11], 0
.LBB15_92:
	s_andn2_b64 vcc, exec, s[10:11]
	s_cbranch_vccnz .LBB15_94
; %bb.93:
	global_store_short v[6:7], v9, off
.LBB15_94:
	s_mov_b64 s[10:11], 0
.LBB15_95:
	s_andn2_b64 vcc, exec, s[10:11]
	s_cbranch_vccnz .LBB15_111
; %bb.96:
	v_cmp_gt_i16_e32 vcc, 2, v8
	s_mov_b64 s[10:11], -1
	s_cbranch_vccnz .LBB15_106
; %bb.97:
	v_cmp_gt_i16_e32 vcc, 3, v8
	s_cbranch_vccnz .LBB15_103
; %bb.98:
	v_cmp_lt_i16_e32 vcc, 3, v8
	s_cbranch_vccz .LBB15_100
; %bb.99:
	v_pk_mov_b32 v[2:3], s[38:39], s[38:39] op_sel:[0,1]
	global_store_dwordx2 v[6:7], v[2:3], off
	s_mov_b64 s[10:11], 0
.LBB15_100:
	s_andn2_b64 vcc, exec, s[10:11]
	s_cbranch_vccnz .LBB15_102
; %bb.101:
	v_mov_b32_e32 v2, s83
	global_store_dword v[6:7], v2, off
.LBB15_102:
	s_mov_b64 s[10:11], 0
.LBB15_103:
	s_andn2_b64 vcc, exec, s[10:11]
	s_cbranch_vccnz .LBB15_105
; %bb.104:
	v_mov_b32_e32 v2, s82
	global_store_short v[6:7], v2, off
.LBB15_105:
	s_mov_b64 s[10:11], 0
.LBB15_106:
	s_andn2_b64 vcc, exec, s[10:11]
	s_cbranch_vccnz .LBB15_111
; %bb.107:
	v_cmp_lt_i16_e32 vcc, 0, v8
	s_mov_b64 s[10:11], -1
	s_cbranch_vccz .LBB15_109
; %bb.108:
	v_mov_b32_e32 v2, s36
	global_store_byte v[6:7], v2, off
	s_mov_b64 s[10:11], 0
.LBB15_109:
	s_andn2_b64 vcc, exec, s[10:11]
	s_cbranch_vccnz .LBB15_111
; %bb.110:
	v_mov_b32_e32 v2, s36
	global_store_byte v[6:7], v2, off
.LBB15_111:
	s_branch .LBB15_25
.LBB15_112:
	s_mov_b64 s[10:11], 0
                                        ; implicit-def: $vgpr10
.LBB15_113:
	s_and_b64 s[68:69], s[8:9], exec
	s_orn2_b64 s[10:11], s[10:11], exec
.LBB15_114:
	s_or_b64 exec, exec, s[70:71]
	s_mov_b64 s[8:9], 0
                                        ; implicit-def: $vgpr6_vgpr7
	s_and_saveexec_b64 s[70:71], s[10:11]
	s_cbranch_execz .LBB15_121
; %bb.115:
	v_cmp_gt_i32_e32 vcc, s92, v10
	s_mov_b64 s[8:9], -1
	s_mov_b64 s[72:73], s[68:69]
	s_and_saveexec_b64 s[74:75], vcc
	s_cbranch_execz .LBB15_232
; %bb.116:
	s_andn2_b64 vcc, exec, s[30:31]
	s_cbranch_vccnz .LBB15_124
; %bb.117:
	s_andn2_b64 vcc, exec, s[66:67]
	s_cbranch_vccnz .LBB15_125
; %bb.118:
	s_add_i32 s79, s93, 1
	s_mov_b32 s78, 0
	s_cmp_eq_u32 s37, 2
	v_mov_b32_e32 v2, 0
	s_cbranch_scc1 .LBB15_126
; %bb.119:
	s_and_b32 s78, s79, 28
	s_mov_b32 s80, 0
	v_mov_b32_e32 v2, 0
	s_mov_b64 s[72:73], s[4:5]
	s_mov_b64 s[76:77], s[64:65]
	v_mov_b32_e32 v5, v10
.LBB15_120:                             ; =>This Inner Loop Header: Depth=1
	s_load_dwordx8 s[8:15], s[72:73], 0x4
	s_load_dwordx4 s[20:23], s[72:73], 0x24
	s_load_dwordx4 s[24:27], s[76:77], 0x0
	s_add_u32 s72, s72, 48
	s_addc_u32 s73, s73, 0
	s_waitcnt lgkmcnt(0)
	v_mul_hi_u32 v3, s9, v5
	v_add_u32_e32 v3, v5, v3
	v_lshrrev_b32_e32 v3, s10, v3
	v_mul_lo_u32 v6, v3, s8
	v_mul_hi_u32 v7, s12, v3
	v_sub_u32_e32 v5, v5, v6
	v_add_u32_e32 v6, v3, v7
	v_lshrrev_b32_e32 v6, s13, v6
	v_mul_lo_u32 v7, v6, s11
	v_mul_hi_u32 v17, s15, v6
	v_sub_u32_e32 v3, v3, v7
	v_add_u32_e32 v7, v6, v17
	v_mul_lo_u32 v5, v5, s24
	v_mul_lo_u32 v3, v3, s25
	v_lshrrev_b32_e32 v7, s20, v7
	v_add3_u32 v2, v5, v2, v3
	v_mul_hi_u32 v5, s22, v7
	v_add_u32_e32 v5, v7, v5
	v_mul_lo_u32 v3, v7, s14
	v_lshrrev_b32_e32 v5, s23, v5
	s_add_i32 s80, s80, 4
	v_sub_u32_e32 v3, v6, v3
	v_mul_lo_u32 v6, v5, s21
	s_add_u32 s76, s76, 16
	v_sub_u32_e32 v6, v7, v6
	s_addc_u32 s77, s77, 0
	v_mul_lo_u32 v3, v3, s26
	v_mul_lo_u32 v6, v6, s27
	s_cmp_eq_u32 s78, s80
	v_add3_u32 v2, v3, v2, v6
	s_cbranch_scc0 .LBB15_120
	s_branch .LBB15_127
.LBB15_121:
	s_or_b64 exec, exec, s[70:71]
	s_mov_b64 s[0:1], 0
	s_and_saveexec_b64 s[2:3], s[68:69]
	s_cbranch_execnz .LBB15_422
.LBB15_122:
	s_or_b64 exec, exec, s[2:3]
	s_and_saveexec_b64 s[2:3], s[74:75]
	s_xor_b64 s[2:3], exec, s[2:3]
	s_cbranch_execz .LBB15_423
.LBB15_123:
	global_store_byte v[6:7], v11, off
	s_or_b64 exec, exec, s[2:3]
	s_and_saveexec_b64 s[2:3], s[8:9]
	s_xor_b64 s[2:3], exec, s[2:3]
	s_cbranch_execz .LBB15_461
	s_branch .LBB15_424
.LBB15_124:
                                        ; implicit-def: $vgpr2
	s_andn2_b64 vcc, exec, s[8:9]
	s_cbranch_vccz .LBB15_131
	s_branch .LBB15_133
.LBB15_125:
	v_mov_b32_e32 v2, 0
	s_branch .LBB15_130
.LBB15_126:
	v_mov_b32_e32 v5, v10
.LBB15_127:
	s_and_b32 s12, s79, 3
	s_cmp_eq_u32 s12, 0
	s_cbranch_scc1 .LBB15_130
; %bb.128:
	s_lshl_b32 s8, s78, 2
	s_add_u32 s8, s8, s4
	s_addc_u32 s9, s5, 0
	s_add_u32 s8, s8, 0xc4
	s_addc_u32 s9, s9, 0
	s_mul_i32 s10, s78, 12
	s_add_u32 s10, s4, s10
	s_addc_u32 s11, s5, 0
.LBB15_129:                             ; =>This Inner Loop Header: Depth=1
	s_load_dwordx2 s[14:15], s[10:11], 0x4
	s_load_dword s13, s[10:11], 0xc
	s_load_dword s20, s[8:9], 0x0
	s_add_u32 s10, s10, 12
	s_addc_u32 s11, s11, 0
	s_waitcnt lgkmcnt(0)
	v_mul_hi_u32 v3, s15, v5
	v_add_u32_e32 v3, v5, v3
	v_lshrrev_b32_e32 v3, s13, v3
	s_add_u32 s8, s8, 4
	v_mul_lo_u32 v6, v3, s14
	s_addc_u32 s9, s9, 0
	s_add_i32 s12, s12, -1
	v_sub_u32_e32 v6, v5, v6
	s_cmp_lg_u32 s12, 0
	v_mov_b32_e32 v5, v3
	v_mad_u64_u32 v[2:3], s[14:15], v6, s20, v[2:3]
	s_cbranch_scc1 .LBB15_129
.LBB15_130:
	s_cbranch_execnz .LBB15_133
.LBB15_131:
	v_mul_hi_u32 v2, s17, v10
	v_add_u32_e32 v2, v10, v2
	v_lshrrev_b32_e32 v3, s18, v2
	v_mul_lo_u32 v2, v3, s16
	v_sub_u32_e32 v2, v10, v2
	s_andn2_b64 vcc, exec, s[62:63]
	v_mul_lo_u32 v2, v2, s58
	s_cbranch_vccnz .LBB15_133
; %bb.132:
	v_mul_hi_u32 v5, s60, v3
	v_add_u32_e32 v5, v3, v5
	v_lshrrev_b32_e32 v5, s61, v5
	v_mul_lo_u32 v5, v5, s19
	v_sub_u32_e32 v3, v3, v5
	v_mad_u64_u32 v[2:3], s[8:9], v3, s59, v[2:3]
.LBB15_133:
	v_mov_b32_e32 v3, s57
	v_add_co_u32_e32 v6, vcc, s56, v2
	v_addc_co_u32_e32 v7, vcc, 0, v3, vcc
	v_cmp_gt_i16_e32 vcc, 11, v8
	s_cbranch_vccnz .LBB15_140
; %bb.134:
	v_cmp_lt_i16_e32 vcc, 25, v8
	s_cbranch_vccz .LBB15_143
; %bb.135:
	v_cmp_lt_i16_e32 vcc, 28, v8
	s_cbranch_vccz .LBB15_144
	;; [unrolled: 3-line block ×4, first 2 shown]
; %bb.138:
	v_cmp_eq_u16_e32 vcc, 46, v8
	s_mov_b64 s[12:13], 0
	s_mov_b64 s[8:9], -1
	s_mov_b64 s[10:11], 0
	s_cbranch_vccz .LBB15_147
; %bb.139:
	global_store_dword v[6:7], v13, off
	s_mov_b64 s[10:11], -1
	s_mov_b64 s[8:9], 0
	s_branch .LBB15_147
.LBB15_140:
	s_mov_b64 s[10:11], 0
	s_mov_b64 s[8:9], s[68:69]
	s_cbranch_execnz .LBB15_192
.LBB15_141:
	s_andn2_b64 vcc, exec, s[10:11]
	s_cbranch_vccnz .LBB15_230
.LBB15_142:
	v_add_u32_e32 v10, 0x80, v10
	s_mov_b64 s[10:11], -1
	s_branch .LBB15_231
.LBB15_143:
	s_mov_b64 s[12:13], -1
	s_mov_b64 s[10:11], 0
	s_mov_b64 s[8:9], s[68:69]
	s_branch .LBB15_169
.LBB15_144:
	s_mov_b64 s[12:13], -1
	s_mov_b64 s[10:11], 0
	s_mov_b64 s[8:9], s[68:69]
	s_branch .LBB15_155
.LBB15_145:
	s_mov_b64 s[12:13], -1
	s_mov_b64 s[10:11], 0
	s_mov_b64 s[8:9], s[68:69]
	s_branch .LBB15_151
.LBB15_146:
	s_mov_b64 s[12:13], -1
	s_mov_b64 s[10:11], 0
	s_mov_b64 s[8:9], s[68:69]
.LBB15_147:
	s_and_b64 vcc, exec, s[12:13]
	s_cbranch_vccz .LBB15_150
; %bb.148:
	v_cmp_eq_u16_e32 vcc, 44, v8
	s_mov_b64 s[8:9], -1
	s_cbranch_vccz .LBB15_150
; %bb.149:
	v_mov_b32_e32 v2, 0xff
	v_cndmask_b32_e64 v2, v16, v2, s[6:7]
	s_mov_b64 s[10:11], -1
	s_mov_b64 s[8:9], 0
	global_store_byte v[6:7], v2, off
.LBB15_150:
	s_mov_b64 s[12:13], 0
.LBB15_151:
	s_and_b64 vcc, exec, s[12:13]
	s_cbranch_vccz .LBB15_154
; %bb.152:
	v_cmp_eq_u16_e32 vcc, 29, v8
	s_mov_b64 s[8:9], -1
	s_cbranch_vccz .LBB15_154
; %bb.153:
	v_pk_mov_b32 v[2:3], s[38:39], s[38:39] op_sel:[0,1]
	global_store_dwordx2 v[6:7], v[2:3], off
	s_mov_b64 s[10:11], -1
	s_mov_b64 s[8:9], 0
.LBB15_154:
	s_mov_b64 s[12:13], 0
.LBB15_155:
	s_and_b64 vcc, exec, s[12:13]
	s_cbranch_vccz .LBB15_168
; %bb.156:
	v_cmp_gt_i16_e32 vcc, 27, v8
	s_mov_b64 s[10:11], -1
	s_cbranch_vccnz .LBB15_162
; %bb.157:
	v_cmp_lt_i16_e32 vcc, 27, v8
	s_cbranch_vccz .LBB15_159
; %bb.158:
	v_mov_b32_e32 v2, s83
	s_mov_b64 s[10:11], 0
	global_store_dword v[6:7], v2, off
.LBB15_159:
	s_andn2_b64 vcc, exec, s[10:11]
	s_cbranch_vccnz .LBB15_161
; %bb.160:
	v_mov_b32_e32 v2, s82
	global_store_short v[6:7], v2, off
.LBB15_161:
	s_mov_b64 s[10:11], 0
.LBB15_162:
	s_andn2_b64 vcc, exec, s[10:11]
	s_cbranch_vccnz .LBB15_167
; %bb.163:
	s_andn2_b64 vcc, exec, s[52:53]
	v_mov_b32_e32 v2, 0x80
	s_cbranch_vccnz .LBB15_166
; %bb.164:
	s_or_b64 s[10:11], s[2:3], s[54:55]
	s_andn2_b64 vcc, exec, s[10:11]
	v_mov_b32_e32 v2, 0
	s_cbranch_vccnz .LBB15_166
; %bb.165:
	v_mov_b32_e32 v2, s91
	v_cndmask_b32_e64 v2, v15, v2, s[2:3]
	v_or_b32_e32 v2, v2, v12
.LBB15_166:
	global_store_byte v[6:7], v2, off
.LBB15_167:
	s_mov_b64 s[10:11], -1
.LBB15_168:
	s_mov_b64 s[12:13], 0
.LBB15_169:
	s_and_b64 vcc, exec, s[12:13]
	s_cbranch_vccz .LBB15_191
; %bb.170:
	v_cmp_lt_i16_e32 vcc, 22, v8
	s_mov_b64 s[12:13], -1
	s_cbranch_vccz .LBB15_183
; %bb.171:
	v_cmp_gt_i16_e32 vcc, 24, v8
	s_mov_b64 s[10:11], -1
	s_cbranch_vccnz .LBB15_180
; %bb.172:
	v_cmp_lt_i16_e32 vcc, 24, v8
	s_cbranch_vccz .LBB15_177
; %bb.173:
	s_andn2_b64 vcc, exec, s[48:49]
	v_mov_b32_e32 v2, 0x80
	s_cbranch_vccnz .LBB15_176
; %bb.174:
	s_or_b64 s[10:11], s[0:1], s[50:51]
	s_andn2_b64 vcc, exec, s[10:11]
	v_mov_b32_e32 v2, 0
	s_cbranch_vccnz .LBB15_176
; %bb.175:
	v_mov_b32_e32 v2, s89
	v_cndmask_b32_e64 v2, v14, v2, s[0:1]
	v_or_b32_e32 v2, v2, v12
.LBB15_176:
	s_mov_b64 s[10:11], 0
	global_store_byte v[6:7], v2, off
.LBB15_177:
	s_and_b64 vcc, exec, s[10:11]
	s_cbranch_vccz .LBB15_179
; %bb.178:
	s_and_b64 s[10:11], s[46:47], exec
	s_cselect_b32 s12, s88, s87
	s_and_b64 s[10:11], s[44:45], exec
	s_cselect_b32 s10, s90, s12
	v_or_b32_e32 v2, s10, v12
	global_store_byte v[6:7], v2, off
.LBB15_179:
	s_mov_b64 s[10:11], 0
.LBB15_180:
	s_andn2_b64 vcc, exec, s[10:11]
	s_cbranch_vccnz .LBB15_182
; %bb.181:
	s_and_b64 s[10:11], s[42:43], exec
	s_cselect_b32 s12, s85, s84
	s_and_b64 s[10:11], s[40:41], exec
	s_cselect_b32 s10, s86, s12
	v_or_b32_e32 v2, s10, v12
	global_store_byte v[6:7], v2, off
.LBB15_182:
	s_mov_b64 s[12:13], 0
	s_mov_b64 s[10:11], -1
.LBB15_183:
	s_andn2_b64 vcc, exec, s[12:13]
	s_cbranch_vccnz .LBB15_191
; %bb.184:
	v_cmp_lt_i16_e32 vcc, 14, v8
	s_mov_b64 s[12:13], -1
	s_cbranch_vccz .LBB15_188
; %bb.185:
	v_cmp_eq_u16_e32 vcc, 15, v8
	s_mov_b64 s[8:9], -1
	s_cbranch_vccz .LBB15_187
; %bb.186:
	global_store_short v[6:7], v13, off
	s_mov_b64 s[10:11], -1
	s_mov_b64 s[8:9], 0
.LBB15_187:
	s_mov_b64 s[12:13], 0
.LBB15_188:
	s_and_b64 vcc, exec, s[12:13]
	s_cbranch_vccz .LBB15_191
; %bb.189:
	v_cmp_eq_u16_e32 vcc, 11, v8
	s_mov_b64 s[8:9], -1
	s_cbranch_vccz .LBB15_191
; %bb.190:
	s_mov_b64 s[10:11], -1
	s_mov_b64 s[8:9], 0
	global_store_byte v[6:7], v11, off
.LBB15_191:
	s_branch .LBB15_141
.LBB15_192:
	v_cmp_gt_i16_e32 vcc, 5, v8
	s_mov_b64 s[10:11], -1
	s_cbranch_vccnz .LBB15_213
; %bb.193:
	v_cmp_gt_i16_e32 vcc, 8, v8
	s_cbranch_vccnz .LBB15_203
; %bb.194:
	v_cmp_gt_i16_e32 vcc, 9, v8
	s_cbranch_vccnz .LBB15_200
; %bb.195:
	v_cmp_lt_i16_e32 vcc, 9, v8
	s_cbranch_vccz .LBB15_197
; %bb.196:
	v_mov_b32_e32 v2, 0
	v_mov_b32_e32 v3, v2
	s_mov_b64 s[10:11], 0
	global_store_dwordx4 v[6:7], v[0:3], off
.LBB15_197:
	s_andn2_b64 vcc, exec, s[10:11]
	s_cbranch_vccnz .LBB15_199
; %bb.198:
	v_mov_b32_e32 v5, 0
	global_store_dwordx2 v[6:7], v[4:5], off
.LBB15_199:
	s_mov_b64 s[10:11], 0
.LBB15_200:
	s_andn2_b64 vcc, exec, s[10:11]
	s_cbranch_vccnz .LBB15_202
; %bb.201:
	global_store_dword v[6:7], v9, off
.LBB15_202:
	s_mov_b64 s[10:11], 0
.LBB15_203:
	s_andn2_b64 vcc, exec, s[10:11]
	s_cbranch_vccnz .LBB15_212
; %bb.204:
	v_cmp_gt_i16_e32 vcc, 6, v8
	s_mov_b64 s[10:11], -1
	s_cbranch_vccnz .LBB15_210
; %bb.205:
	v_cmp_lt_i16_e32 vcc, 6, v8
	s_cbranch_vccz .LBB15_207
; %bb.206:
	s_mov_b64 s[10:11], 0
	global_store_dwordx2 v[6:7], v[0:1], off
.LBB15_207:
	s_andn2_b64 vcc, exec, s[10:11]
	s_cbranch_vccnz .LBB15_209
; %bb.208:
	global_store_dword v[6:7], v4, off
.LBB15_209:
	s_mov_b64 s[10:11], 0
.LBB15_210:
	s_andn2_b64 vcc, exec, s[10:11]
	s_cbranch_vccnz .LBB15_212
; %bb.211:
	global_store_short v[6:7], v9, off
.LBB15_212:
	s_mov_b64 s[10:11], 0
.LBB15_213:
	s_andn2_b64 vcc, exec, s[10:11]
	s_cbranch_vccnz .LBB15_229
; %bb.214:
	v_cmp_gt_i16_e32 vcc, 2, v8
	s_mov_b64 s[10:11], -1
	s_cbranch_vccnz .LBB15_224
; %bb.215:
	v_cmp_gt_i16_e32 vcc, 3, v8
	s_cbranch_vccnz .LBB15_221
; %bb.216:
	v_cmp_lt_i16_e32 vcc, 3, v8
	s_cbranch_vccz .LBB15_218
; %bb.217:
	v_pk_mov_b32 v[2:3], s[38:39], s[38:39] op_sel:[0,1]
	s_mov_b64 s[10:11], 0
	global_store_dwordx2 v[6:7], v[2:3], off
.LBB15_218:
	s_andn2_b64 vcc, exec, s[10:11]
	s_cbranch_vccnz .LBB15_220
; %bb.219:
	v_mov_b32_e32 v2, s83
	global_store_dword v[6:7], v2, off
.LBB15_220:
	s_mov_b64 s[10:11], 0
.LBB15_221:
	s_andn2_b64 vcc, exec, s[10:11]
	s_cbranch_vccnz .LBB15_223
; %bb.222:
	v_mov_b32_e32 v2, s82
	global_store_short v[6:7], v2, off
.LBB15_223:
	s_mov_b64 s[10:11], 0
.LBB15_224:
	s_andn2_b64 vcc, exec, s[10:11]
	s_cbranch_vccnz .LBB15_229
; %bb.225:
	v_cmp_lt_i16_e32 vcc, 0, v8
	s_mov_b64 s[10:11], -1
	s_cbranch_vccz .LBB15_227
; %bb.226:
	v_mov_b32_e32 v2, s36
	s_mov_b64 s[10:11], 0
	global_store_byte v[6:7], v2, off
.LBB15_227:
	s_andn2_b64 vcc, exec, s[10:11]
	s_cbranch_vccnz .LBB15_229
; %bb.228:
	v_mov_b32_e32 v2, s36
	global_store_byte v[6:7], v2, off
.LBB15_229:
	s_branch .LBB15_142
.LBB15_230:
	s_mov_b64 s[10:11], 0
                                        ; implicit-def: $vgpr10
.LBB15_231:
	s_andn2_b64 s[12:13], s[68:69], exec
	s_and_b64 s[8:9], s[8:9], exec
	s_or_b64 s[72:73], s[12:13], s[8:9]
	s_orn2_b64 s[8:9], s[10:11], exec
.LBB15_232:
	s_or_b64 exec, exec, s[74:75]
	s_mov_b64 s[10:11], 0
	s_mov_b64 s[12:13], 0
                                        ; implicit-def: $vgpr6_vgpr7
	s_and_saveexec_b64 s[74:75], s[8:9]
	s_cbranch_execz .LBB15_421
; %bb.233:
	v_cmp_gt_i32_e32 vcc, s92, v10
	s_mov_b64 s[10:11], -1
	s_mov_b64 s[78:79], s[72:73]
	s_and_saveexec_b64 s[76:77], vcc
	s_cbranch_execz .LBB15_349
; %bb.234:
	s_andn2_b64 vcc, exec, s[30:31]
	s_cbranch_vccnz .LBB15_239
; %bb.235:
	s_andn2_b64 vcc, exec, s[66:67]
	s_cbranch_vccnz .LBB15_240
; %bb.236:
	s_add_i32 s95, s93, 1
	s_mov_b32 s94, 0
	s_cmp_eq_u32 s37, 2
	v_mov_b32_e32 v2, 0
	s_cbranch_scc1 .LBB15_241
; %bb.237:
	s_and_b32 s94, s95, 28
	s_mov_b32 vcc_lo, 0
	v_mov_b32_e32 v2, 0
	s_mov_b64 s[78:79], s[4:5]
	s_mov_b64 s[80:81], s[64:65]
	v_mov_b32_e32 v5, v10
.LBB15_238:                             ; =>This Inner Loop Header: Depth=1
	s_load_dwordx8 s[8:15], s[78:79], 0x4
	s_load_dwordx4 s[20:23], s[78:79], 0x24
	s_load_dwordx4 s[24:27], s[80:81], 0x0
	s_add_u32 s78, s78, 48
	s_addc_u32 s79, s79, 0
	s_waitcnt lgkmcnt(0)
	v_mul_hi_u32 v3, s9, v5
	v_add_u32_e32 v3, v5, v3
	v_lshrrev_b32_e32 v3, s10, v3
	v_mul_lo_u32 v6, v3, s8
	v_mul_hi_u32 v7, s12, v3
	v_sub_u32_e32 v5, v5, v6
	v_add_u32_e32 v6, v3, v7
	v_lshrrev_b32_e32 v6, s13, v6
	v_mul_lo_u32 v7, v6, s11
	v_mul_hi_u32 v17, s15, v6
	v_sub_u32_e32 v3, v3, v7
	v_add_u32_e32 v7, v6, v17
	v_mul_lo_u32 v5, v5, s24
	v_mul_lo_u32 v3, v3, s25
	v_lshrrev_b32_e32 v7, s20, v7
	v_add3_u32 v2, v5, v2, v3
	v_mul_hi_u32 v5, s22, v7
	v_add_u32_e32 v5, v7, v5
	v_mul_lo_u32 v3, v7, s14
	v_lshrrev_b32_e32 v5, s23, v5
	s_add_i32 vcc_lo, vcc_lo, 4
	v_sub_u32_e32 v3, v6, v3
	v_mul_lo_u32 v6, v5, s21
	s_add_u32 s80, s80, 16
	v_sub_u32_e32 v6, v7, v6
	s_addc_u32 s81, s81, 0
	v_mul_lo_u32 v3, v3, s26
	v_mul_lo_u32 v6, v6, s27
	s_cmp_eq_u32 s94, vcc_lo
	v_add3_u32 v2, v3, v2, v6
	s_cbranch_scc0 .LBB15_238
	s_branch .LBB15_242
.LBB15_239:
	s_mov_b64 s[8:9], -1
                                        ; implicit-def: $vgpr2
	s_branch .LBB15_246
.LBB15_240:
	v_mov_b32_e32 v2, 0
	s_branch .LBB15_245
.LBB15_241:
	v_mov_b32_e32 v5, v10
.LBB15_242:
	s_and_b32 s12, s95, 3
	s_cmp_eq_u32 s12, 0
	s_cbranch_scc1 .LBB15_245
; %bb.243:
	s_lshl_b32 s8, s94, 2
	s_add_u32 s8, s8, s4
	s_addc_u32 s9, s5, 0
	s_add_u32 s8, s8, 0xc4
	s_addc_u32 s9, s9, 0
	s_mul_i32 s10, s94, 12
	s_add_u32 s10, s4, s10
	s_addc_u32 s11, s5, 0
.LBB15_244:                             ; =>This Inner Loop Header: Depth=1
	s_load_dwordx2 s[14:15], s[10:11], 0x4
	s_load_dword s13, s[10:11], 0xc
	s_load_dword s20, s[8:9], 0x0
	s_add_u32 s10, s10, 12
	s_addc_u32 s11, s11, 0
	s_waitcnt lgkmcnt(0)
	v_mul_hi_u32 v3, s15, v5
	v_add_u32_e32 v3, v5, v3
	v_lshrrev_b32_e32 v3, s13, v3
	s_add_u32 s8, s8, 4
	v_mul_lo_u32 v6, v3, s14
	s_addc_u32 s9, s9, 0
	s_add_i32 s12, s12, -1
	v_sub_u32_e32 v6, v5, v6
	s_cmp_lg_u32 s12, 0
	v_mov_b32_e32 v5, v3
	v_mad_u64_u32 v[2:3], s[14:15], v6, s20, v[2:3]
	s_cbranch_scc1 .LBB15_244
.LBB15_245:
	s_mov_b64 s[8:9], 0
.LBB15_246:
	s_andn2_b64 vcc, exec, s[8:9]
	s_cbranch_vccnz .LBB15_249
; %bb.247:
	v_mul_hi_u32 v2, s17, v10
	v_add_u32_e32 v2, v10, v2
	v_lshrrev_b32_e32 v3, s18, v2
	v_mul_lo_u32 v2, v3, s16
	v_sub_u32_e32 v2, v10, v2
	s_andn2_b64 vcc, exec, s[62:63]
	v_mul_lo_u32 v2, v2, s58
	s_cbranch_vccnz .LBB15_249
; %bb.248:
	v_mul_hi_u32 v5, s60, v3
	v_add_u32_e32 v5, v3, v5
	v_lshrrev_b32_e32 v5, s61, v5
	v_mul_lo_u32 v5, v5, s19
	v_sub_u32_e32 v3, v3, v5
	v_mad_u64_u32 v[2:3], s[8:9], v3, s59, v[2:3]
.LBB15_249:
	v_mov_b32_e32 v3, s57
	v_add_co_u32_e32 v6, vcc, s56, v2
	v_addc_co_u32_e32 v7, vcc, 0, v3, vcc
	v_cmp_gt_i16_e32 vcc, 11, v8
	s_cbranch_vccnz .LBB15_256
; %bb.250:
	v_cmp_lt_i16_e32 vcc, 25, v8
	s_cbranch_vccz .LBB15_257
; %bb.251:
	v_cmp_lt_i16_e32 vcc, 28, v8
	s_cbranch_vccz .LBB15_258
	;; [unrolled: 3-line block ×4, first 2 shown]
; %bb.254:
	v_cmp_eq_u16_e32 vcc, 46, v8
	s_mov_b64 s[12:13], 0
	s_mov_b64 s[8:9], -1
	s_mov_b64 s[10:11], 0
	s_cbranch_vccz .LBB15_261
; %bb.255:
	global_store_dword v[6:7], v13, off
	s_mov_b64 s[10:11], -1
	s_mov_b64 s[8:9], 0
	s_branch .LBB15_261
.LBB15_256:
	s_mov_b64 s[12:13], -1
	s_mov_b64 s[10:11], 0
	s_mov_b64 s[8:9], s[72:73]
	s_branch .LBB15_306
.LBB15_257:
	s_mov_b64 s[12:13], -1
	s_mov_b64 s[10:11], 0
	s_mov_b64 s[8:9], s[72:73]
	s_branch .LBB15_283
.LBB15_258:
	s_mov_b64 s[12:13], -1
	s_mov_b64 s[10:11], 0
	s_mov_b64 s[8:9], s[72:73]
	s_branch .LBB15_269
.LBB15_259:
	s_mov_b64 s[12:13], -1
	s_mov_b64 s[10:11], 0
	s_mov_b64 s[8:9], s[72:73]
	s_branch .LBB15_265
.LBB15_260:
	s_mov_b64 s[12:13], -1
	s_mov_b64 s[10:11], 0
	s_mov_b64 s[8:9], s[72:73]
.LBB15_261:
	s_and_b64 vcc, exec, s[12:13]
	s_cbranch_vccz .LBB15_264
; %bb.262:
	v_cmp_eq_u16_e32 vcc, 44, v8
	s_mov_b64 s[8:9], -1
	s_cbranch_vccz .LBB15_264
; %bb.263:
	v_mov_b32_e32 v2, 0xff
	v_cndmask_b32_e64 v2, v16, v2, s[6:7]
	s_mov_b64 s[10:11], -1
	s_mov_b64 s[8:9], 0
	global_store_byte v[6:7], v2, off
.LBB15_264:
	s_mov_b64 s[12:13], 0
.LBB15_265:
	s_and_b64 vcc, exec, s[12:13]
	s_cbranch_vccz .LBB15_268
; %bb.266:
	v_cmp_eq_u16_e32 vcc, 29, v8
	s_mov_b64 s[8:9], -1
	s_cbranch_vccz .LBB15_268
; %bb.267:
	v_pk_mov_b32 v[2:3], s[38:39], s[38:39] op_sel:[0,1]
	global_store_dwordx2 v[6:7], v[2:3], off
	s_mov_b64 s[10:11], -1
	s_mov_b64 s[8:9], 0
.LBB15_268:
	s_mov_b64 s[12:13], 0
.LBB15_269:
	s_and_b64 vcc, exec, s[12:13]
	s_cbranch_vccz .LBB15_282
; %bb.270:
	v_cmp_gt_i16_e32 vcc, 27, v8
	s_mov_b64 s[10:11], -1
	s_cbranch_vccnz .LBB15_276
; %bb.271:
	v_cmp_lt_i16_e32 vcc, 27, v8
	s_cbranch_vccz .LBB15_273
; %bb.272:
	v_mov_b32_e32 v2, s83
	s_mov_b64 s[10:11], 0
	global_store_dword v[6:7], v2, off
.LBB15_273:
	s_andn2_b64 vcc, exec, s[10:11]
	s_cbranch_vccnz .LBB15_275
; %bb.274:
	v_mov_b32_e32 v2, s82
	global_store_short v[6:7], v2, off
.LBB15_275:
	s_mov_b64 s[10:11], 0
.LBB15_276:
	s_andn2_b64 vcc, exec, s[10:11]
	s_cbranch_vccnz .LBB15_281
; %bb.277:
	s_andn2_b64 vcc, exec, s[52:53]
	v_mov_b32_e32 v2, 0x80
	s_cbranch_vccnz .LBB15_280
; %bb.278:
	s_or_b64 s[10:11], s[2:3], s[54:55]
	s_andn2_b64 vcc, exec, s[10:11]
	v_mov_b32_e32 v2, 0
	s_cbranch_vccnz .LBB15_280
; %bb.279:
	v_mov_b32_e32 v2, s91
	v_cndmask_b32_e64 v2, v15, v2, s[2:3]
	v_or_b32_e32 v2, v2, v12
.LBB15_280:
	global_store_byte v[6:7], v2, off
.LBB15_281:
	s_mov_b64 s[10:11], -1
.LBB15_282:
	s_mov_b64 s[12:13], 0
.LBB15_283:
	s_and_b64 vcc, exec, s[12:13]
	s_cbranch_vccz .LBB15_305
; %bb.284:
	v_cmp_lt_i16_e32 vcc, 22, v8
	s_mov_b64 s[12:13], -1
	s_cbranch_vccz .LBB15_297
; %bb.285:
	v_cmp_gt_i16_e32 vcc, 24, v8
	s_mov_b64 s[10:11], -1
	s_cbranch_vccnz .LBB15_294
; %bb.286:
	v_cmp_lt_i16_e32 vcc, 24, v8
	s_cbranch_vccz .LBB15_291
; %bb.287:
	s_andn2_b64 vcc, exec, s[48:49]
	v_mov_b32_e32 v2, 0x80
	s_cbranch_vccnz .LBB15_290
; %bb.288:
	s_or_b64 s[10:11], s[0:1], s[50:51]
	s_andn2_b64 vcc, exec, s[10:11]
	v_mov_b32_e32 v2, 0
	s_cbranch_vccnz .LBB15_290
; %bb.289:
	v_mov_b32_e32 v2, s89
	v_cndmask_b32_e64 v2, v14, v2, s[0:1]
	v_or_b32_e32 v2, v2, v12
.LBB15_290:
	s_mov_b64 s[10:11], 0
	global_store_byte v[6:7], v2, off
.LBB15_291:
	s_and_b64 vcc, exec, s[10:11]
	s_cbranch_vccz .LBB15_293
; %bb.292:
	s_and_b64 s[10:11], s[46:47], exec
	s_cselect_b32 s12, s88, s87
	s_and_b64 s[10:11], s[44:45], exec
	s_cselect_b32 s10, s90, s12
	v_or_b32_e32 v2, s10, v12
	global_store_byte v[6:7], v2, off
.LBB15_293:
	s_mov_b64 s[10:11], 0
.LBB15_294:
	s_andn2_b64 vcc, exec, s[10:11]
	s_cbranch_vccnz .LBB15_296
; %bb.295:
	s_and_b64 s[10:11], s[42:43], exec
	s_cselect_b32 s12, s85, s84
	s_and_b64 s[10:11], s[40:41], exec
	s_cselect_b32 s10, s86, s12
	v_or_b32_e32 v2, s10, v12
	global_store_byte v[6:7], v2, off
.LBB15_296:
	s_mov_b64 s[12:13], 0
	s_mov_b64 s[10:11], -1
.LBB15_297:
	s_andn2_b64 vcc, exec, s[12:13]
	s_cbranch_vccnz .LBB15_305
; %bb.298:
	v_cmp_lt_i16_e32 vcc, 14, v8
	s_mov_b64 s[12:13], -1
	s_cbranch_vccz .LBB15_302
; %bb.299:
	v_cmp_eq_u16_e32 vcc, 15, v8
	s_mov_b64 s[8:9], -1
	s_cbranch_vccz .LBB15_301
; %bb.300:
	global_store_short v[6:7], v13, off
	s_mov_b64 s[10:11], -1
	s_mov_b64 s[8:9], 0
.LBB15_301:
	s_mov_b64 s[12:13], 0
.LBB15_302:
	s_and_b64 vcc, exec, s[12:13]
	s_cbranch_vccz .LBB15_305
; %bb.303:
	v_cmp_eq_u16_e32 vcc, 11, v8
	s_mov_b64 s[8:9], -1
	s_cbranch_vccz .LBB15_305
; %bb.304:
	s_mov_b64 s[10:11], -1
	s_mov_b64 s[8:9], 0
	global_store_byte v[6:7], v11, off
.LBB15_305:
	s_mov_b64 s[12:13], 0
.LBB15_306:
	s_and_b64 vcc, exec, s[12:13]
	s_cbranch_vccz .LBB15_345
; %bb.307:
	v_cmp_gt_i16_e32 vcc, 5, v8
	s_mov_b64 s[10:11], -1
	s_cbranch_vccnz .LBB15_328
; %bb.308:
	v_cmp_gt_i16_e32 vcc, 8, v8
	s_cbranch_vccnz .LBB15_318
; %bb.309:
	v_cmp_gt_i16_e32 vcc, 9, v8
	s_cbranch_vccnz .LBB15_315
; %bb.310:
	v_cmp_lt_i16_e32 vcc, 9, v8
	s_cbranch_vccz .LBB15_312
; %bb.311:
	v_mov_b32_e32 v2, 0
	v_mov_b32_e32 v3, v2
	s_mov_b64 s[10:11], 0
	global_store_dwordx4 v[6:7], v[0:3], off
.LBB15_312:
	s_andn2_b64 vcc, exec, s[10:11]
	s_cbranch_vccnz .LBB15_314
; %bb.313:
	v_mov_b32_e32 v5, 0
	global_store_dwordx2 v[6:7], v[4:5], off
.LBB15_314:
	s_mov_b64 s[10:11], 0
.LBB15_315:
	s_andn2_b64 vcc, exec, s[10:11]
	s_cbranch_vccnz .LBB15_317
; %bb.316:
	global_store_dword v[6:7], v9, off
.LBB15_317:
	s_mov_b64 s[10:11], 0
.LBB15_318:
	s_andn2_b64 vcc, exec, s[10:11]
	s_cbranch_vccnz .LBB15_327
; %bb.319:
	v_cmp_gt_i16_e32 vcc, 6, v8
	s_mov_b64 s[10:11], -1
	s_cbranch_vccnz .LBB15_325
; %bb.320:
	v_cmp_lt_i16_e32 vcc, 6, v8
	s_cbranch_vccz .LBB15_322
; %bb.321:
	s_mov_b64 s[10:11], 0
	global_store_dwordx2 v[6:7], v[0:1], off
.LBB15_322:
	s_andn2_b64 vcc, exec, s[10:11]
	s_cbranch_vccnz .LBB15_324
; %bb.323:
	global_store_dword v[6:7], v4, off
.LBB15_324:
	s_mov_b64 s[10:11], 0
.LBB15_325:
	s_andn2_b64 vcc, exec, s[10:11]
	s_cbranch_vccnz .LBB15_327
; %bb.326:
	global_store_short v[6:7], v9, off
.LBB15_327:
	s_mov_b64 s[10:11], 0
.LBB15_328:
	s_andn2_b64 vcc, exec, s[10:11]
	s_cbranch_vccnz .LBB15_344
; %bb.329:
	v_cmp_gt_i16_e32 vcc, 2, v8
	s_mov_b64 s[10:11], -1
	s_cbranch_vccnz .LBB15_339
; %bb.330:
	v_cmp_gt_i16_e32 vcc, 3, v8
	s_cbranch_vccnz .LBB15_336
; %bb.331:
	v_cmp_lt_i16_e32 vcc, 3, v8
	s_cbranch_vccz .LBB15_333
; %bb.332:
	v_pk_mov_b32 v[2:3], s[38:39], s[38:39] op_sel:[0,1]
	s_mov_b64 s[10:11], 0
	global_store_dwordx2 v[6:7], v[2:3], off
.LBB15_333:
	s_andn2_b64 vcc, exec, s[10:11]
	s_cbranch_vccnz .LBB15_335
; %bb.334:
	v_mov_b32_e32 v2, s83
	global_store_dword v[6:7], v2, off
.LBB15_335:
	s_mov_b64 s[10:11], 0
.LBB15_336:
	s_andn2_b64 vcc, exec, s[10:11]
	s_cbranch_vccnz .LBB15_338
; %bb.337:
	v_mov_b32_e32 v2, s82
	global_store_short v[6:7], v2, off
.LBB15_338:
	s_mov_b64 s[10:11], 0
.LBB15_339:
	s_andn2_b64 vcc, exec, s[10:11]
	s_cbranch_vccnz .LBB15_344
; %bb.340:
	v_cmp_lt_i16_e32 vcc, 0, v8
	s_mov_b64 s[10:11], -1
	s_cbranch_vccz .LBB15_342
; %bb.341:
	v_mov_b32_e32 v2, s36
	s_mov_b64 s[10:11], 0
	global_store_byte v[6:7], v2, off
.LBB15_342:
	s_andn2_b64 vcc, exec, s[10:11]
	s_cbranch_vccnz .LBB15_344
; %bb.343:
	v_mov_b32_e32 v2, s36
	global_store_byte v[6:7], v2, off
.LBB15_344:
	s_mov_b64 s[10:11], -1
.LBB15_345:
	s_andn2_b64 vcc, exec, s[10:11]
	s_cbranch_vccnz .LBB15_347
; %bb.346:
	v_add_u32_e32 v10, 0x80, v10
	s_mov_b64 s[10:11], -1
	s_branch .LBB15_348
.LBB15_347:
	s_mov_b64 s[10:11], 0
                                        ; implicit-def: $vgpr10
.LBB15_348:
	s_andn2_b64 s[12:13], s[72:73], exec
	s_and_b64 s[8:9], s[8:9], exec
	s_or_b64 s[78:79], s[12:13], s[8:9]
	s_orn2_b64 s[10:11], s[10:11], exec
.LBB15_349:
	s_or_b64 exec, exec, s[76:77]
	s_mov_b64 s[8:9], 0
	s_mov_b64 s[14:15], 0
                                        ; implicit-def: $vgpr6_vgpr7
	s_and_saveexec_b64 s[76:77], s[10:11]
	s_cbranch_execz .LBB15_420
; %bb.350:
	v_cmp_gt_i32_e32 vcc, s92, v10
	s_mov_b64 s[10:11], 0
	s_mov_b64 s[12:13], s[78:79]
                                        ; implicit-def: $vgpr6_vgpr7
	s_and_saveexec_b64 s[80:81], vcc
	s_cbranch_execz .LBB15_419
; %bb.351:
	s_andn2_b64 vcc, exec, s[30:31]
	s_cbranch_vccnz .LBB15_356
; %bb.352:
	s_andn2_b64 vcc, exec, s[66:67]
	s_cbranch_vccnz .LBB15_357
; %bb.353:
	s_add_i32 s93, s93, 1
	s_mov_b32 s92, 0
	s_cmp_eq_u32 s37, 2
	v_mov_b32_e32 v2, 0
	s_cbranch_scc1 .LBB15_358
; %bb.354:
	s_and_b32 s92, s93, 28
	s_mov_b32 s94, 0
	v_mov_b32_e32 v2, 0
	s_mov_b64 s[66:67], s[4:5]
	v_mov_b32_e32 v5, v10
.LBB15_355:                             ; =>This Inner Loop Header: Depth=1
	s_load_dwordx8 s[8:15], s[66:67], 0x4
	s_load_dwordx4 s[20:23], s[66:67], 0x24
	s_load_dwordx4 s[24:27], s[64:65], 0x0
	s_add_u32 s66, s66, 48
	s_addc_u32 s67, s67, 0
	s_waitcnt lgkmcnt(0)
	v_mul_hi_u32 v3, s9, v5
	v_add_u32_e32 v3, v5, v3
	v_lshrrev_b32_e32 v3, s10, v3
	v_mul_lo_u32 v6, v3, s8
	v_mul_hi_u32 v7, s12, v3
	v_sub_u32_e32 v5, v5, v6
	v_add_u32_e32 v6, v3, v7
	v_lshrrev_b32_e32 v6, s13, v6
	v_mul_lo_u32 v7, v6, s11
	v_mul_hi_u32 v17, s15, v6
	v_sub_u32_e32 v3, v3, v7
	v_add_u32_e32 v7, v6, v17
	v_mul_lo_u32 v5, v5, s24
	v_mul_lo_u32 v3, v3, s25
	v_lshrrev_b32_e32 v7, s20, v7
	v_add3_u32 v2, v5, v2, v3
	v_mul_hi_u32 v5, s22, v7
	v_add_u32_e32 v5, v7, v5
	v_mul_lo_u32 v3, v7, s14
	v_lshrrev_b32_e32 v5, s23, v5
	s_add_i32 s94, s94, 4
	v_sub_u32_e32 v3, v6, v3
	v_mul_lo_u32 v6, v5, s21
	s_add_u32 s64, s64, 16
	v_sub_u32_e32 v6, v7, v6
	s_addc_u32 s65, s65, 0
	v_mul_lo_u32 v3, v3, s26
	v_mul_lo_u32 v6, v6, s27
	s_cmp_eq_u32 s92, s94
	v_add3_u32 v2, v3, v2, v6
	s_cbranch_scc0 .LBB15_355
	s_branch .LBB15_359
.LBB15_356:
	s_mov_b64 s[8:9], -1
                                        ; implicit-def: $vgpr2
	s_branch .LBB15_363
.LBB15_357:
	v_mov_b32_e32 v2, 0
	s_branch .LBB15_362
.LBB15_358:
	v_mov_b32_e32 v5, v10
.LBB15_359:
	s_and_b32 s12, s93, 3
	s_cmp_eq_u32 s12, 0
	s_cbranch_scc1 .LBB15_362
; %bb.360:
	s_lshl_b32 s8, s92, 2
	s_add_u32 s8, s8, s4
	s_addc_u32 s9, s5, 0
	s_add_u32 s8, s8, 0xc4
	s_addc_u32 s9, s9, 0
	s_mul_i32 s10, s92, 12
	s_add_u32 s10, s4, s10
	s_addc_u32 s11, s5, 0
.LBB15_361:                             ; =>This Inner Loop Header: Depth=1
	s_load_dwordx2 s[14:15], s[10:11], 0x4
	s_load_dword s13, s[10:11], 0xc
	s_load_dword s20, s[8:9], 0x0
	s_add_u32 s10, s10, 12
	s_addc_u32 s11, s11, 0
	s_waitcnt lgkmcnt(0)
	v_mul_hi_u32 v3, s15, v5
	v_add_u32_e32 v3, v5, v3
	v_lshrrev_b32_e32 v3, s13, v3
	s_add_u32 s8, s8, 4
	v_mul_lo_u32 v6, v3, s14
	s_addc_u32 s9, s9, 0
	s_add_i32 s12, s12, -1
	v_sub_u32_e32 v6, v5, v6
	s_cmp_lg_u32 s12, 0
	v_mov_b32_e32 v5, v3
	v_mad_u64_u32 v[2:3], s[14:15], v6, s20, v[2:3]
	s_cbranch_scc1 .LBB15_361
.LBB15_362:
	s_mov_b64 s[8:9], 0
.LBB15_363:
	s_andn2_b64 vcc, exec, s[8:9]
	s_cbranch_vccnz .LBB15_366
; %bb.364:
	v_mul_hi_u32 v2, s17, v10
	v_add_u32_e32 v2, v10, v2
	v_lshrrev_b32_e32 v3, s18, v2
	v_mul_lo_u32 v2, v3, s16
	v_sub_u32_e32 v2, v10, v2
	s_andn2_b64 vcc, exec, s[62:63]
	v_mul_lo_u32 v2, v2, s58
	s_cbranch_vccnz .LBB15_366
; %bb.365:
	v_mul_hi_u32 v5, s60, v3
	v_add_u32_e32 v5, v3, v5
	v_lshrrev_b32_e32 v5, s61, v5
	v_mul_lo_u32 v5, v5, s19
	v_sub_u32_e32 v3, v3, v5
	v_mad_u64_u32 v[2:3], s[8:9], v3, s59, v[2:3]
.LBB15_366:
	v_mov_b32_e32 v3, s57
	v_add_co_u32_e32 v6, vcc, s56, v2
	v_addc_co_u32_e32 v7, vcc, 0, v3, vcc
	v_cmp_gt_i16_e32 vcc, 11, v8
	s_cbranch_vccnz .LBB15_416
; %bb.367:
	v_cmp_lt_i16_e32 vcc, 25, v8
	s_mov_b64 s[10:11], -1
	s_mov_b64 s[8:9], s[78:79]
	s_cbranch_vccz .LBB15_395
; %bb.368:
	v_cmp_lt_i16_e32 vcc, 28, v8
	s_mov_b64 s[8:9], s[78:79]
	s_cbranch_vccz .LBB15_382
; %bb.369:
	v_cmp_lt_i16_e32 vcc, 43, v8
	;; [unrolled: 4-line block ×3, first 2 shown]
	s_mov_b64 s[8:9], s[78:79]
	s_cbranch_vccz .LBB15_374
; %bb.371:
	v_cmp_eq_u16_e32 vcc, 46, v8
	s_mov_b64 s[8:9], -1
	s_cbranch_vccz .LBB15_373
; %bb.372:
	global_store_dword v[6:7], v13, off
	s_mov_b64 s[8:9], 0
.LBB15_373:
	s_mov_b64 s[10:11], 0
.LBB15_374:
	s_and_b64 vcc, exec, s[10:11]
	s_cbranch_vccz .LBB15_377
; %bb.375:
	v_cmp_eq_u16_e32 vcc, 44, v8
	s_mov_b64 s[8:9], -1
	s_cbranch_vccz .LBB15_377
; %bb.376:
	v_mov_b32_e32 v2, 0xff
	v_cndmask_b32_e64 v2, v16, v2, s[6:7]
	global_store_byte v[6:7], v2, off
	s_mov_b64 s[8:9], 0
.LBB15_377:
	s_mov_b64 s[10:11], 0
.LBB15_378:
	s_and_b64 vcc, exec, s[10:11]
	s_cbranch_vccz .LBB15_381
; %bb.379:
	v_cmp_eq_u16_e32 vcc, 29, v8
	s_mov_b64 s[8:9], -1
	s_cbranch_vccz .LBB15_381
; %bb.380:
	v_pk_mov_b32 v[2:3], s[38:39], s[38:39] op_sel:[0,1]
	global_store_dwordx2 v[6:7], v[2:3], off
	s_mov_b64 s[8:9], 0
.LBB15_381:
	s_mov_b64 s[10:11], 0
.LBB15_382:
	s_and_b64 vcc, exec, s[10:11]
	s_cbranch_vccz .LBB15_394
; %bb.383:
	v_cmp_gt_i16_e32 vcc, 27, v8
	s_mov_b64 s[6:7], -1
	s_cbranch_vccnz .LBB15_389
; %bb.384:
	v_cmp_lt_i16_e32 vcc, 27, v8
	s_cbranch_vccz .LBB15_386
; %bb.385:
	v_mov_b32_e32 v2, s83
	s_mov_b64 s[6:7], 0
	global_store_dword v[6:7], v2, off
.LBB15_386:
	s_andn2_b64 vcc, exec, s[6:7]
	s_cbranch_vccnz .LBB15_388
; %bb.387:
	v_mov_b32_e32 v2, s82
	global_store_short v[6:7], v2, off
.LBB15_388:
	s_mov_b64 s[6:7], 0
.LBB15_389:
	s_andn2_b64 vcc, exec, s[6:7]
	s_cbranch_vccnz .LBB15_394
; %bb.390:
	s_andn2_b64 vcc, exec, s[52:53]
	v_mov_b32_e32 v2, 0x80
	s_cbranch_vccnz .LBB15_393
; %bb.391:
	s_or_b64 s[6:7], s[2:3], s[54:55]
	s_andn2_b64 vcc, exec, s[6:7]
	v_mov_b32_e32 v2, 0
	s_cbranch_vccnz .LBB15_393
; %bb.392:
	v_mov_b32_e32 v2, s91
	v_cndmask_b32_e64 v2, v15, v2, s[2:3]
	v_or_b32_e32 v2, v2, v12
.LBB15_393:
	global_store_byte v[6:7], v2, off
.LBB15_394:
	s_mov_b64 s[10:11], 0
.LBB15_395:
	s_mov_b64 s[2:3], 0
	s_and_b64 vcc, exec, s[10:11]
	s_cbranch_vccz .LBB15_417
; %bb.396:
	v_cmp_lt_i16_e32 vcc, 22, v8
	s_mov_b64 s[6:7], -1
	s_cbranch_vccz .LBB15_409
; %bb.397:
	v_cmp_gt_i16_e32 vcc, 24, v8
	s_cbranch_vccnz .LBB15_406
; %bb.398:
	v_cmp_lt_i16_e32 vcc, 24, v8
	s_cbranch_vccz .LBB15_403
; %bb.399:
	s_andn2_b64 vcc, exec, s[48:49]
	v_mov_b32_e32 v2, 0x80
	s_cbranch_vccnz .LBB15_402
; %bb.400:
	s_or_b64 s[6:7], s[0:1], s[50:51]
	s_andn2_b64 vcc, exec, s[6:7]
	v_mov_b32_e32 v2, 0
	s_cbranch_vccnz .LBB15_402
; %bb.401:
	v_mov_b32_e32 v2, s89
	v_cndmask_b32_e64 v2, v14, v2, s[0:1]
	v_or_b32_e32 v2, v2, v12
.LBB15_402:
	s_mov_b64 s[6:7], 0
	global_store_byte v[6:7], v2, off
.LBB15_403:
	s_and_b64 vcc, exec, s[6:7]
	s_cbranch_vccz .LBB15_405
; %bb.404:
	s_and_b64 s[0:1], s[46:47], exec
	s_cselect_b32 s6, s88, s87
	s_and_b64 s[0:1], s[44:45], exec
	s_cselect_b32 s0, s90, s6
	v_or_b32_e32 v2, s0, v12
	global_store_byte v[6:7], v2, off
.LBB15_405:
	s_mov_b64 s[6:7], 0
.LBB15_406:
	s_andn2_b64 vcc, exec, s[6:7]
	s_cbranch_vccnz .LBB15_408
; %bb.407:
	s_and_b64 s[0:1], s[42:43], exec
	s_cselect_b32 s6, s85, s84
	s_and_b64 s[0:1], s[40:41], exec
	s_cselect_b32 s0, s86, s6
	v_or_b32_e32 v2, s0, v12
	global_store_byte v[6:7], v2, off
.LBB15_408:
	s_mov_b64 s[6:7], 0
.LBB15_409:
	s_andn2_b64 vcc, exec, s[6:7]
	s_mov_b64 s[0:1], 0
	s_cbranch_vccnz .LBB15_418
; %bb.410:
	v_cmp_lt_i16_e32 vcc, 14, v8
	s_mov_b64 s[6:7], -1
	s_cbranch_vccz .LBB15_414
; %bb.411:
	v_cmp_eq_u16_e32 vcc, 15, v8
	s_mov_b64 s[8:9], -1
	s_cbranch_vccz .LBB15_413
; %bb.412:
	global_store_short v[6:7], v13, off
	s_mov_b64 s[8:9], 0
.LBB15_413:
	s_mov_b64 s[6:7], 0
.LBB15_414:
	s_and_b64 vcc, exec, s[6:7]
	s_cbranch_vccz .LBB15_418
; %bb.415:
	v_cmp_ne_u16_e32 vcc, 11, v8
	s_andn2_b64 s[6:7], s[8:9], exec
	s_and_b64 s[8:9], vcc, exec
	s_mov_b64 s[0:1], -1
	s_or_b64 s[8:9], s[6:7], s[8:9]
	s_branch .LBB15_418
.LBB15_416:
	s_mov_b64 s[0:1], 0
	s_mov_b64 s[2:3], -1
	s_mov_b64 s[8:9], s[78:79]
	s_branch .LBB15_418
.LBB15_417:
	s_mov_b64 s[0:1], 0
.LBB15_418:
	s_and_b64 s[14:15], s[2:3], exec
	s_and_b64 s[10:11], s[0:1], exec
	s_andn2_b64 s[0:1], s[78:79], exec
	s_and_b64 s[2:3], s[8:9], exec
	s_or_b64 s[12:13], s[0:1], s[2:3]
.LBB15_419:
	s_or_b64 exec, exec, s[80:81]
	s_andn2_b64 s[0:1], s[78:79], exec
	s_and_b64 s[2:3], s[12:13], exec
	s_and_b64 s[14:15], s[14:15], exec
	;; [unrolled: 1-line block ×3, first 2 shown]
	s_or_b64 s[78:79], s[0:1], s[2:3]
.LBB15_420:
	s_or_b64 exec, exec, s[76:77]
	s_andn2_b64 s[0:1], s[72:73], exec
	s_and_b64 s[2:3], s[78:79], exec
	s_and_b64 s[12:13], s[14:15], exec
	;; [unrolled: 1-line block ×3, first 2 shown]
	s_or_b64 s[72:73], s[0:1], s[2:3]
.LBB15_421:
	s_or_b64 exec, exec, s[74:75]
	s_andn2_b64 s[0:1], s[68:69], exec
	s_and_b64 s[2:3], s[72:73], exec
	s_and_b64 s[8:9], s[12:13], exec
	;; [unrolled: 1-line block ×3, first 2 shown]
	s_or_b64 s[68:69], s[0:1], s[2:3]
	s_or_b64 exec, exec, s[70:71]
	s_mov_b64 s[0:1], 0
	s_and_saveexec_b64 s[2:3], s[68:69]
	s_cbranch_execz .LBB15_122
.LBB15_422:
	s_mov_b64 s[0:1], exec
	s_andn2_b64 s[74:75], s[74:75], exec
	s_trap 2
	s_or_b64 exec, exec, s[2:3]
	s_and_saveexec_b64 s[2:3], s[74:75]
	s_xor_b64 s[2:3], exec, s[2:3]
	s_cbranch_execnz .LBB15_123
.LBB15_423:
	s_or_b64 exec, exec, s[2:3]
	s_and_saveexec_b64 s[2:3], s[8:9]
	s_xor_b64 s[2:3], exec, s[2:3]
	s_cbranch_execz .LBB15_461
.LBB15_424:
	v_cmp_gt_i16_e32 vcc, 5, v8
	s_mov_b64 s[6:7], -1
	s_cbranch_vccnz .LBB15_445
; %bb.425:
	v_cmp_gt_i16_e32 vcc, 8, v8
	s_cbranch_vccnz .LBB15_435
; %bb.426:
	v_cmp_gt_i16_e32 vcc, 9, v8
	s_cbranch_vccnz .LBB15_432
; %bb.427:
	v_cmp_lt_i16_e32 vcc, 9, v8
	s_cbranch_vccz .LBB15_429
; %bb.428:
	v_mov_b32_e32 v2, 0
	v_mov_b32_e32 v3, v2
	s_mov_b64 s[6:7], 0
	global_store_dwordx4 v[6:7], v[0:3], off
.LBB15_429:
	s_andn2_b64 vcc, exec, s[6:7]
	s_cbranch_vccnz .LBB15_431
; %bb.430:
	v_mov_b32_e32 v5, 0
	global_store_dwordx2 v[6:7], v[4:5], off
.LBB15_431:
	s_mov_b64 s[6:7], 0
.LBB15_432:
	s_andn2_b64 vcc, exec, s[6:7]
	s_cbranch_vccnz .LBB15_434
; %bb.433:
	global_store_dword v[6:7], v9, off
.LBB15_434:
	s_mov_b64 s[6:7], 0
.LBB15_435:
	s_andn2_b64 vcc, exec, s[6:7]
	s_cbranch_vccnz .LBB15_444
; %bb.436:
	v_cmp_gt_i16_e32 vcc, 6, v8
	s_mov_b64 s[6:7], -1
	s_cbranch_vccnz .LBB15_442
; %bb.437:
	v_cmp_lt_i16_e32 vcc, 6, v8
	s_cbranch_vccz .LBB15_439
; %bb.438:
	s_mov_b64 s[6:7], 0
	global_store_dwordx2 v[6:7], v[0:1], off
.LBB15_439:
	s_andn2_b64 vcc, exec, s[6:7]
	s_cbranch_vccnz .LBB15_441
; %bb.440:
	global_store_dword v[6:7], v4, off
.LBB15_441:
	s_mov_b64 s[6:7], 0
.LBB15_442:
	s_andn2_b64 vcc, exec, s[6:7]
	s_cbranch_vccnz .LBB15_444
; %bb.443:
	global_store_short v[6:7], v9, off
.LBB15_444:
	s_mov_b64 s[6:7], 0
.LBB15_445:
	s_andn2_b64 vcc, exec, s[6:7]
	s_cbranch_vccnz .LBB15_461
; %bb.446:
	v_cmp_gt_i16_e32 vcc, 2, v8
	s_mov_b64 s[6:7], -1
	s_cbranch_vccnz .LBB15_456
; %bb.447:
	v_cmp_gt_i16_e32 vcc, 3, v8
	s_cbranch_vccnz .LBB15_453
; %bb.448:
	v_cmp_lt_i16_e32 vcc, 3, v8
	s_cbranch_vccz .LBB15_450
; %bb.449:
	v_pk_mov_b32 v[0:1], s[38:39], s[38:39] op_sel:[0,1]
	s_mov_b64 s[6:7], 0
	global_store_dwordx2 v[6:7], v[0:1], off
.LBB15_450:
	s_andn2_b64 vcc, exec, s[6:7]
	s_cbranch_vccnz .LBB15_452
; %bb.451:
	v_mov_b32_e32 v0, s83
	global_store_dword v[6:7], v0, off
.LBB15_452:
	s_mov_b64 s[6:7], 0
.LBB15_453:
	s_andn2_b64 vcc, exec, s[6:7]
	s_cbranch_vccnz .LBB15_455
; %bb.454:
	v_mov_b32_e32 v0, s82
	global_store_short v[6:7], v0, off
.LBB15_455:
	s_mov_b64 s[6:7], 0
.LBB15_456:
	s_andn2_b64 vcc, exec, s[6:7]
	s_cbranch_vccnz .LBB15_461
; %bb.457:
	v_cmp_lt_i16_e32 vcc, 0, v8
	s_mov_b64 s[6:7], -1
	s_cbranch_vccz .LBB15_459
; %bb.458:
	v_mov_b32_e32 v0, s36
	s_mov_b64 s[6:7], 0
	global_store_byte v[6:7], v0, off
.LBB15_459:
	s_andn2_b64 vcc, exec, s[6:7]
	s_cbranch_vccnz .LBB15_461
; %bb.460:
	v_mov_b32_e32 v0, s36
	global_store_byte v[6:7], v0, off
.LBB15_461:
	s_or_b64 exec, exec, s[2:3]
	s_and_b64 s[6:7], s[0:1], exec
                                        ; implicit-def: $vgpr9
                                        ; implicit-def: $vgpr10
.LBB15_462:
	s_or_saveexec_b64 s[24:25], s[34:35]
	s_mov_b64 s[0:1], 0
                                        ; implicit-def: $vgpr8
                                        ; implicit-def: $vgpr0_vgpr1
                                        ; implicit-def: $sgpr16
	s_xor_b64 exec, exec, s[24:25]
	s_cbranch_execz .LBB15_941
; %bb.463:
	v_cndmask_b32_e64 v0, 0, 1, s[30:31]
	v_cmp_ne_u32_e64 s[0:1], 1, v0
	s_andn2_b64 vcc, exec, s[30:31]
	s_cbranch_vccnz .LBB15_469
; %bb.464:
	s_mov_b32 s28, 0
	s_cmp_eq_u32 s33, 0
	v_mov_b32_e32 v6, 0
	s_cbranch_scc1 .LBB15_473
; %bb.465:
	s_min_u32 s29, s37, 15
	s_add_i32 s29, s29, 1
	s_cmp_eq_u32 s37, 2
	v_mov_b32_e32 v6, 0
	s_cbranch_scc1 .LBB15_470
; %bb.466:
	s_add_u32 s2, s4, 0xc4
	s_addc_u32 s3, s5, 0
	s_and_b32 s28, s29, 28
	s_mov_b32 s30, 0
	v_mov_b32_e32 v6, 0
	s_mov_b64 s[26:27], s[4:5]
	v_mov_b32_e32 v0, v10
.LBB15_467:                             ; =>This Inner Loop Header: Depth=1
	s_load_dwordx8 s[8:15], s[26:27], 0x4
	s_load_dwordx4 s[16:19], s[26:27], 0x24
	s_load_dwordx4 s[20:23], s[2:3], 0x0
	s_add_u32 s26, s26, 48
	s_addc_u32 s27, s27, 0
	s_waitcnt lgkmcnt(0)
	v_mul_hi_u32 v1, s9, v0
	v_add_u32_e32 v1, v0, v1
	v_lshrrev_b32_e32 v1, s10, v1
	v_mul_lo_u32 v2, v1, s8
	v_mul_hi_u32 v3, s12, v1
	v_sub_u32_e32 v0, v0, v2
	v_add_u32_e32 v2, v1, v3
	v_lshrrev_b32_e32 v2, s13, v2
	v_mul_lo_u32 v3, v2, s11
	v_mul_hi_u32 v4, s15, v2
	v_sub_u32_e32 v1, v1, v3
	v_add_u32_e32 v3, v2, v4
	v_mul_lo_u32 v0, v0, s20
	v_mul_lo_u32 v1, v1, s21
	v_lshrrev_b32_e32 v3, s16, v3
	v_add3_u32 v1, v0, v6, v1
	v_mul_lo_u32 v0, v3, s14
	v_mul_hi_u32 v4, s18, v3
	v_sub_u32_e32 v0, v2, v0
	v_add_u32_e32 v2, v3, v4
	v_mul_lo_u32 v4, v0, s22
	v_lshrrev_b32_e32 v0, s19, v2
	s_add_i32 s30, s30, 4
	v_mul_lo_u32 v2, v0, s17
	s_add_u32 s2, s2, 16
	v_sub_u32_e32 v2, v3, v2
	s_addc_u32 s3, s3, 0
	v_mul_lo_u32 v2, v2, s23
	s_cmp_lg_u32 s28, s30
	v_add3_u32 v6, v4, v1, v2
	s_cbranch_scc1 .LBB15_467
; %bb.468:
	s_and_b32 s10, s29, 3
	s_cmp_eq_u32 s10, 0
	s_cbranch_scc0 .LBB15_471
	s_branch .LBB15_473
.LBB15_469:
                                        ; implicit-def: $vgpr6
	s_branch .LBB15_474
.LBB15_470:
	v_mov_b32_e32 v0, v10
	s_and_b32 s10, s29, 3
	s_cmp_eq_u32 s10, 0
	s_cbranch_scc1 .LBB15_473
.LBB15_471:
	s_lshl_b32 s2, s28, 2
	s_add_u32 s2, s2, s4
	s_addc_u32 s3, 0, s5
	s_add_u32 s2, s2, 0xc4
	s_addc_u32 s3, s3, 0
	s_mul_i32 s8, s28, 12
	s_add_u32 s8, s4, s8
	s_addc_u32 s9, 0, s5
.LBB15_472:                             ; =>This Inner Loop Header: Depth=1
	s_load_dwordx2 s[12:13], s[8:9], 0x4
	s_load_dword s11, s[8:9], 0xc
	s_load_dword s14, s[2:3], 0x0
	s_add_u32 s8, s8, 12
	s_addc_u32 s9, s9, 0
	s_waitcnt lgkmcnt(0)
	v_mul_hi_u32 v1, s13, v0
	v_add_u32_e32 v1, v0, v1
	v_lshrrev_b32_e32 v1, s11, v1
	s_add_u32 s2, s2, 4
	v_mul_lo_u32 v2, v1, s12
	s_addc_u32 s3, s3, 0
	s_add_i32 s10, s10, -1
	v_sub_u32_e32 v2, v0, v2
	s_cmp_lg_u32 s10, 0
	v_mov_b32_e32 v0, v1
	v_mad_u64_u32 v[6:7], s[12:13], v2, s14, v[6:7]
	s_cbranch_scc1 .LBB15_472
.LBB15_473:
	s_cbranch_execnz .LBB15_476
.LBB15_474:
	s_load_dwordx4 s[8:11], s[4:5], 0x4
	s_load_dword s2, s[4:5], 0xc4
	s_cmp_lt_u32 s33, 2
	s_waitcnt lgkmcnt(0)
	v_mul_hi_u32 v0, s9, v10
	v_add_u32_e32 v0, v10, v0
	v_lshrrev_b32_e32 v0, s10, v0
	v_mul_lo_u32 v1, v0, s8
	v_sub_u32_e32 v1, v10, v1
	v_mul_lo_u32 v6, v1, s2
	s_cbranch_scc1 .LBB15_476
; %bb.475:
	s_load_dwordx4 s[8:11], s[4:5], 0x10
	s_load_dword s2, s[4:5], 0xc8
	s_waitcnt lgkmcnt(0)
	v_mul_hi_u32 v1, s9, v0
	v_add_u32_e32 v1, v0, v1
	v_lshrrev_b32_e32 v1, s10, v1
	v_mul_lo_u32 v1, v1, s8
	v_sub_u32_e32 v0, v0, v1
	v_mad_u64_u32 v[6:7], s[2:3], v0, s2, v[6:7]
.LBB15_476:
	s_and_b64 vcc, exec, s[0:1]
	v_add_u32_e32 v0, 0x80, v10
	s_cbranch_vccnz .LBB15_482
; %bb.477:
	s_mov_b32 s28, 0
	s_cmp_eq_u32 s33, 0
	v_mov_b32_e32 v4, 0
	s_cbranch_scc1 .LBB15_486
; %bb.478:
	s_min_u32 s29, s37, 15
	s_add_i32 s29, s29, 1
	s_cmp_eq_u32 s37, 2
	v_mov_b32_e32 v4, 0
	s_cbranch_scc1 .LBB15_483
; %bb.479:
	s_add_u32 s2, s4, 0xc4
	s_addc_u32 s3, s5, 0
	s_and_b32 s28, s29, 28
	s_mov_b32 s30, 0
	v_mov_b32_e32 v4, 0
	s_mov_b64 s[26:27], s[4:5]
	v_mov_b32_e32 v1, v0
.LBB15_480:                             ; =>This Inner Loop Header: Depth=1
	s_load_dwordx8 s[8:15], s[26:27], 0x4
	s_load_dwordx4 s[16:19], s[26:27], 0x24
	s_load_dwordx4 s[20:23], s[2:3], 0x0
	s_add_u32 s26, s26, 48
	s_addc_u32 s27, s27, 0
	s_waitcnt lgkmcnt(0)
	v_mul_hi_u32 v2, s9, v1
	v_add_u32_e32 v2, v1, v2
	v_lshrrev_b32_e32 v2, s10, v2
	v_mul_lo_u32 v3, v2, s8
	v_mul_hi_u32 v5, s12, v2
	v_sub_u32_e32 v1, v1, v3
	v_add_u32_e32 v3, v2, v5
	v_lshrrev_b32_e32 v3, s13, v3
	v_mul_lo_u32 v5, v3, s11
	v_mul_hi_u32 v7, s15, v3
	v_sub_u32_e32 v2, v2, v5
	v_add_u32_e32 v5, v3, v7
	v_mul_lo_u32 v1, v1, s20
	v_mul_lo_u32 v2, v2, s21
	v_lshrrev_b32_e32 v5, s16, v5
	v_add3_u32 v2, v1, v4, v2
	v_mul_lo_u32 v1, v5, s14
	v_mul_hi_u32 v4, s18, v5
	v_sub_u32_e32 v1, v3, v1
	v_add_u32_e32 v3, v5, v4
	v_mul_lo_u32 v4, v1, s22
	v_lshrrev_b32_e32 v1, s19, v3
	s_add_i32 s30, s30, 4
	v_mul_lo_u32 v3, v1, s17
	s_add_u32 s2, s2, 16
	v_sub_u32_e32 v3, v5, v3
	s_addc_u32 s3, s3, 0
	v_mul_lo_u32 v3, v3, s23
	s_cmp_lg_u32 s28, s30
	v_add3_u32 v4, v4, v2, v3
	s_cbranch_scc1 .LBB15_480
; %bb.481:
	s_and_b32 s10, s29, 3
	s_cmp_eq_u32 s10, 0
	s_cbranch_scc0 .LBB15_484
	s_branch .LBB15_486
.LBB15_482:
                                        ; implicit-def: $vgpr4
	s_branch .LBB15_487
.LBB15_483:
	v_mov_b32_e32 v1, v0
	s_and_b32 s10, s29, 3
	s_cmp_eq_u32 s10, 0
	s_cbranch_scc1 .LBB15_486
.LBB15_484:
	s_lshl_b32 s2, s28, 2
	s_add_u32 s2, s2, s4
	s_addc_u32 s3, 0, s5
	s_add_u32 s2, s2, 0xc4
	s_addc_u32 s3, s3, 0
	s_mul_i32 s8, s28, 12
	s_add_u32 s8, s4, s8
	s_addc_u32 s9, 0, s5
.LBB15_485:                             ; =>This Inner Loop Header: Depth=1
	s_load_dwordx2 s[12:13], s[8:9], 0x4
	s_load_dword s11, s[8:9], 0xc
	s_load_dword s14, s[2:3], 0x0
	s_add_u32 s8, s8, 12
	s_addc_u32 s9, s9, 0
	s_waitcnt lgkmcnt(0)
	v_mul_hi_u32 v2, s13, v1
	v_add_u32_e32 v2, v1, v2
	v_lshrrev_b32_e32 v2, s11, v2
	s_add_u32 s2, s2, 4
	v_mul_lo_u32 v3, v2, s12
	s_addc_u32 s3, s3, 0
	s_add_i32 s10, s10, -1
	v_sub_u32_e32 v3, v1, v3
	s_cmp_lg_u32 s10, 0
	v_mov_b32_e32 v1, v2
	v_mad_u64_u32 v[4:5], s[12:13], v3, s14, v[4:5]
	s_cbranch_scc1 .LBB15_485
.LBB15_486:
	s_cbranch_execnz .LBB15_489
.LBB15_487:
	s_load_dwordx4 s[8:11], s[4:5], 0x4
	s_load_dword s2, s[4:5], 0xc4
	s_cmp_lt_u32 s33, 2
	s_waitcnt lgkmcnt(0)
	v_mul_hi_u32 v1, s9, v0
	v_add_u32_e32 v1, v0, v1
	v_lshrrev_b32_e32 v1, s10, v1
	v_mul_lo_u32 v2, v1, s8
	v_sub_u32_e32 v0, v0, v2
	v_mul_lo_u32 v4, v0, s2
	s_cbranch_scc1 .LBB15_489
; %bb.488:
	s_load_dwordx4 s[8:11], s[4:5], 0x10
	s_load_dword s2, s[4:5], 0xc8
	s_waitcnt lgkmcnt(0)
	v_mul_hi_u32 v0, s9, v1
	v_add_u32_e32 v0, v1, v0
	v_lshrrev_b32_e32 v0, s10, v0
	v_mul_lo_u32 v0, v0, s8
	v_sub_u32_e32 v0, v1, v0
	v_mad_u64_u32 v[4:5], s[2:3], v0, s2, v[4:5]
.LBB15_489:
	s_and_b64 vcc, exec, s[0:1]
	v_add_u32_e32 v0, 0x100, v10
	s_cbranch_vccnz .LBB15_495
; %bb.490:
	s_mov_b32 s28, 0
	s_cmp_eq_u32 s33, 0
	v_mov_b32_e32 v2, 0
	s_cbranch_scc1 .LBB15_499
; %bb.491:
	s_min_u32 s29, s37, 15
	s_add_i32 s29, s29, 1
	s_cmp_eq_u32 s37, 2
	v_mov_b32_e32 v2, 0
	s_cbranch_scc1 .LBB15_496
; %bb.492:
	s_add_u32 s2, s4, 0xc4
	s_addc_u32 s3, s5, 0
	s_and_b32 s28, s29, 28
	s_mov_b32 s30, 0
	v_mov_b32_e32 v2, 0
	s_mov_b64 s[26:27], s[4:5]
	v_mov_b32_e32 v1, v0
.LBB15_493:                             ; =>This Inner Loop Header: Depth=1
	s_load_dwordx8 s[8:15], s[26:27], 0x4
	s_load_dwordx4 s[16:19], s[26:27], 0x24
	s_load_dwordx4 s[20:23], s[2:3], 0x0
	s_add_u32 s26, s26, 48
	s_addc_u32 s27, s27, 0
	s_waitcnt lgkmcnt(0)
	v_mul_hi_u32 v3, s9, v1
	v_add_u32_e32 v3, v1, v3
	v_lshrrev_b32_e32 v3, s10, v3
	v_mul_lo_u32 v5, v3, s8
	v_mul_hi_u32 v7, s12, v3
	v_sub_u32_e32 v1, v1, v5
	v_add_u32_e32 v5, v3, v7
	v_lshrrev_b32_e32 v5, s13, v5
	v_mul_lo_u32 v7, v5, s11
	v_mul_hi_u32 v8, s15, v5
	v_sub_u32_e32 v3, v3, v7
	v_add_u32_e32 v7, v5, v8
	v_mul_lo_u32 v1, v1, s20
	v_mul_lo_u32 v3, v3, s21
	v_lshrrev_b32_e32 v7, s16, v7
	v_add3_u32 v2, v1, v2, v3
	v_mul_lo_u32 v1, v7, s14
	v_mul_hi_u32 v3, s18, v7
	v_sub_u32_e32 v1, v5, v1
	v_add_u32_e32 v3, v7, v3
	v_mul_lo_u32 v5, v1, s22
	v_lshrrev_b32_e32 v1, s19, v3
	s_add_i32 s30, s30, 4
	v_mul_lo_u32 v3, v1, s17
	s_add_u32 s2, s2, 16
	v_sub_u32_e32 v3, v7, v3
	s_addc_u32 s3, s3, 0
	v_mul_lo_u32 v3, v3, s23
	s_cmp_lg_u32 s28, s30
	v_add3_u32 v2, v5, v2, v3
	s_cbranch_scc1 .LBB15_493
; %bb.494:
	s_and_b32 s10, s29, 3
	s_cmp_eq_u32 s10, 0
	s_cbranch_scc0 .LBB15_497
	s_branch .LBB15_499
.LBB15_495:
                                        ; implicit-def: $vgpr2
	s_branch .LBB15_500
.LBB15_496:
	v_mov_b32_e32 v1, v0
	s_and_b32 s10, s29, 3
	s_cmp_eq_u32 s10, 0
	s_cbranch_scc1 .LBB15_499
.LBB15_497:
	s_lshl_b32 s2, s28, 2
	s_add_u32 s2, s2, s4
	s_addc_u32 s3, 0, s5
	s_add_u32 s2, s2, 0xc4
	s_addc_u32 s3, s3, 0
	s_mul_i32 s8, s28, 12
	s_add_u32 s8, s4, s8
	s_addc_u32 s9, 0, s5
.LBB15_498:                             ; =>This Inner Loop Header: Depth=1
	s_load_dwordx2 s[12:13], s[8:9], 0x4
	s_load_dword s11, s[8:9], 0xc
	s_load_dword s14, s[2:3], 0x0
	s_add_u32 s8, s8, 12
	s_addc_u32 s9, s9, 0
	s_waitcnt lgkmcnt(0)
	v_mul_hi_u32 v3, s13, v1
	v_add_u32_e32 v3, v1, v3
	v_lshrrev_b32_e32 v3, s11, v3
	s_add_u32 s2, s2, 4
	v_mul_lo_u32 v5, v3, s12
	s_addc_u32 s3, s3, 0
	s_add_i32 s10, s10, -1
	v_sub_u32_e32 v5, v1, v5
	s_cmp_lg_u32 s10, 0
	v_mov_b32_e32 v1, v3
	v_mad_u64_u32 v[2:3], s[12:13], v5, s14, v[2:3]
	s_cbranch_scc1 .LBB15_498
.LBB15_499:
	s_cbranch_execnz .LBB15_502
.LBB15_500:
	s_load_dwordx4 s[8:11], s[4:5], 0x4
	s_load_dword s2, s[4:5], 0xc4
	s_cmp_lt_u32 s33, 2
	s_waitcnt lgkmcnt(0)
	v_mul_hi_u32 v1, s9, v0
	v_add_u32_e32 v1, v0, v1
	v_lshrrev_b32_e32 v1, s10, v1
	v_mul_lo_u32 v2, v1, s8
	v_sub_u32_e32 v0, v0, v2
	v_mul_lo_u32 v2, v0, s2
	s_cbranch_scc1 .LBB15_502
; %bb.501:
	s_load_dwordx4 s[8:11], s[4:5], 0x10
	s_load_dword s2, s[4:5], 0xc8
	s_waitcnt lgkmcnt(0)
	v_mul_hi_u32 v0, s9, v1
	v_add_u32_e32 v0, v1, v0
	v_lshrrev_b32_e32 v0, s10, v0
	v_mul_lo_u32 v0, v0, s8
	v_sub_u32_e32 v0, v1, v0
	v_mad_u64_u32 v[2:3], s[2:3], v0, s2, v[2:3]
.LBB15_502:
	s_and_b64 vcc, exec, s[0:1]
	s_cbranch_vccnz .LBB15_508
; %bb.503:
	s_mov_b32 s26, 0
	s_cmp_eq_u32 s33, 0
	v_mov_b32_e32 v0, 0
	s_cbranch_scc1 .LBB15_512
; %bb.504:
	s_min_u32 s27, s37, 15
	s_add_i32 s27, s27, 1
	s_cmp_eq_u32 s37, 2
	v_mov_b32_e32 v0, 0
	s_cbranch_scc1 .LBB15_509
; %bb.505:
	s_add_u32 s20, s4, 0xc4
	s_addc_u32 s21, s5, 0
	s_and_b32 s26, s27, 28
	s_mov_b32 s28, 0
	v_mov_b32_e32 v0, 0
	s_mov_b64 s[22:23], s[4:5]
	v_mov_b32_e32 v3, v9
.LBB15_506:                             ; =>This Inner Loop Header: Depth=1
	s_load_dwordx8 s[8:15], s[22:23], 0x4
	s_load_dwordx4 s[0:3], s[22:23], 0x24
	s_load_dwordx4 s[16:19], s[20:21], 0x0
	s_add_u32 s22, s22, 48
	s_addc_u32 s23, s23, 0
	s_waitcnt lgkmcnt(0)
	v_mul_hi_u32 v1, s9, v3
	v_add_u32_e32 v1, v3, v1
	v_lshrrev_b32_e32 v1, s10, v1
	v_mul_lo_u32 v5, v1, s8
	v_mul_hi_u32 v7, s12, v1
	v_sub_u32_e32 v3, v3, v5
	v_add_u32_e32 v5, v1, v7
	v_lshrrev_b32_e32 v5, s13, v5
	v_mul_lo_u32 v7, v5, s11
	v_mul_hi_u32 v8, s15, v5
	v_sub_u32_e32 v1, v1, v7
	v_add_u32_e32 v7, v5, v8
	v_mul_lo_u32 v3, v3, s16
	v_mul_lo_u32 v1, v1, s17
	v_lshrrev_b32_e32 v7, s0, v7
	v_add3_u32 v0, v3, v0, v1
	v_mul_hi_u32 v3, s2, v7
	v_add_u32_e32 v3, v7, v3
	v_mul_lo_u32 v1, v7, s14
	v_lshrrev_b32_e32 v3, s3, v3
	s_add_i32 s28, s28, 4
	v_sub_u32_e32 v1, v5, v1
	v_mul_lo_u32 v5, v3, s1
	s_add_u32 s20, s20, 16
	v_sub_u32_e32 v5, v7, v5
	s_addc_u32 s21, s21, 0
	v_mul_lo_u32 v1, v1, s18
	v_mul_lo_u32 v5, v5, s19
	s_cmp_lg_u32 s26, s28
	v_add3_u32 v0, v1, v0, v5
	s_cbranch_scc1 .LBB15_506
; %bb.507:
	s_and_b32 s8, s27, 3
	s_cmp_eq_u32 s8, 0
	s_cbranch_scc0 .LBB15_510
	s_branch .LBB15_512
.LBB15_508:
                                        ; implicit-def: $vgpr0
	s_branch .LBB15_513
.LBB15_509:
	v_mov_b32_e32 v3, v9
	s_and_b32 s8, s27, 3
	s_cmp_eq_u32 s8, 0
	s_cbranch_scc1 .LBB15_512
.LBB15_510:
	s_lshl_b32 s0, s26, 2
	s_add_u32 s0, s0, s4
	s_addc_u32 s1, 0, s5
	s_add_u32 s0, s0, 0xc4
	s_addc_u32 s1, s1, 0
	s_mul_i32 s2, s26, 12
	s_add_u32 s2, s4, s2
	s_addc_u32 s3, 0, s5
.LBB15_511:                             ; =>This Inner Loop Header: Depth=1
	s_load_dwordx2 s[10:11], s[2:3], 0x4
	s_load_dword s9, s[2:3], 0xc
	s_load_dword s12, s[0:1], 0x0
	s_add_u32 s2, s2, 12
	s_addc_u32 s3, s3, 0
	s_waitcnt lgkmcnt(0)
	v_mul_hi_u32 v1, s11, v3
	v_add_u32_e32 v1, v3, v1
	v_lshrrev_b32_e32 v1, s9, v1
	s_add_u32 s0, s0, 4
	v_mul_lo_u32 v5, v1, s10
	s_addc_u32 s1, s1, 0
	s_add_i32 s8, s8, -1
	v_sub_u32_e32 v5, v3, v5
	s_cmp_lg_u32 s8, 0
	v_mov_b32_e32 v3, v1
	v_mad_u64_u32 v[0:1], s[10:11], v5, s12, v[0:1]
	s_cbranch_scc1 .LBB15_511
.LBB15_512:
	s_cbranch_execnz .LBB15_515
.LBB15_513:
	s_load_dwordx4 s[0:3], s[4:5], 0x4
	s_waitcnt lgkmcnt(0)
	s_load_dword s3, s[4:5], 0xc4
	s_cmp_lt_u32 s33, 2
	v_mul_hi_u32 v0, s1, v9
	v_add_u32_e32 v0, v9, v0
	v_lshrrev_b32_e32 v1, s2, v0
	v_mul_lo_u32 v0, v1, s0
	v_sub_u32_e32 v0, v9, v0
	s_waitcnt lgkmcnt(0)
	v_mul_lo_u32 v0, v0, s3
	s_cbranch_scc1 .LBB15_515
; %bb.514:
	s_load_dwordx4 s[0:3], s[4:5], 0x10
	s_waitcnt lgkmcnt(0)
	s_load_dword s3, s[4:5], 0xc8
	v_mul_hi_u32 v3, s1, v1
	v_add_u32_e32 v3, v1, v3
	v_lshrrev_b32_e32 v3, s2, v3
	v_mul_lo_u32 v3, v3, s0
	v_sub_u32_e32 v1, v1, v3
	s_waitcnt lgkmcnt(0)
	v_mad_u64_u32 v[0:1], s[0:1], v1, s3, v[0:1]
.LBB15_515:
	s_load_dwordx2 s[8:9], s[4:5], 0x108
	s_load_dword s16, s[4:5], 0x110
	s_waitcnt lgkmcnt(0)
	v_mov_b32_e32 v1, s9
	v_add_co_u32_e32 v6, vcc, s8, v6
	v_lshrrev_b16_e64 v8, 8, s16
	v_addc_co_u32_e32 v7, vcc, 0, v1, vcc
	v_cmp_gt_i16_e64 s[0:1], 11, v8
	s_and_b64 vcc, exec, s[0:1]
	s_cbranch_vccnz .LBB15_543
; %bb.516:
	v_cmp_lt_i16_e32 vcc, 25, v8
	s_mov_b64 s[12:13], -1
	s_mov_b64 s[4:5], 0
	s_mov_b64 s[10:11], 0
	s_mov_b64 s[2:3], 0
	s_cbranch_vccz .LBB15_553
; %bb.517:
	v_cmp_lt_i16_e32 vcc, 28, v8
	s_cbranch_vccz .LBB15_532
; %bb.518:
	v_cmp_lt_i16_e32 vcc, 43, v8
	;; [unrolled: 3-line block ×3, first 2 shown]
	s_cbranch_vccz .LBB15_522
; %bb.520:
	v_cmp_eq_u16_e32 vcc, 46, v8
	s_mov_b64 s[2:3], -1
	s_mov_b64 s[12:13], 0
	s_cbranch_vccz .LBB15_522
; %bb.521:
	s_bfe_i32 s2, s16, 0x80000
	s_sext_i32_i16 s2, s2
	v_cvt_f32_i32_e32 v1, s2
	s_mov_b64 s[2:3], 0
	s_mov_b64 s[10:11], -1
	v_bfe_u32 v3, v1, 16, 1
	v_add_u32_e32 v1, v1, v3
	v_add_u32_e32 v1, 0x7fff, v1
	v_lshrrev_b32_e32 v1, 16, v1
	global_store_dword v[6:7], v1, off
.LBB15_522:
	s_and_b64 vcc, exec, s[12:13]
	s_cbranch_vccz .LBB15_527
; %bb.523:
	v_cmp_eq_u16_e32 vcc, 44, v8
	s_mov_b64 s[2:3], -1
	s_cbranch_vccz .LBB15_527
; %bb.524:
	s_bfe_i32 s2, s16, 0x80000
	s_sext_i32_i16 s2, s2
	v_cvt_f32_i32_e32 v1, s2
	v_mov_b32_e32 v3, 0xff
	v_readfirstlane_b32 s2, v1
	s_bfe_u32 s3, s2, 0x80017
	s_cmpk_eq_i32 s3, 0xff
	s_cbranch_scc1 .LBB15_526
; %bb.525:
	s_bitcmp1_b32 s2, 22
	s_cselect_b64 s[10:11], -1, 0
	s_and_b32 s2, s2, 0x3fffff
	s_or_b32 s2, s3, s2
	s_cmp_lg_u32 s2, 0
	s_cselect_b64 s[2:3], -1, 0
	s_and_b64 s[2:3], s[10:11], s[2:3]
	v_lshrrev_b32_e32 v1, 23, v1
	v_cndmask_b32_e64 v3, 0, 1, s[2:3]
	v_add_u32_e32 v3, v1, v3
.LBB15_526:
	s_mov_b64 s[2:3], 0
	s_mov_b64 s[10:11], -1
	global_store_byte v[6:7], v3, off
.LBB15_527:
	s_mov_b64 s[12:13], 0
.LBB15_528:
	s_and_b64 vcc, exec, s[12:13]
	s_cbranch_vccz .LBB15_531
; %bb.529:
	v_cmp_eq_u16_e32 vcc, 29, v8
	s_mov_b64 s[2:3], -1
	s_cbranch_vccz .LBB15_531
; %bb.530:
	v_mov_b32_e32 v10, s16
	v_bfe_i32 v10, v10, 0, 8
	v_ashrrev_i32_e32 v11, 31, v10
	global_store_dwordx2 v[6:7], v[10:11], off
	s_mov_b64 s[2:3], 0
	s_mov_b64 s[10:11], -1
.LBB15_531:
	s_mov_b64 s[12:13], 0
.LBB15_532:
	s_and_b64 vcc, exec, s[12:13]
	s_cbranch_vccz .LBB15_552
; %bb.533:
	v_cmp_gt_i16_e32 vcc, 27, v8
	s_mov_b64 s[10:11], -1
	s_cbranch_vccnz .LBB15_539
; %bb.534:
	v_cmp_lt_i16_e32 vcc, 27, v8
	s_cbranch_vccz .LBB15_536
; %bb.535:
	s_sext_i32_i8 s10, s16
	v_mov_b32_e32 v1, s10
	s_mov_b64 s[10:11], 0
	global_store_dword v[6:7], v1, off
.LBB15_536:
	s_andn2_b64 vcc, exec, s[10:11]
	s_cbranch_vccnz .LBB15_538
; %bb.537:
	s_bfe_i32 s10, s16, 0x80000
	v_mov_b32_e32 v1, s10
	global_store_short v[6:7], v1, off
.LBB15_538:
	s_mov_b64 s[10:11], 0
.LBB15_539:
	s_andn2_b64 vcc, exec, s[10:11]
	s_cbranch_vccnz .LBB15_551
; %bb.540:
	s_bfe_i32 s10, s16, 0x80000
	s_sext_i32_i16 s10, s10
	v_cvt_f32_i32_e32 v1, s10
	v_mov_b32_e32 v3, 0x80
	v_readfirstlane_b32 s14, v1
	s_and_b32 s10, s14, 0x7fffffff
	s_cmp_gt_u32 s10, 0x437fffff
	s_cbranch_scc1 .LBB15_550
; %bb.541:
	s_cmp_gt_u32 s10, 0x3bffffff
	s_cbranch_scc0 .LBB15_545
; %bb.542:
	s_bfe_u32 s10, s14, 0x10014
	s_add_i32 s10, s14, s10
	s_add_i32 s10, s10, 0x487ffff
	s_lshr_b32 s15, s10, 20
	s_mov_b64 s[12:13], 0
	s_mov_b64 s[10:11], -1
	s_branch .LBB15_546
.LBB15_543:
	s_mov_b64 s[10:11], 0
	s_mov_b64 s[2:3], s[6:7]
	s_cbranch_execnz .LBB15_603
.LBB15_544:
	s_andn2_b64 vcc, exec, s[10:11]
	s_cbranch_vccz .LBB15_641
	s_branch .LBB15_939
.LBB15_545:
	s_mov_b64 s[12:13], -1
	s_mov_b64 s[10:11], 0
                                        ; implicit-def: $sgpr15
.LBB15_546:
	s_andn2_b64 vcc, exec, s[12:13]
	v_mov_b32_e32 v1, s15
                                        ; implicit-def: $sgpr12
	s_cbranch_vccnz .LBB15_548
; %bb.547:
	v_mov_b32_e32 v1, 0x46000000
	v_add_f32_e64 v1, |s14|, v1
	v_and_b32_e32 v1, 0xff, v1
	s_mov_b32 s12, 0
	v_cmp_ne_u32_e64 s[10:11], 0, v1
.LBB15_548:
	s_andn2_b64 vcc, exec, s[10:11]
	v_mov_b32_e32 v3, s12
	s_cbranch_vccnz .LBB15_550
; %bb.549:
	s_lshr_b32 s10, s14, 24
	s_and_b32 s10, s10, 0x80
	v_or_b32_e32 v3, s10, v1
.LBB15_550:
	global_store_byte v[6:7], v3, off
.LBB15_551:
	s_mov_b64 s[10:11], -1
.LBB15_552:
	s_mov_b64 s[12:13], 0
.LBB15_553:
	s_and_b64 vcc, exec, s[12:13]
	s_cbranch_vccz .LBB15_599
; %bb.554:
	v_cmp_lt_i16_e32 vcc, 22, v8
	s_mov_b64 s[4:5], -1
	s_cbranch_vccz .LBB15_592
; %bb.555:
	v_cmp_gt_i16_e32 vcc, 24, v8
	s_cbranch_vccnz .LBB15_579
; %bb.556:
	v_cmp_lt_i16_e32 vcc, 24, v8
	s_cbranch_vccz .LBB15_566
; %bb.557:
	s_bfe_i32 s4, s16, 0x80000
	s_sext_i32_i16 s4, s4
	v_cvt_f32_i32_e32 v1, s4
	v_mov_b32_e32 v3, 0x80
	v_readfirstlane_b32 s12, v1
	s_and_b32 s4, s12, 0x7fffffff
	s_cmp_gt_u32 s4, 0x477fffff
	s_cbranch_scc1 .LBB15_565
; %bb.558:
	s_cmp_gt_u32 s4, 0x37ffffff
	s_cbranch_scc0 .LBB15_560
; %bb.559:
	s_bfe_u32 s4, s12, 0x10015
	s_add_i32 s4, s12, s4
	s_add_i32 s4, s4, 0x88fffff
	s_lshr_b32 s13, s4, 21
	s_mov_b64 s[10:11], 0
	s_mov_b64 s[4:5], -1
	s_branch .LBB15_561
.LBB15_560:
	s_mov_b64 s[10:11], -1
	s_mov_b64 s[4:5], 0
                                        ; implicit-def: $sgpr13
.LBB15_561:
	s_andn2_b64 vcc, exec, s[10:11]
	v_mov_b32_e32 v1, s13
                                        ; implicit-def: $sgpr10
	s_cbranch_vccnz .LBB15_563
; %bb.562:
	v_mov_b32_e32 v1, 0x42800000
	v_add_f32_e64 v1, |s12|, v1
	v_and_b32_e32 v1, 0xff, v1
	s_mov_b32 s10, 0
	v_cmp_ne_u32_e64 s[4:5], 0, v1
.LBB15_563:
	s_andn2_b64 vcc, exec, s[4:5]
	v_mov_b32_e32 v3, s10
	s_cbranch_vccnz .LBB15_565
; %bb.564:
	s_lshr_b32 s4, s12, 24
	s_and_b32 s4, s4, 0x80
	v_or_b32_e32 v3, s4, v1
.LBB15_565:
	s_mov_b64 s[4:5], 0
	global_store_byte v[6:7], v3, off
.LBB15_566:
	s_and_b64 vcc, exec, s[4:5]
	s_cbranch_vccz .LBB15_578
; %bb.567:
	s_bfe_i32 s4, s16, 0x80000
	s_sext_i32_i16 s4, s4
	v_cvt_f32_i32_e32 v1, s4
	v_readfirstlane_b32 s10, v1
	s_and_b32 s11, s10, 0x7fffffff
	s_cmp_lt_u32 s11, 0x43f00000
	s_cbranch_scc0 .LBB15_570
; %bb.568:
	s_cmp_gt_u32 s11, 0x3c7fffff
	s_cbranch_scc0 .LBB15_571
; %bb.569:
	s_bfe_u32 s4, s10, 0x10014
	s_add_i32 s4, s10, s4
	s_add_i32 s4, s4, 0x407ffff
	s_lshr_b32 s5, s4, 20
	s_and_b32 s4, s4, 0xff00000
	s_cmp_lg_u32 s4, 0x7f00000
	s_cselect_b32 s12, s5, 0x7e
	s_mov_b64 s[4:5], 0
	s_branch .LBB15_572
.LBB15_570:
	s_mov_b64 s[4:5], -1
                                        ; implicit-def: $vgpr3
	s_branch .LBB15_575
.LBB15_571:
	s_mov_b64 s[4:5], -1
                                        ; implicit-def: $sgpr12
.LBB15_572:
	s_andn2_b64 vcc, exec, s[4:5]
	v_mov_b32_e32 v3, s12
	s_cbranch_vccnz .LBB15_574
; %bb.573:
	s_mov_b32 s4, 0x46800000
	v_add_f32_e64 v3, |v1|, s4
.LBB15_574:
	s_mov_b64 s[4:5], 0
.LBB15_575:
	s_andn2_b64 vcc, exec, s[4:5]
	s_cbranch_vccnz .LBB15_577
; %bb.576:
	s_cmp_gt_u32 s11, 0x7f800000
	s_movk_i32 s4, 0x7f
	s_cselect_b32 s4, s4, 0x7e
	v_mov_b32_e32 v3, s4
.LBB15_577:
	s_lshr_b32 s4, s10, 24
	s_and_b32 s4, s4, 0x80
	v_or_b32_e32 v1, s4, v3
	global_store_byte v[6:7], v1, off
.LBB15_578:
	s_mov_b64 s[4:5], 0
.LBB15_579:
	s_andn2_b64 vcc, exec, s[4:5]
	s_cbranch_vccnz .LBB15_591
; %bb.580:
	s_bfe_i32 s4, s16, 0x80000
	s_sext_i32_i16 s4, s4
	v_cvt_f32_i32_e32 v1, s4
	v_readfirstlane_b32 s10, v1
	s_and_b32 s11, s10, 0x7fffffff
	s_cmp_lt_u32 s11, 0x47800000
	s_cbranch_scc0 .LBB15_583
; %bb.581:
	s_cmp_gt_u32 s11, 0x387fffff
	s_cbranch_scc0 .LBB15_584
; %bb.582:
	s_bfe_u32 s4, s10, 0x10015
	s_add_i32 s4, s10, s4
	s_add_i32 s4, s4, 0x80fffff
	s_lshr_b32 s12, s4, 21
	s_mov_b64 s[4:5], 0
	s_branch .LBB15_585
.LBB15_583:
	s_mov_b64 s[4:5], -1
                                        ; implicit-def: $vgpr3
	s_branch .LBB15_588
.LBB15_584:
	s_mov_b64 s[4:5], -1
                                        ; implicit-def: $sgpr12
.LBB15_585:
	s_andn2_b64 vcc, exec, s[4:5]
	v_mov_b32_e32 v3, s12
	s_cbranch_vccnz .LBB15_587
; %bb.586:
	s_mov_b32 s4, 0x43000000
	v_add_f32_e64 v3, |v1|, s4
.LBB15_587:
	s_mov_b64 s[4:5], 0
.LBB15_588:
	s_andn2_b64 vcc, exec, s[4:5]
	s_cbranch_vccnz .LBB15_590
; %bb.589:
	s_cmp_gt_u32 s11, 0x7f800000
	s_movk_i32 s4, 0x7f
	s_cselect_b32 s4, s4, 0x7c
	v_mov_b32_e32 v3, s4
.LBB15_590:
	s_lshr_b32 s4, s10, 24
	s_and_b32 s4, s4, 0x80
	v_or_b32_e32 v1, s4, v3
	global_store_byte v[6:7], v1, off
.LBB15_591:
	s_mov_b64 s[4:5], 0
	s_mov_b64 s[10:11], -1
.LBB15_592:
	s_andn2_b64 vcc, exec, s[4:5]
	s_mov_b64 s[4:5], 0
	s_cbranch_vccnz .LBB15_599
; %bb.593:
	v_cmp_lt_i16_e32 vcc, 14, v8
	s_mov_b64 s[12:13], -1
	s_cbranch_vccz .LBB15_597
; %bb.594:
	v_cmp_eq_u16_e32 vcc, 15, v8
	s_mov_b64 s[2:3], -1
	s_cbranch_vccz .LBB15_596
; %bb.595:
	s_bfe_i32 s2, s16, 0x80000
	s_sext_i32_i16 s2, s2
	v_cvt_f32_i32_e32 v1, s2
	s_mov_b64 s[2:3], 0
	s_mov_b64 s[10:11], -1
	v_bfe_u32 v3, v1, 16, 1
	v_add_u32_e32 v1, v1, v3
	v_add_u32_e32 v1, 0x7fff, v1
	global_store_short_d16_hi v[6:7], v1, off
.LBB15_596:
	s_mov_b64 s[12:13], 0
.LBB15_597:
	s_and_b64 vcc, exec, s[12:13]
	s_cbranch_vccz .LBB15_599
; %bb.598:
	v_cmp_ne_u16_e64 s[2:3], 11, v8
	s_mov_b64 s[4:5], -1
.LBB15_599:
	s_and_b64 vcc, exec, s[2:3]
	s_mov_b64 s[2:3], s[6:7]
	s_cbranch_vccnz .LBB15_671
; %bb.600:
	s_andn2_b64 vcc, exec, s[4:5]
	s_cbranch_vccnz .LBB15_602
.LBB15_601:
	v_mov_b32_e32 v1, 0
	v_cmp_ne_u16_sdwa s[4:5], s16, v1 src0_sel:BYTE_0 src1_sel:DWORD
	v_cndmask_b32_e64 v1, 0, 1, s[4:5]
	global_store_byte v[6:7], v1, off
	s_mov_b64 s[10:11], -1
.LBB15_602:
	s_branch .LBB15_544
.LBB15_603:
	v_cmp_gt_i16_e32 vcc, 5, v8
	s_mov_b64 s[4:5], -1
	s_cbranch_vccnz .LBB15_624
; %bb.604:
	v_cmp_gt_i16_e32 vcc, 8, v8
	s_cbranch_vccnz .LBB15_614
; %bb.605:
	v_cmp_gt_i16_e32 vcc, 9, v8
	s_cbranch_vccnz .LBB15_611
; %bb.606:
	v_cmp_lt_i16_e32 vcc, 9, v8
	s_cbranch_vccz .LBB15_608
; %bb.607:
	s_bfe_i32 s4, s16, 0x80000
	s_sext_i32_i16 s4, s4
	v_mov_b32_e32 v12, 0
	v_cvt_f64_i32_e32 v[10:11], s4
	v_mov_b32_e32 v13, v12
	global_store_dwordx4 v[6:7], v[10:13], off
	s_mov_b64 s[4:5], 0
.LBB15_608:
	s_andn2_b64 vcc, exec, s[4:5]
	s_cbranch_vccnz .LBB15_610
; %bb.609:
	s_bfe_i32 s4, s16, 0x80000
	s_sext_i32_i16 s4, s4
	v_cvt_f32_i32_e32 v10, s4
	v_mov_b32_e32 v11, 0
	global_store_dwordx2 v[6:7], v[10:11], off
.LBB15_610:
	s_mov_b64 s[4:5], 0
.LBB15_611:
	s_andn2_b64 vcc, exec, s[4:5]
	s_cbranch_vccnz .LBB15_613
; %bb.612:
	s_bfe_i32 s4, s16, 0x80000
	v_cvt_f16_i16_e32 v1, s4
	global_store_dword v[6:7], v1, off
.LBB15_613:
	s_mov_b64 s[4:5], 0
.LBB15_614:
	s_andn2_b64 vcc, exec, s[4:5]
	s_cbranch_vccnz .LBB15_623
; %bb.615:
	v_cmp_gt_i16_e32 vcc, 6, v8
	s_mov_b64 s[4:5], -1
	s_cbranch_vccnz .LBB15_621
; %bb.616:
	v_cmp_lt_i16_e32 vcc, 6, v8
	s_cbranch_vccz .LBB15_618
; %bb.617:
	s_bfe_i32 s4, s16, 0x80000
	s_sext_i32_i16 s4, s4
	v_cvt_f64_i32_e32 v[10:11], s4
	global_store_dwordx2 v[6:7], v[10:11], off
	s_mov_b64 s[4:5], 0
.LBB15_618:
	s_andn2_b64 vcc, exec, s[4:5]
	s_cbranch_vccnz .LBB15_620
; %bb.619:
	s_bfe_i32 s4, s16, 0x80000
	s_sext_i32_i16 s4, s4
	v_cvt_f32_i32_e32 v1, s4
	global_store_dword v[6:7], v1, off
.LBB15_620:
	s_mov_b64 s[4:5], 0
.LBB15_621:
	s_andn2_b64 vcc, exec, s[4:5]
	s_cbranch_vccnz .LBB15_623
; %bb.622:
	s_bfe_i32 s4, s16, 0x80000
	v_cvt_f16_i16_e32 v1, s4
	global_store_short v[6:7], v1, off
.LBB15_623:
	s_mov_b64 s[4:5], 0
.LBB15_624:
	s_andn2_b64 vcc, exec, s[4:5]
	s_cbranch_vccnz .LBB15_640
; %bb.625:
	v_cmp_gt_i16_e32 vcc, 2, v8
	s_mov_b64 s[4:5], -1
	s_cbranch_vccnz .LBB15_635
; %bb.626:
	v_cmp_gt_i16_e32 vcc, 3, v8
	s_cbranch_vccnz .LBB15_632
; %bb.627:
	v_cmp_lt_i16_e32 vcc, 3, v8
	s_cbranch_vccz .LBB15_629
; %bb.628:
	v_mov_b32_e32 v10, s16
	v_bfe_i32 v10, v10, 0, 8
	v_ashrrev_i32_e32 v11, 31, v10
	global_store_dwordx2 v[6:7], v[10:11], off
	s_mov_b64 s[4:5], 0
.LBB15_629:
	s_andn2_b64 vcc, exec, s[4:5]
	s_cbranch_vccnz .LBB15_631
; %bb.630:
	s_sext_i32_i8 s4, s16
	v_mov_b32_e32 v1, s4
	global_store_dword v[6:7], v1, off
.LBB15_631:
	s_mov_b64 s[4:5], 0
.LBB15_632:
	s_andn2_b64 vcc, exec, s[4:5]
	s_cbranch_vccnz .LBB15_634
; %bb.633:
	s_bfe_i32 s4, s16, 0x80000
	v_mov_b32_e32 v1, s4
	global_store_short v[6:7], v1, off
.LBB15_634:
	s_mov_b64 s[4:5], 0
.LBB15_635:
	s_andn2_b64 vcc, exec, s[4:5]
	s_cbranch_vccnz .LBB15_640
; %bb.636:
	v_cmp_lt_i16_e32 vcc, 0, v8
	s_mov_b64 s[4:5], -1
	s_cbranch_vccz .LBB15_638
; %bb.637:
	v_mov_b32_e32 v1, s16
	global_store_byte v[6:7], v1, off
	s_mov_b64 s[4:5], 0
.LBB15_638:
	s_andn2_b64 vcc, exec, s[4:5]
	s_cbranch_vccnz .LBB15_640
; %bb.639:
	v_mov_b32_e32 v1, s16
	global_store_byte v[6:7], v1, off
.LBB15_640:
.LBB15_641:
	v_mov_b32_e32 v1, s9
	v_add_co_u32_e32 v4, vcc, s8, v4
	v_addc_co_u32_e32 v5, vcc, 0, v1, vcc
	s_and_b64 vcc, exec, s[0:1]
	s_cbranch_vccnz .LBB15_669
; %bb.642:
	v_cmp_lt_i16_e32 vcc, 25, v8
	s_mov_b64 s[14:15], -1
	s_mov_b64 s[10:11], 0
	s_mov_b64 s[12:13], 0
	;; [unrolled: 1-line block ×3, first 2 shown]
	s_cbranch_vccz .LBB15_680
; %bb.643:
	v_cmp_lt_i16_e32 vcc, 28, v8
	s_cbranch_vccz .LBB15_658
; %bb.644:
	v_cmp_lt_i16_e32 vcc, 43, v8
	;; [unrolled: 3-line block ×3, first 2 shown]
	s_cbranch_vccz .LBB15_648
; %bb.646:
	v_cmp_eq_u16_e32 vcc, 46, v8
	s_mov_b64 s[4:5], -1
	s_mov_b64 s[14:15], 0
	s_cbranch_vccz .LBB15_648
; %bb.647:
	s_bfe_i32 s4, s16, 0x80000
	s_sext_i32_i16 s4, s4
	v_cvt_f32_i32_e32 v1, s4
	s_mov_b64 s[4:5], 0
	s_mov_b64 s[12:13], -1
	v_bfe_u32 v3, v1, 16, 1
	v_add_u32_e32 v1, v1, v3
	v_add_u32_e32 v1, 0x7fff, v1
	v_lshrrev_b32_e32 v1, 16, v1
	global_store_dword v[4:5], v1, off
.LBB15_648:
	s_and_b64 vcc, exec, s[14:15]
	s_cbranch_vccz .LBB15_653
; %bb.649:
	v_cmp_eq_u16_e32 vcc, 44, v8
	s_mov_b64 s[4:5], -1
	s_cbranch_vccz .LBB15_653
; %bb.650:
	s_bfe_i32 s4, s16, 0x80000
	s_sext_i32_i16 s4, s4
	v_cvt_f32_i32_e32 v1, s4
	v_mov_b32_e32 v3, 0xff
	v_readfirstlane_b32 s4, v1
	s_bfe_u32 s5, s4, 0x80017
	s_cmpk_eq_i32 s5, 0xff
	s_cbranch_scc1 .LBB15_652
; %bb.651:
	s_bitcmp1_b32 s4, 22
	s_cselect_b64 s[12:13], -1, 0
	s_and_b32 s4, s4, 0x3fffff
	s_or_b32 s4, s5, s4
	s_cmp_lg_u32 s4, 0
	s_cselect_b64 s[4:5], -1, 0
	s_and_b64 s[4:5], s[12:13], s[4:5]
	v_lshrrev_b32_e32 v1, 23, v1
	v_cndmask_b32_e64 v3, 0, 1, s[4:5]
	v_add_u32_e32 v3, v1, v3
.LBB15_652:
	s_mov_b64 s[4:5], 0
	s_mov_b64 s[12:13], -1
	global_store_byte v[4:5], v3, off
.LBB15_653:
	s_mov_b64 s[14:15], 0
.LBB15_654:
	s_and_b64 vcc, exec, s[14:15]
	s_cbranch_vccz .LBB15_657
; %bb.655:
	v_cmp_eq_u16_e32 vcc, 29, v8
	s_mov_b64 s[4:5], -1
	s_cbranch_vccz .LBB15_657
; %bb.656:
	v_mov_b32_e32 v6, s16
	v_bfe_i32 v6, v6, 0, 8
	v_ashrrev_i32_e32 v7, 31, v6
	global_store_dwordx2 v[4:5], v[6:7], off
	s_mov_b64 s[4:5], 0
	s_mov_b64 s[12:13], -1
.LBB15_657:
	s_mov_b64 s[14:15], 0
.LBB15_658:
	s_and_b64 vcc, exec, s[14:15]
	s_cbranch_vccz .LBB15_679
; %bb.659:
	v_cmp_gt_i16_e32 vcc, 27, v8
	s_mov_b64 s[12:13], -1
	s_cbranch_vccnz .LBB15_665
; %bb.660:
	v_cmp_lt_i16_e32 vcc, 27, v8
	s_cbranch_vccz .LBB15_662
; %bb.661:
	s_sext_i32_i8 s12, s16
	v_mov_b32_e32 v1, s12
	s_mov_b64 s[12:13], 0
	global_store_dword v[4:5], v1, off
.LBB15_662:
	s_andn2_b64 vcc, exec, s[12:13]
	s_cbranch_vccnz .LBB15_664
; %bb.663:
	s_bfe_i32 s12, s16, 0x80000
	v_mov_b32_e32 v1, s12
	global_store_short v[4:5], v1, off
.LBB15_664:
	s_mov_b64 s[12:13], 0
.LBB15_665:
	s_andn2_b64 vcc, exec, s[12:13]
	s_cbranch_vccnz .LBB15_678
; %bb.666:
	s_bfe_i32 s12, s16, 0x80000
	s_sext_i32_i16 s12, s12
	v_cvt_f32_i32_e32 v1, s12
	v_mov_b32_e32 v3, 0x80
	v_readfirstlane_b32 s17, v1
	s_and_b32 s12, s17, 0x7fffffff
	s_cmp_gt_u32 s12, 0x437fffff
	s_cbranch_scc1 .LBB15_677
; %bb.667:
	s_cmp_gt_u32 s12, 0x3bffffff
	s_cbranch_scc0 .LBB15_672
; %bb.668:
	s_bfe_u32 s12, s17, 0x10014
	s_add_i32 s12, s17, s12
	s_add_i32 s12, s12, 0x487ffff
	s_lshr_b32 s18, s12, 20
	s_mov_b64 s[14:15], 0
	s_mov_b64 s[12:13], -1
	s_branch .LBB15_673
.LBB15_669:
	s_mov_b64 s[12:13], 0
	s_cbranch_execnz .LBB15_730
.LBB15_670:
	s_andn2_b64 vcc, exec, s[12:13]
	s_cbranch_vccz .LBB15_768
	s_branch .LBB15_939
.LBB15_671:
	s_or_b64 s[2:3], s[6:7], exec
	s_trap 2
	s_cbranch_execz .LBB15_601
	s_branch .LBB15_602
.LBB15_672:
	s_mov_b64 s[14:15], -1
	s_mov_b64 s[12:13], 0
                                        ; implicit-def: $sgpr18
.LBB15_673:
	s_andn2_b64 vcc, exec, s[14:15]
	v_mov_b32_e32 v1, s18
                                        ; implicit-def: $sgpr14
	s_cbranch_vccnz .LBB15_675
; %bb.674:
	v_mov_b32_e32 v1, 0x46000000
	v_add_f32_e64 v1, |s17|, v1
	v_and_b32_e32 v1, 0xff, v1
	s_mov_b32 s14, 0
	v_cmp_ne_u32_e64 s[12:13], 0, v1
.LBB15_675:
	s_andn2_b64 vcc, exec, s[12:13]
	v_mov_b32_e32 v3, s14
	s_cbranch_vccnz .LBB15_677
; %bb.676:
	s_lshr_b32 s12, s17, 24
	s_and_b32 s12, s12, 0x80
	v_or_b32_e32 v3, s12, v1
.LBB15_677:
	global_store_byte v[4:5], v3, off
.LBB15_678:
	s_mov_b64 s[12:13], -1
.LBB15_679:
	s_mov_b64 s[14:15], 0
.LBB15_680:
	s_and_b64 vcc, exec, s[14:15]
	s_cbranch_vccz .LBB15_726
; %bb.681:
	v_cmp_lt_i16_e32 vcc, 22, v8
	s_mov_b64 s[10:11], -1
	s_cbranch_vccz .LBB15_719
; %bb.682:
	v_cmp_gt_i16_e32 vcc, 24, v8
	s_cbranch_vccnz .LBB15_706
; %bb.683:
	v_cmp_lt_i16_e32 vcc, 24, v8
	s_cbranch_vccz .LBB15_693
; %bb.684:
	s_bfe_i32 s10, s16, 0x80000
	s_sext_i32_i16 s10, s10
	v_cvt_f32_i32_e32 v1, s10
	v_mov_b32_e32 v3, 0x80
	v_readfirstlane_b32 s14, v1
	s_and_b32 s10, s14, 0x7fffffff
	s_cmp_gt_u32 s10, 0x477fffff
	s_cbranch_scc1 .LBB15_692
; %bb.685:
	s_cmp_gt_u32 s10, 0x37ffffff
	s_cbranch_scc0 .LBB15_687
; %bb.686:
	s_bfe_u32 s10, s14, 0x10015
	s_add_i32 s10, s14, s10
	s_add_i32 s10, s10, 0x88fffff
	s_lshr_b32 s15, s10, 21
	s_mov_b64 s[12:13], 0
	s_mov_b64 s[10:11], -1
	s_branch .LBB15_688
.LBB15_687:
	s_mov_b64 s[12:13], -1
	s_mov_b64 s[10:11], 0
                                        ; implicit-def: $sgpr15
.LBB15_688:
	s_andn2_b64 vcc, exec, s[12:13]
	v_mov_b32_e32 v1, s15
                                        ; implicit-def: $sgpr12
	s_cbranch_vccnz .LBB15_690
; %bb.689:
	v_mov_b32_e32 v1, 0x42800000
	v_add_f32_e64 v1, |s14|, v1
	v_and_b32_e32 v1, 0xff, v1
	s_mov_b32 s12, 0
	v_cmp_ne_u32_e64 s[10:11], 0, v1
.LBB15_690:
	s_andn2_b64 vcc, exec, s[10:11]
	v_mov_b32_e32 v3, s12
	s_cbranch_vccnz .LBB15_692
; %bb.691:
	s_lshr_b32 s10, s14, 24
	s_and_b32 s10, s10, 0x80
	v_or_b32_e32 v3, s10, v1
.LBB15_692:
	s_mov_b64 s[10:11], 0
	global_store_byte v[4:5], v3, off
.LBB15_693:
	s_and_b64 vcc, exec, s[10:11]
	s_cbranch_vccz .LBB15_705
; %bb.694:
	s_bfe_i32 s10, s16, 0x80000
	s_sext_i32_i16 s10, s10
	v_cvt_f32_i32_e32 v1, s10
	v_readfirstlane_b32 s12, v1
	s_and_b32 s13, s12, 0x7fffffff
	s_cmp_lt_u32 s13, 0x43f00000
	s_cbranch_scc0 .LBB15_697
; %bb.695:
	s_cmp_gt_u32 s13, 0x3c7fffff
	s_cbranch_scc0 .LBB15_698
; %bb.696:
	s_bfe_u32 s10, s12, 0x10014
	s_add_i32 s10, s12, s10
	s_add_i32 s10, s10, 0x407ffff
	s_lshr_b32 s11, s10, 20
	s_and_b32 s10, s10, 0xff00000
	s_cmp_lg_u32 s10, 0x7f00000
	s_cselect_b32 s14, s11, 0x7e
	s_mov_b64 s[10:11], 0
	s_branch .LBB15_699
.LBB15_697:
	s_mov_b64 s[10:11], -1
                                        ; implicit-def: $vgpr3
	s_branch .LBB15_702
.LBB15_698:
	s_mov_b64 s[10:11], -1
                                        ; implicit-def: $sgpr14
.LBB15_699:
	s_andn2_b64 vcc, exec, s[10:11]
	v_mov_b32_e32 v3, s14
	s_cbranch_vccnz .LBB15_701
; %bb.700:
	s_mov_b32 s10, 0x46800000
	v_add_f32_e64 v3, |v1|, s10
.LBB15_701:
	s_mov_b64 s[10:11], 0
.LBB15_702:
	s_andn2_b64 vcc, exec, s[10:11]
	s_cbranch_vccnz .LBB15_704
; %bb.703:
	s_cmp_gt_u32 s13, 0x7f800000
	s_movk_i32 s10, 0x7f
	s_cselect_b32 s10, s10, 0x7e
	v_mov_b32_e32 v3, s10
.LBB15_704:
	s_lshr_b32 s10, s12, 24
	s_and_b32 s10, s10, 0x80
	v_or_b32_e32 v1, s10, v3
	global_store_byte v[4:5], v1, off
.LBB15_705:
	s_mov_b64 s[10:11], 0
.LBB15_706:
	s_andn2_b64 vcc, exec, s[10:11]
	s_cbranch_vccnz .LBB15_718
; %bb.707:
	s_bfe_i32 s10, s16, 0x80000
	s_sext_i32_i16 s10, s10
	v_cvt_f32_i32_e32 v1, s10
	v_readfirstlane_b32 s12, v1
	s_and_b32 s13, s12, 0x7fffffff
	s_cmp_lt_u32 s13, 0x47800000
	s_cbranch_scc0 .LBB15_710
; %bb.708:
	s_cmp_gt_u32 s13, 0x387fffff
	s_cbranch_scc0 .LBB15_711
; %bb.709:
	s_bfe_u32 s10, s12, 0x10015
	s_add_i32 s10, s12, s10
	s_add_i32 s10, s10, 0x80fffff
	s_lshr_b32 s14, s10, 21
	s_mov_b64 s[10:11], 0
	s_branch .LBB15_712
.LBB15_710:
	s_mov_b64 s[10:11], -1
                                        ; implicit-def: $vgpr3
	s_branch .LBB15_715
.LBB15_711:
	s_mov_b64 s[10:11], -1
                                        ; implicit-def: $sgpr14
.LBB15_712:
	s_andn2_b64 vcc, exec, s[10:11]
	v_mov_b32_e32 v3, s14
	s_cbranch_vccnz .LBB15_714
; %bb.713:
	s_mov_b32 s10, 0x43000000
	v_add_f32_e64 v3, |v1|, s10
.LBB15_714:
	s_mov_b64 s[10:11], 0
.LBB15_715:
	s_andn2_b64 vcc, exec, s[10:11]
	s_cbranch_vccnz .LBB15_717
; %bb.716:
	s_cmp_gt_u32 s13, 0x7f800000
	s_movk_i32 s10, 0x7f
	s_cselect_b32 s10, s10, 0x7c
	v_mov_b32_e32 v3, s10
.LBB15_717:
	s_lshr_b32 s10, s12, 24
	s_and_b32 s10, s10, 0x80
	v_or_b32_e32 v1, s10, v3
	global_store_byte v[4:5], v1, off
.LBB15_718:
	s_mov_b64 s[10:11], 0
	s_mov_b64 s[12:13], -1
.LBB15_719:
	s_andn2_b64 vcc, exec, s[10:11]
	s_mov_b64 s[10:11], 0
	s_cbranch_vccnz .LBB15_726
; %bb.720:
	v_cmp_lt_i16_e32 vcc, 14, v8
	s_mov_b64 s[14:15], -1
	s_cbranch_vccz .LBB15_724
; %bb.721:
	v_cmp_eq_u16_e32 vcc, 15, v8
	s_mov_b64 s[4:5], -1
	s_cbranch_vccz .LBB15_723
; %bb.722:
	s_bfe_i32 s4, s16, 0x80000
	s_sext_i32_i16 s4, s4
	v_cvt_f32_i32_e32 v1, s4
	s_mov_b64 s[4:5], 0
	s_mov_b64 s[12:13], -1
	v_bfe_u32 v3, v1, 16, 1
	v_add_u32_e32 v1, v1, v3
	v_add_u32_e32 v1, 0x7fff, v1
	global_store_short_d16_hi v[4:5], v1, off
.LBB15_723:
	s_mov_b64 s[14:15], 0
.LBB15_724:
	s_and_b64 vcc, exec, s[14:15]
	s_cbranch_vccz .LBB15_726
; %bb.725:
	v_cmp_ne_u16_e64 s[4:5], 11, v8
	s_mov_b64 s[10:11], -1
.LBB15_726:
	s_and_b64 vcc, exec, s[4:5]
	s_cbranch_vccnz .LBB15_828
; %bb.727:
	s_andn2_b64 vcc, exec, s[10:11]
	s_cbranch_vccnz .LBB15_729
.LBB15_728:
	v_mov_b32_e32 v1, 0
	v_cmp_ne_u16_sdwa s[4:5], s16, v1 src0_sel:BYTE_0 src1_sel:DWORD
	v_cndmask_b32_e64 v1, 0, 1, s[4:5]
	s_mov_b64 s[12:13], -1
	global_store_byte v[4:5], v1, off
.LBB15_729:
	s_branch .LBB15_670
.LBB15_730:
	v_cmp_gt_i16_e32 vcc, 5, v8
	s_mov_b64 s[4:5], -1
	s_cbranch_vccnz .LBB15_751
; %bb.731:
	v_cmp_gt_i16_e32 vcc, 8, v8
	s_cbranch_vccnz .LBB15_741
; %bb.732:
	v_cmp_gt_i16_e32 vcc, 9, v8
	s_cbranch_vccnz .LBB15_738
; %bb.733:
	v_cmp_lt_i16_e32 vcc, 9, v8
	s_cbranch_vccz .LBB15_735
; %bb.734:
	s_bfe_i32 s4, s16, 0x80000
	s_sext_i32_i16 s4, s4
	v_mov_b32_e32 v12, 0
	v_cvt_f64_i32_e32 v[10:11], s4
	v_mov_b32_e32 v13, v12
	global_store_dwordx4 v[4:5], v[10:13], off
	s_mov_b64 s[4:5], 0
.LBB15_735:
	s_andn2_b64 vcc, exec, s[4:5]
	s_cbranch_vccnz .LBB15_737
; %bb.736:
	s_bfe_i32 s4, s16, 0x80000
	s_sext_i32_i16 s4, s4
	v_cvt_f32_i32_e32 v6, s4
	v_mov_b32_e32 v7, 0
	global_store_dwordx2 v[4:5], v[6:7], off
.LBB15_737:
	s_mov_b64 s[4:5], 0
.LBB15_738:
	s_andn2_b64 vcc, exec, s[4:5]
	s_cbranch_vccnz .LBB15_740
; %bb.739:
	s_bfe_i32 s4, s16, 0x80000
	v_cvt_f16_i16_e32 v1, s4
	global_store_dword v[4:5], v1, off
.LBB15_740:
	s_mov_b64 s[4:5], 0
.LBB15_741:
	s_andn2_b64 vcc, exec, s[4:5]
	s_cbranch_vccnz .LBB15_750
; %bb.742:
	v_cmp_gt_i16_e32 vcc, 6, v8
	s_mov_b64 s[4:5], -1
	s_cbranch_vccnz .LBB15_748
; %bb.743:
	v_cmp_lt_i16_e32 vcc, 6, v8
	s_cbranch_vccz .LBB15_745
; %bb.744:
	s_bfe_i32 s4, s16, 0x80000
	s_sext_i32_i16 s4, s4
	v_cvt_f64_i32_e32 v[6:7], s4
	global_store_dwordx2 v[4:5], v[6:7], off
	s_mov_b64 s[4:5], 0
.LBB15_745:
	s_andn2_b64 vcc, exec, s[4:5]
	s_cbranch_vccnz .LBB15_747
; %bb.746:
	s_bfe_i32 s4, s16, 0x80000
	s_sext_i32_i16 s4, s4
	v_cvt_f32_i32_e32 v1, s4
	global_store_dword v[4:5], v1, off
.LBB15_747:
	s_mov_b64 s[4:5], 0
.LBB15_748:
	s_andn2_b64 vcc, exec, s[4:5]
	s_cbranch_vccnz .LBB15_750
; %bb.749:
	s_bfe_i32 s4, s16, 0x80000
	v_cvt_f16_i16_e32 v1, s4
	global_store_short v[4:5], v1, off
.LBB15_750:
	s_mov_b64 s[4:5], 0
.LBB15_751:
	s_andn2_b64 vcc, exec, s[4:5]
	s_cbranch_vccnz .LBB15_767
; %bb.752:
	v_cmp_gt_i16_e32 vcc, 2, v8
	s_mov_b64 s[4:5], -1
	s_cbranch_vccnz .LBB15_762
; %bb.753:
	v_cmp_gt_i16_e32 vcc, 3, v8
	s_cbranch_vccnz .LBB15_759
; %bb.754:
	v_cmp_lt_i16_e32 vcc, 3, v8
	s_cbranch_vccz .LBB15_756
; %bb.755:
	v_mov_b32_e32 v6, s16
	v_bfe_i32 v6, v6, 0, 8
	v_ashrrev_i32_e32 v7, 31, v6
	global_store_dwordx2 v[4:5], v[6:7], off
	s_mov_b64 s[4:5], 0
.LBB15_756:
	s_andn2_b64 vcc, exec, s[4:5]
	s_cbranch_vccnz .LBB15_758
; %bb.757:
	s_sext_i32_i8 s4, s16
	v_mov_b32_e32 v1, s4
	global_store_dword v[4:5], v1, off
.LBB15_758:
	s_mov_b64 s[4:5], 0
.LBB15_759:
	s_andn2_b64 vcc, exec, s[4:5]
	s_cbranch_vccnz .LBB15_761
; %bb.760:
	s_bfe_i32 s4, s16, 0x80000
	v_mov_b32_e32 v1, s4
	global_store_short v[4:5], v1, off
.LBB15_761:
	s_mov_b64 s[4:5], 0
.LBB15_762:
	s_andn2_b64 vcc, exec, s[4:5]
	s_cbranch_vccnz .LBB15_767
; %bb.763:
	v_cmp_lt_i16_e32 vcc, 0, v8
	s_mov_b64 s[4:5], -1
	s_cbranch_vccz .LBB15_765
; %bb.764:
	v_mov_b32_e32 v1, s16
	global_store_byte v[4:5], v1, off
	s_mov_b64 s[4:5], 0
.LBB15_765:
	s_andn2_b64 vcc, exec, s[4:5]
	s_cbranch_vccnz .LBB15_767
; %bb.766:
	v_mov_b32_e32 v1, s16
	global_store_byte v[4:5], v1, off
.LBB15_767:
.LBB15_768:
	v_mov_b32_e32 v1, s9
	v_add_co_u32_e32 v2, vcc, s8, v2
	v_addc_co_u32_e32 v3, vcc, 0, v1, vcc
	s_and_b64 vcc, exec, s[0:1]
	s_cbranch_vccnz .LBB15_796
; %bb.769:
	v_cmp_lt_i16_e32 vcc, 25, v8
	s_mov_b64 s[14:15], -1
	s_mov_b64 s[10:11], 0
	s_mov_b64 s[12:13], 0
	;; [unrolled: 1-line block ×3, first 2 shown]
	s_cbranch_vccz .LBB15_837
; %bb.770:
	v_cmp_lt_i16_e32 vcc, 28, v8
	s_cbranch_vccz .LBB15_785
; %bb.771:
	v_cmp_lt_i16_e32 vcc, 43, v8
	;; [unrolled: 3-line block ×3, first 2 shown]
	s_cbranch_vccz .LBB15_775
; %bb.773:
	v_cmp_eq_u16_e32 vcc, 46, v8
	s_mov_b64 s[4:5], -1
	s_mov_b64 s[14:15], 0
	s_cbranch_vccz .LBB15_775
; %bb.774:
	s_bfe_i32 s4, s16, 0x80000
	s_sext_i32_i16 s4, s4
	v_cvt_f32_i32_e32 v1, s4
	s_mov_b64 s[4:5], 0
	s_mov_b64 s[12:13], -1
	v_bfe_u32 v4, v1, 16, 1
	v_add_u32_e32 v1, v1, v4
	v_add_u32_e32 v1, 0x7fff, v1
	v_lshrrev_b32_e32 v1, 16, v1
	global_store_dword v[2:3], v1, off
.LBB15_775:
	s_and_b64 vcc, exec, s[14:15]
	s_cbranch_vccz .LBB15_780
; %bb.776:
	v_cmp_eq_u16_e32 vcc, 44, v8
	s_mov_b64 s[4:5], -1
	s_cbranch_vccz .LBB15_780
; %bb.777:
	s_bfe_i32 s4, s16, 0x80000
	s_sext_i32_i16 s4, s4
	v_cvt_f32_i32_e32 v1, s4
	v_mov_b32_e32 v4, 0xff
	v_readfirstlane_b32 s4, v1
	s_bfe_u32 s5, s4, 0x80017
	s_cmpk_eq_i32 s5, 0xff
	s_cbranch_scc1 .LBB15_779
; %bb.778:
	s_bitcmp1_b32 s4, 22
	s_cselect_b64 s[12:13], -1, 0
	s_and_b32 s4, s4, 0x3fffff
	s_or_b32 s4, s5, s4
	s_cmp_lg_u32 s4, 0
	s_cselect_b64 s[4:5], -1, 0
	s_and_b64 s[4:5], s[12:13], s[4:5]
	v_lshrrev_b32_e32 v1, 23, v1
	v_cndmask_b32_e64 v4, 0, 1, s[4:5]
	v_add_u32_e32 v4, v1, v4
.LBB15_779:
	s_mov_b64 s[4:5], 0
	s_mov_b64 s[12:13], -1
	global_store_byte v[2:3], v4, off
.LBB15_780:
	s_mov_b64 s[14:15], 0
.LBB15_781:
	s_and_b64 vcc, exec, s[14:15]
	s_cbranch_vccz .LBB15_784
; %bb.782:
	v_cmp_eq_u16_e32 vcc, 29, v8
	s_mov_b64 s[4:5], -1
	s_cbranch_vccz .LBB15_784
; %bb.783:
	v_mov_b32_e32 v4, s16
	v_bfe_i32 v4, v4, 0, 8
	v_ashrrev_i32_e32 v5, 31, v4
	global_store_dwordx2 v[2:3], v[4:5], off
	s_mov_b64 s[4:5], 0
	s_mov_b64 s[12:13], -1
.LBB15_784:
	s_mov_b64 s[14:15], 0
.LBB15_785:
	s_and_b64 vcc, exec, s[14:15]
	s_cbranch_vccz .LBB15_836
; %bb.786:
	v_cmp_gt_i16_e32 vcc, 27, v8
	s_mov_b64 s[12:13], -1
	s_cbranch_vccnz .LBB15_792
; %bb.787:
	v_cmp_lt_i16_e32 vcc, 27, v8
	s_cbranch_vccz .LBB15_789
; %bb.788:
	s_sext_i32_i8 s12, s16
	v_mov_b32_e32 v1, s12
	s_mov_b64 s[12:13], 0
	global_store_dword v[2:3], v1, off
.LBB15_789:
	s_andn2_b64 vcc, exec, s[12:13]
	s_cbranch_vccnz .LBB15_791
; %bb.790:
	s_bfe_i32 s12, s16, 0x80000
	v_mov_b32_e32 v1, s12
	global_store_short v[2:3], v1, off
.LBB15_791:
	s_mov_b64 s[12:13], 0
.LBB15_792:
	s_andn2_b64 vcc, exec, s[12:13]
	s_cbranch_vccnz .LBB15_835
; %bb.793:
	s_bfe_i32 s12, s16, 0x80000
	s_sext_i32_i16 s12, s12
	v_cvt_f32_i32_e32 v1, s12
	v_mov_b32_e32 v4, 0x80
	v_readfirstlane_b32 s17, v1
	s_and_b32 s12, s17, 0x7fffffff
	s_cmp_gt_u32 s12, 0x437fffff
	s_cbranch_scc1 .LBB15_834
; %bb.794:
	s_cmp_gt_u32 s12, 0x3bffffff
	s_cbranch_scc0 .LBB15_829
; %bb.795:
	s_bfe_u32 s12, s17, 0x10014
	s_add_i32 s12, s17, s12
	s_add_i32 s12, s12, 0x487ffff
	s_lshr_b32 s18, s12, 20
	s_mov_b64 s[14:15], 0
	s_mov_b64 s[12:13], -1
	s_branch .LBB15_830
.LBB15_796:
	s_mov_b64 s[12:13], 0
	s_cbranch_execnz .LBB15_901
.LBB15_797:
	s_andn2_b64 vcc, exec, s[12:13]
	s_cbranch_vccnz .LBB15_939
.LBB15_798:
	v_mov_b32_e32 v1, s9
	v_add_co_u32_e32 v0, vcc, s8, v0
	v_addc_co_u32_e32 v1, vcc, 0, v1, vcc
	s_and_b64 vcc, exec, s[0:1]
	s_cbranch_vccnz .LBB15_827
; %bb.799:
	v_cmp_lt_i16_e32 vcc, 25, v8
	s_mov_b64 s[8:9], -1
	s_mov_b64 s[4:5], 0
	s_mov_b64 s[0:1], 0
	s_cbranch_vccz .LBB15_851
; %bb.800:
	v_cmp_lt_i16_e32 vcc, 28, v8
	s_cbranch_vccz .LBB15_816
; %bb.801:
	v_cmp_lt_i16_e32 vcc, 43, v8
	s_cbranch_vccz .LBB15_812
; %bb.802:
	v_cmp_lt_i16_e32 vcc, 45, v8
	s_cbranch_vccz .LBB15_806
; %bb.803:
	v_cmp_eq_u16_e32 vcc, 46, v8
	s_mov_b64 s[0:1], -1
	s_cbranch_vccz .LBB15_805
; %bb.804:
	s_bfe_i32 s0, s16, 0x80000
	s_sext_i32_i16 s0, s0
	v_cvt_f32_i32_e32 v2, s0
	s_mov_b64 s[0:1], 0
	v_bfe_u32 v3, v2, 16, 1
	v_add_u32_e32 v2, v2, v3
	v_add_u32_e32 v2, 0x7fff, v2
	v_lshrrev_b32_e32 v2, 16, v2
	global_store_dword v[0:1], v2, off
.LBB15_805:
	s_mov_b64 s[8:9], 0
.LBB15_806:
	s_and_b64 vcc, exec, s[8:9]
	s_cbranch_vccz .LBB15_811
; %bb.807:
	v_cmp_eq_u16_e32 vcc, 44, v8
	s_mov_b64 s[0:1], -1
	s_cbranch_vccz .LBB15_811
; %bb.808:
	s_bfe_i32 s0, s16, 0x80000
	s_sext_i32_i16 s0, s0
	v_cvt_f32_i32_e32 v2, s0
	v_mov_b32_e32 v3, 0xff
	v_readfirstlane_b32 s0, v2
	s_bfe_u32 s1, s0, 0x80017
	s_cmpk_eq_i32 s1, 0xff
	s_cbranch_scc1 .LBB15_810
; %bb.809:
	s_bitcmp1_b32 s0, 22
	s_cselect_b64 s[8:9], -1, 0
	s_and_b32 s0, s0, 0x3fffff
	s_or_b32 s0, s1, s0
	s_cmp_lg_u32 s0, 0
	s_cselect_b64 s[0:1], -1, 0
	s_and_b64 s[0:1], s[8:9], s[0:1]
	v_lshrrev_b32_e32 v2, 23, v2
	v_cndmask_b32_e64 v3, 0, 1, s[0:1]
	v_add_u32_e32 v3, v2, v3
.LBB15_810:
	s_mov_b64 s[0:1], 0
	global_store_byte v[0:1], v3, off
.LBB15_811:
	s_mov_b64 s[8:9], 0
.LBB15_812:
	s_and_b64 vcc, exec, s[8:9]
	s_cbranch_vccz .LBB15_815
; %bb.813:
	v_cmp_eq_u16_e32 vcc, 29, v8
	s_mov_b64 s[0:1], -1
	s_cbranch_vccz .LBB15_815
; %bb.814:
	v_mov_b32_e32 v2, s16
	v_bfe_i32 v2, v2, 0, 8
	v_ashrrev_i32_e32 v3, 31, v2
	global_store_dwordx2 v[0:1], v[2:3], off
	s_mov_b64 s[0:1], 0
.LBB15_815:
	s_mov_b64 s[8:9], 0
.LBB15_816:
	s_and_b64 vcc, exec, s[8:9]
	s_cbranch_vccz .LBB15_850
; %bb.817:
	v_cmp_gt_i16_e32 vcc, 27, v8
	s_mov_b64 s[8:9], -1
	s_cbranch_vccnz .LBB15_823
; %bb.818:
	v_cmp_lt_i16_e32 vcc, 27, v8
	s_cbranch_vccz .LBB15_820
; %bb.819:
	s_sext_i32_i8 s8, s16
	v_mov_b32_e32 v2, s8
	global_store_dword v[0:1], v2, off
	s_mov_b64 s[8:9], 0
.LBB15_820:
	s_andn2_b64 vcc, exec, s[8:9]
	s_cbranch_vccnz .LBB15_822
; %bb.821:
	s_bfe_i32 s8, s16, 0x80000
	v_mov_b32_e32 v2, s8
	global_store_short v[0:1], v2, off
.LBB15_822:
	s_mov_b64 s[8:9], 0
.LBB15_823:
	s_andn2_b64 vcc, exec, s[8:9]
	s_cbranch_vccnz .LBB15_850
; %bb.824:
	s_bfe_i32 s8, s16, 0x80000
	s_sext_i32_i16 s8, s8
	v_cvt_f32_i32_e32 v2, s8
	v_mov_b32_e32 v3, 0x80
	v_readfirstlane_b32 s12, v2
	s_and_b32 s8, s12, 0x7fffffff
	s_cmp_gt_u32 s8, 0x437fffff
	s_cbranch_scc1 .LBB15_849
; %bb.825:
	s_cmp_gt_u32 s8, 0x3bffffff
	s_cbranch_scc0 .LBB15_844
; %bb.826:
	s_bfe_u32 s8, s12, 0x10014
	s_add_i32 s8, s12, s8
	s_add_i32 s8, s8, 0x487ffff
	s_lshr_b32 s13, s8, 20
	s_mov_b64 s[10:11], 0
	s_mov_b64 s[8:9], -1
	s_branch .LBB15_845
.LBB15_827:
	s_mov_b64 s[4:5], 0
	s_mov_b64 s[0:1], -1
	s_branch .LBB15_940
.LBB15_828:
	s_trap 2
	s_or_b64 s[2:3], s[2:3], exec
	s_cbranch_execz .LBB15_728
	s_branch .LBB15_729
.LBB15_829:
	s_mov_b64 s[14:15], -1
	s_mov_b64 s[12:13], 0
                                        ; implicit-def: $sgpr18
.LBB15_830:
	s_andn2_b64 vcc, exec, s[14:15]
	v_mov_b32_e32 v1, s18
                                        ; implicit-def: $sgpr14
	s_cbranch_vccnz .LBB15_832
; %bb.831:
	v_mov_b32_e32 v1, 0x46000000
	v_add_f32_e64 v1, |s17|, v1
	v_and_b32_e32 v1, 0xff, v1
	s_mov_b32 s14, 0
	v_cmp_ne_u32_e64 s[12:13], 0, v1
.LBB15_832:
	s_andn2_b64 vcc, exec, s[12:13]
	v_mov_b32_e32 v4, s14
	s_cbranch_vccnz .LBB15_834
; %bb.833:
	s_lshr_b32 s12, s17, 24
	s_and_b32 s12, s12, 0x80
	v_or_b32_e32 v4, s12, v1
.LBB15_834:
	global_store_byte v[2:3], v4, off
.LBB15_835:
	s_mov_b64 s[12:13], -1
.LBB15_836:
	s_mov_b64 s[14:15], 0
.LBB15_837:
	s_and_b64 vcc, exec, s[14:15]
	s_cbranch_vccz .LBB15_897
; %bb.838:
	v_cmp_lt_i16_e32 vcc, 22, v8
	s_mov_b64 s[10:11], -1
	s_cbranch_vccz .LBB15_890
; %bb.839:
	v_cmp_gt_i16_e32 vcc, 24, v8
	s_cbranch_vccnz .LBB15_877
; %bb.840:
	v_cmp_lt_i16_e32 vcc, 24, v8
	s_cbranch_vccz .LBB15_864
; %bb.841:
	s_bfe_i32 s10, s16, 0x80000
	s_sext_i32_i16 s10, s10
	v_cvt_f32_i32_e32 v1, s10
	v_mov_b32_e32 v4, 0x80
	v_readfirstlane_b32 s14, v1
	s_and_b32 s10, s14, 0x7fffffff
	s_cmp_gt_u32 s10, 0x477fffff
	s_cbranch_scc1 .LBB15_863
; %bb.842:
	s_cmp_gt_u32 s10, 0x37ffffff
	s_cbranch_scc0 .LBB15_858
; %bb.843:
	s_bfe_u32 s10, s14, 0x10015
	s_add_i32 s10, s14, s10
	s_add_i32 s10, s10, 0x88fffff
	s_lshr_b32 s15, s10, 21
	s_mov_b64 s[12:13], 0
	s_mov_b64 s[10:11], -1
	s_branch .LBB15_859
.LBB15_844:
	s_mov_b64 s[10:11], -1
	s_mov_b64 s[8:9], 0
                                        ; implicit-def: $sgpr13
.LBB15_845:
	s_andn2_b64 vcc, exec, s[10:11]
	v_mov_b32_e32 v2, s13
                                        ; implicit-def: $sgpr10
	s_cbranch_vccnz .LBB15_847
; %bb.846:
	v_mov_b32_e32 v2, 0x46000000
	v_add_f32_e64 v2, |s12|, v2
	v_and_b32_e32 v2, 0xff, v2
	s_mov_b32 s10, 0
	v_cmp_ne_u32_e64 s[8:9], 0, v2
.LBB15_847:
	s_andn2_b64 vcc, exec, s[8:9]
	v_mov_b32_e32 v3, s10
	s_cbranch_vccnz .LBB15_849
; %bb.848:
	s_lshr_b32 s8, s12, 24
	s_and_b32 s8, s8, 0x80
	v_or_b32_e32 v3, s8, v2
.LBB15_849:
	global_store_byte v[0:1], v3, off
.LBB15_850:
	s_mov_b64 s[8:9], 0
.LBB15_851:
	s_and_b64 vcc, exec, s[8:9]
	s_cbranch_vccz .LBB15_1024
; %bb.852:
	v_cmp_lt_i16_e32 vcc, 22, v8
	s_mov_b64 s[4:5], -1
	s_cbranch_vccz .LBB15_1017
; %bb.853:
	v_cmp_gt_i16_e32 vcc, 24, v8
	s_cbranch_vccnz .LBB15_1004
; %bb.854:
	v_cmp_lt_i16_e32 vcc, 24, v8
	s_cbranch_vccz .LBB15_991
; %bb.855:
	s_bfe_i32 s4, s16, 0x80000
	s_sext_i32_i16 s4, s4
	v_cvt_f32_i32_e32 v2, s4
	v_mov_b32_e32 v3, 0x80
	v_readfirstlane_b32 s10, v2
	s_and_b32 s4, s10, 0x7fffffff
	s_cmp_gt_u32 s4, 0x477fffff
	s_cbranch_scc1 .LBB15_990
; %bb.856:
	s_cmp_gt_u32 s4, 0x37ffffff
	s_cbranch_scc0 .LBB15_985
; %bb.857:
	s_bfe_u32 s4, s10, 0x10015
	s_add_i32 s4, s10, s4
	s_add_i32 s4, s4, 0x88fffff
	s_lshr_b32 s11, s4, 21
	s_mov_b64 s[8:9], 0
	s_mov_b64 s[4:5], -1
	s_branch .LBB15_986
.LBB15_858:
	s_mov_b64 s[12:13], -1
	s_mov_b64 s[10:11], 0
                                        ; implicit-def: $sgpr15
.LBB15_859:
	s_andn2_b64 vcc, exec, s[12:13]
	v_mov_b32_e32 v1, s15
                                        ; implicit-def: $sgpr12
	s_cbranch_vccnz .LBB15_861
; %bb.860:
	v_mov_b32_e32 v1, 0x42800000
	v_add_f32_e64 v1, |s14|, v1
	v_and_b32_e32 v1, 0xff, v1
	s_mov_b32 s12, 0
	v_cmp_ne_u32_e64 s[10:11], 0, v1
.LBB15_861:
	s_andn2_b64 vcc, exec, s[10:11]
	v_mov_b32_e32 v4, s12
	s_cbranch_vccnz .LBB15_863
; %bb.862:
	s_lshr_b32 s10, s14, 24
	s_and_b32 s10, s10, 0x80
	v_or_b32_e32 v4, s10, v1
.LBB15_863:
	s_mov_b64 s[10:11], 0
	global_store_byte v[2:3], v4, off
.LBB15_864:
	s_and_b64 vcc, exec, s[10:11]
	s_cbranch_vccz .LBB15_876
; %bb.865:
	s_bfe_i32 s10, s16, 0x80000
	s_sext_i32_i16 s10, s10
	v_cvt_f32_i32_e32 v1, s10
	v_readfirstlane_b32 s12, v1
	s_and_b32 s13, s12, 0x7fffffff
	s_cmp_lt_u32 s13, 0x43f00000
	s_cbranch_scc0 .LBB15_868
; %bb.866:
	s_cmp_gt_u32 s13, 0x3c7fffff
	s_cbranch_scc0 .LBB15_869
; %bb.867:
	s_bfe_u32 s10, s12, 0x10014
	s_add_i32 s10, s12, s10
	s_add_i32 s10, s10, 0x407ffff
	s_lshr_b32 s11, s10, 20
	s_and_b32 s10, s10, 0xff00000
	s_cmp_lg_u32 s10, 0x7f00000
	s_cselect_b32 s14, s11, 0x7e
	s_mov_b64 s[10:11], 0
	s_branch .LBB15_870
.LBB15_868:
	s_mov_b64 s[10:11], -1
                                        ; implicit-def: $vgpr4
	s_branch .LBB15_873
.LBB15_869:
	s_mov_b64 s[10:11], -1
                                        ; implicit-def: $sgpr14
.LBB15_870:
	s_andn2_b64 vcc, exec, s[10:11]
	v_mov_b32_e32 v4, s14
	s_cbranch_vccnz .LBB15_872
; %bb.871:
	s_mov_b32 s10, 0x46800000
	v_add_f32_e64 v4, |v1|, s10
.LBB15_872:
	s_mov_b64 s[10:11], 0
.LBB15_873:
	s_andn2_b64 vcc, exec, s[10:11]
	s_cbranch_vccnz .LBB15_875
; %bb.874:
	s_cmp_gt_u32 s13, 0x7f800000
	s_movk_i32 s10, 0x7f
	s_cselect_b32 s10, s10, 0x7e
	v_mov_b32_e32 v4, s10
.LBB15_875:
	s_lshr_b32 s10, s12, 24
	s_and_b32 s10, s10, 0x80
	v_or_b32_e32 v1, s10, v4
	global_store_byte v[2:3], v1, off
.LBB15_876:
	s_mov_b64 s[10:11], 0
.LBB15_877:
	s_andn2_b64 vcc, exec, s[10:11]
	s_cbranch_vccnz .LBB15_889
; %bb.878:
	s_bfe_i32 s10, s16, 0x80000
	s_sext_i32_i16 s10, s10
	v_cvt_f32_i32_e32 v1, s10
	v_readfirstlane_b32 s12, v1
	s_and_b32 s13, s12, 0x7fffffff
	s_cmp_lt_u32 s13, 0x47800000
	s_cbranch_scc0 .LBB15_881
; %bb.879:
	s_cmp_gt_u32 s13, 0x387fffff
	s_cbranch_scc0 .LBB15_882
; %bb.880:
	s_bfe_u32 s10, s12, 0x10015
	s_add_i32 s10, s12, s10
	s_add_i32 s10, s10, 0x80fffff
	s_lshr_b32 s14, s10, 21
	s_mov_b64 s[10:11], 0
	s_branch .LBB15_883
.LBB15_881:
	s_mov_b64 s[10:11], -1
                                        ; implicit-def: $vgpr4
	s_branch .LBB15_886
.LBB15_882:
	s_mov_b64 s[10:11], -1
                                        ; implicit-def: $sgpr14
.LBB15_883:
	s_andn2_b64 vcc, exec, s[10:11]
	v_mov_b32_e32 v4, s14
	s_cbranch_vccnz .LBB15_885
; %bb.884:
	s_mov_b32 s10, 0x43000000
	v_add_f32_e64 v4, |v1|, s10
.LBB15_885:
	s_mov_b64 s[10:11], 0
.LBB15_886:
	s_andn2_b64 vcc, exec, s[10:11]
	s_cbranch_vccnz .LBB15_888
; %bb.887:
	s_cmp_gt_u32 s13, 0x7f800000
	s_movk_i32 s10, 0x7f
	s_cselect_b32 s10, s10, 0x7c
	v_mov_b32_e32 v4, s10
.LBB15_888:
	s_lshr_b32 s10, s12, 24
	s_and_b32 s10, s10, 0x80
	v_or_b32_e32 v1, s10, v4
	global_store_byte v[2:3], v1, off
.LBB15_889:
	s_mov_b64 s[10:11], 0
	s_mov_b64 s[12:13], -1
.LBB15_890:
	s_andn2_b64 vcc, exec, s[10:11]
	s_mov_b64 s[10:11], 0
	s_cbranch_vccnz .LBB15_897
; %bb.891:
	v_cmp_lt_i16_e32 vcc, 14, v8
	s_mov_b64 s[14:15], -1
	s_cbranch_vccz .LBB15_895
; %bb.892:
	v_cmp_eq_u16_e32 vcc, 15, v8
	s_mov_b64 s[4:5], -1
	s_cbranch_vccz .LBB15_894
; %bb.893:
	s_bfe_i32 s4, s16, 0x80000
	s_sext_i32_i16 s4, s4
	v_cvt_f32_i32_e32 v1, s4
	s_mov_b64 s[4:5], 0
	s_mov_b64 s[12:13], -1
	v_bfe_u32 v4, v1, 16, 1
	v_add_u32_e32 v1, v1, v4
	v_add_u32_e32 v1, 0x7fff, v1
	global_store_short_d16_hi v[2:3], v1, off
.LBB15_894:
	s_mov_b64 s[14:15], 0
.LBB15_895:
	s_and_b64 vcc, exec, s[14:15]
	s_cbranch_vccz .LBB15_897
; %bb.896:
	v_cmp_ne_u16_e64 s[4:5], 11, v8
	s_mov_b64 s[10:11], -1
.LBB15_897:
	s_and_b64 vcc, exec, s[4:5]
	s_cbranch_vccnz .LBB15_984
; %bb.898:
	s_andn2_b64 vcc, exec, s[10:11]
	s_cbranch_vccnz .LBB15_900
.LBB15_899:
	v_mov_b32_e32 v1, 0
	v_cmp_ne_u16_sdwa s[4:5], s16, v1 src0_sel:BYTE_0 src1_sel:DWORD
	v_cndmask_b32_e64 v1, 0, 1, s[4:5]
	s_mov_b64 s[12:13], -1
	global_store_byte v[2:3], v1, off
.LBB15_900:
	s_branch .LBB15_797
.LBB15_901:
	v_cmp_gt_i16_e32 vcc, 5, v8
	s_mov_b64 s[4:5], -1
	s_cbranch_vccnz .LBB15_922
; %bb.902:
	v_cmp_gt_i16_e32 vcc, 8, v8
	s_cbranch_vccnz .LBB15_912
; %bb.903:
	v_cmp_gt_i16_e32 vcc, 9, v8
	s_cbranch_vccnz .LBB15_909
; %bb.904:
	v_cmp_lt_i16_e32 vcc, 9, v8
	s_cbranch_vccz .LBB15_906
; %bb.905:
	s_bfe_i32 s4, s16, 0x80000
	s_sext_i32_i16 s4, s4
	v_mov_b32_e32 v6, 0
	v_cvt_f64_i32_e32 v[4:5], s4
	v_mov_b32_e32 v7, v6
	global_store_dwordx4 v[2:3], v[4:7], off
	s_mov_b64 s[4:5], 0
.LBB15_906:
	s_andn2_b64 vcc, exec, s[4:5]
	s_cbranch_vccnz .LBB15_908
; %bb.907:
	s_bfe_i32 s4, s16, 0x80000
	s_sext_i32_i16 s4, s4
	v_cvt_f32_i32_e32 v4, s4
	v_mov_b32_e32 v5, 0
	global_store_dwordx2 v[2:3], v[4:5], off
.LBB15_908:
	s_mov_b64 s[4:5], 0
.LBB15_909:
	s_andn2_b64 vcc, exec, s[4:5]
	s_cbranch_vccnz .LBB15_911
; %bb.910:
	s_bfe_i32 s4, s16, 0x80000
	v_cvt_f16_i16_e32 v1, s4
	global_store_dword v[2:3], v1, off
.LBB15_911:
	s_mov_b64 s[4:5], 0
.LBB15_912:
	s_andn2_b64 vcc, exec, s[4:5]
	s_cbranch_vccnz .LBB15_921
; %bb.913:
	v_cmp_gt_i16_e32 vcc, 6, v8
	s_mov_b64 s[4:5], -1
	s_cbranch_vccnz .LBB15_919
; %bb.914:
	v_cmp_lt_i16_e32 vcc, 6, v8
	s_cbranch_vccz .LBB15_916
; %bb.915:
	s_bfe_i32 s4, s16, 0x80000
	s_sext_i32_i16 s4, s4
	v_cvt_f64_i32_e32 v[4:5], s4
	global_store_dwordx2 v[2:3], v[4:5], off
	s_mov_b64 s[4:5], 0
.LBB15_916:
	s_andn2_b64 vcc, exec, s[4:5]
	s_cbranch_vccnz .LBB15_918
; %bb.917:
	s_bfe_i32 s4, s16, 0x80000
	s_sext_i32_i16 s4, s4
	v_cvt_f32_i32_e32 v1, s4
	global_store_dword v[2:3], v1, off
.LBB15_918:
	s_mov_b64 s[4:5], 0
.LBB15_919:
	s_andn2_b64 vcc, exec, s[4:5]
	s_cbranch_vccnz .LBB15_921
; %bb.920:
	s_bfe_i32 s4, s16, 0x80000
	v_cvt_f16_i16_e32 v1, s4
	global_store_short v[2:3], v1, off
.LBB15_921:
	s_mov_b64 s[4:5], 0
.LBB15_922:
	s_andn2_b64 vcc, exec, s[4:5]
	s_cbranch_vccnz .LBB15_938
; %bb.923:
	v_cmp_gt_i16_e32 vcc, 2, v8
	s_mov_b64 s[4:5], -1
	s_cbranch_vccnz .LBB15_933
; %bb.924:
	v_cmp_gt_i16_e32 vcc, 3, v8
	s_cbranch_vccnz .LBB15_930
; %bb.925:
	v_cmp_lt_i16_e32 vcc, 3, v8
	s_cbranch_vccz .LBB15_927
; %bb.926:
	v_mov_b32_e32 v4, s16
	v_bfe_i32 v4, v4, 0, 8
	v_ashrrev_i32_e32 v5, 31, v4
	global_store_dwordx2 v[2:3], v[4:5], off
	s_mov_b64 s[4:5], 0
.LBB15_927:
	s_andn2_b64 vcc, exec, s[4:5]
	s_cbranch_vccnz .LBB15_929
; %bb.928:
	s_sext_i32_i8 s4, s16
	v_mov_b32_e32 v1, s4
	global_store_dword v[2:3], v1, off
.LBB15_929:
	s_mov_b64 s[4:5], 0
.LBB15_930:
	s_andn2_b64 vcc, exec, s[4:5]
	s_cbranch_vccnz .LBB15_932
; %bb.931:
	s_bfe_i32 s4, s16, 0x80000
	v_mov_b32_e32 v1, s4
	global_store_short v[2:3], v1, off
.LBB15_932:
	s_mov_b64 s[4:5], 0
.LBB15_933:
	s_andn2_b64 vcc, exec, s[4:5]
	s_cbranch_vccnz .LBB15_938
; %bb.934:
	v_cmp_lt_i16_e32 vcc, 0, v8
	s_mov_b64 s[4:5], -1
	s_cbranch_vccz .LBB15_936
; %bb.935:
	v_mov_b32_e32 v1, s16
	global_store_byte v[2:3], v1, off
	s_mov_b64 s[4:5], 0
.LBB15_936:
	s_andn2_b64 vcc, exec, s[4:5]
	s_cbranch_vccnz .LBB15_938
; %bb.937:
	v_mov_b32_e32 v1, s16
	global_store_byte v[2:3], v1, off
.LBB15_938:
	s_branch .LBB15_798
.LBB15_939:
	s_mov_b64 s[0:1], 0
	s_mov_b64 s[4:5], 0
                                        ; implicit-def: $vgpr8
                                        ; implicit-def: $vgpr0_vgpr1
.LBB15_940:
	s_and_b64 s[28:29], s[4:5], exec
	s_andn2_b64 s[4:5], s[6:7], exec
	s_and_b64 s[2:3], s[2:3], exec
	s_and_b64 s[0:1], s[0:1], exec
	s_or_b64 s[6:7], s[4:5], s[2:3]
.LBB15_941:
	s_or_b64 exec, exec, s[24:25]
	s_and_saveexec_b64 s[2:3], s[6:7]
	s_cbranch_execz .LBB15_944
; %bb.942:
	; divergent unreachable
	s_or_b64 exec, exec, s[2:3]
	s_and_saveexec_b64 s[2:3], s[28:29]
	s_xor_b64 s[2:3], exec, s[2:3]
	s_cbranch_execnz .LBB15_945
.LBB15_943:
	s_or_b64 exec, exec, s[2:3]
	s_and_saveexec_b64 s[2:3], s[0:1]
	s_cbranch_execnz .LBB15_946
	s_branch .LBB15_983
.LBB15_944:
	s_or_b64 exec, exec, s[2:3]
	s_and_saveexec_b64 s[2:3], s[28:29]
	s_xor_b64 s[2:3], exec, s[2:3]
	s_cbranch_execz .LBB15_943
.LBB15_945:
	v_mov_b32_e32 v2, 0
	v_cmp_ne_u16_sdwa s[4:5], s16, v2 src0_sel:BYTE_0 src1_sel:DWORD
	v_cndmask_b32_e64 v2, 0, 1, s[4:5]
	global_store_byte v[0:1], v2, off
	s_or_b64 exec, exec, s[2:3]
	s_and_saveexec_b64 s[2:3], s[0:1]
	s_cbranch_execz .LBB15_983
.LBB15_946:
	v_cmp_gt_i16_e32 vcc, 5, v8
	s_mov_b64 s[0:1], -1
	s_cbranch_vccnz .LBB15_967
; %bb.947:
	v_cmp_gt_i16_e32 vcc, 8, v8
	s_cbranch_vccnz .LBB15_957
; %bb.948:
	v_cmp_gt_i16_e32 vcc, 9, v8
	s_cbranch_vccnz .LBB15_954
; %bb.949:
	v_cmp_lt_i16_e32 vcc, 9, v8
	s_cbranch_vccz .LBB15_951
; %bb.950:
	s_bfe_i32 s0, s16, 0x80000
	s_sext_i32_i16 s0, s0
	v_mov_b32_e32 v4, 0
	v_cvt_f64_i32_e32 v[2:3], s0
	v_mov_b32_e32 v5, v4
	global_store_dwordx4 v[0:1], v[2:5], off
	s_mov_b64 s[0:1], 0
.LBB15_951:
	s_andn2_b64 vcc, exec, s[0:1]
	s_cbranch_vccnz .LBB15_953
; %bb.952:
	s_bfe_i32 s0, s16, 0x80000
	s_sext_i32_i16 s0, s0
	v_cvt_f32_i32_e32 v2, s0
	v_mov_b32_e32 v3, 0
	global_store_dwordx2 v[0:1], v[2:3], off
.LBB15_953:
	s_mov_b64 s[0:1], 0
.LBB15_954:
	s_andn2_b64 vcc, exec, s[0:1]
	s_cbranch_vccnz .LBB15_956
; %bb.955:
	s_bfe_i32 s0, s16, 0x80000
	v_cvt_f16_i16_e32 v2, s0
	global_store_dword v[0:1], v2, off
.LBB15_956:
	s_mov_b64 s[0:1], 0
.LBB15_957:
	s_andn2_b64 vcc, exec, s[0:1]
	s_cbranch_vccnz .LBB15_966
; %bb.958:
	v_cmp_gt_i16_e32 vcc, 6, v8
	s_mov_b64 s[0:1], -1
	s_cbranch_vccnz .LBB15_964
; %bb.959:
	v_cmp_lt_i16_e32 vcc, 6, v8
	s_cbranch_vccz .LBB15_961
; %bb.960:
	s_bfe_i32 s0, s16, 0x80000
	s_sext_i32_i16 s0, s0
	v_cvt_f64_i32_e32 v[2:3], s0
	global_store_dwordx2 v[0:1], v[2:3], off
	s_mov_b64 s[0:1], 0
.LBB15_961:
	s_andn2_b64 vcc, exec, s[0:1]
	s_cbranch_vccnz .LBB15_963
; %bb.962:
	s_bfe_i32 s0, s16, 0x80000
	s_sext_i32_i16 s0, s0
	v_cvt_f32_i32_e32 v2, s0
	global_store_dword v[0:1], v2, off
.LBB15_963:
	s_mov_b64 s[0:1], 0
.LBB15_964:
	s_andn2_b64 vcc, exec, s[0:1]
	s_cbranch_vccnz .LBB15_966
; %bb.965:
	s_bfe_i32 s0, s16, 0x80000
	v_cvt_f16_i16_e32 v2, s0
	global_store_short v[0:1], v2, off
.LBB15_966:
	s_mov_b64 s[0:1], 0
.LBB15_967:
	s_andn2_b64 vcc, exec, s[0:1]
	s_cbranch_vccnz .LBB15_983
; %bb.968:
	v_cmp_gt_i16_e32 vcc, 2, v8
	s_mov_b64 s[0:1], -1
	s_cbranch_vccnz .LBB15_978
; %bb.969:
	v_cmp_gt_i16_e32 vcc, 3, v8
	s_cbranch_vccnz .LBB15_975
; %bb.970:
	v_cmp_lt_i16_e32 vcc, 3, v8
	s_cbranch_vccz .LBB15_972
; %bb.971:
	v_mov_b32_e32 v2, s16
	v_bfe_i32 v2, v2, 0, 8
	v_ashrrev_i32_e32 v3, 31, v2
	global_store_dwordx2 v[0:1], v[2:3], off
	s_mov_b64 s[0:1], 0
.LBB15_972:
	s_andn2_b64 vcc, exec, s[0:1]
	s_cbranch_vccnz .LBB15_974
; %bb.973:
	s_sext_i32_i8 s0, s16
	v_mov_b32_e32 v2, s0
	global_store_dword v[0:1], v2, off
.LBB15_974:
	s_mov_b64 s[0:1], 0
.LBB15_975:
	s_andn2_b64 vcc, exec, s[0:1]
	s_cbranch_vccnz .LBB15_977
; %bb.976:
	s_bfe_i32 s0, s16, 0x80000
	v_mov_b32_e32 v2, s0
	global_store_short v[0:1], v2, off
.LBB15_977:
	s_mov_b64 s[0:1], 0
.LBB15_978:
	s_andn2_b64 vcc, exec, s[0:1]
	s_cbranch_vccnz .LBB15_983
; %bb.979:
	v_cmp_lt_i16_e32 vcc, 0, v8
	s_mov_b64 s[0:1], -1
	s_cbranch_vccz .LBB15_981
; %bb.980:
	v_mov_b32_e32 v2, s16
	global_store_byte v[0:1], v2, off
	s_mov_b64 s[0:1], 0
.LBB15_981:
	s_andn2_b64 vcc, exec, s[0:1]
	s_cbranch_vccnz .LBB15_983
; %bb.982:
	v_mov_b32_e32 v2, s16
	global_store_byte v[0:1], v2, off
	s_endpgm
.LBB15_983:
	s_endpgm
.LBB15_984:
	s_trap 2
	s_or_b64 s[2:3], s[2:3], exec
	s_cbranch_execz .LBB15_899
	s_branch .LBB15_900
.LBB15_985:
	s_mov_b64 s[8:9], -1
	s_mov_b64 s[4:5], 0
                                        ; implicit-def: $sgpr11
.LBB15_986:
	s_andn2_b64 vcc, exec, s[8:9]
	v_mov_b32_e32 v2, s11
                                        ; implicit-def: $sgpr8
	s_cbranch_vccnz .LBB15_988
; %bb.987:
	v_mov_b32_e32 v2, 0x42800000
	v_add_f32_e64 v2, |s10|, v2
	v_and_b32_e32 v2, 0xff, v2
	s_mov_b32 s8, 0
	v_cmp_ne_u32_e64 s[4:5], 0, v2
.LBB15_988:
	s_andn2_b64 vcc, exec, s[4:5]
	v_mov_b32_e32 v3, s8
	s_cbranch_vccnz .LBB15_990
; %bb.989:
	s_lshr_b32 s4, s10, 24
	s_and_b32 s4, s4, 0x80
	v_or_b32_e32 v3, s4, v2
.LBB15_990:
	s_mov_b64 s[4:5], 0
	global_store_byte v[0:1], v3, off
.LBB15_991:
	s_and_b64 vcc, exec, s[4:5]
	s_cbranch_vccz .LBB15_1003
; %bb.992:
	s_bfe_i32 s4, s16, 0x80000
	s_sext_i32_i16 s4, s4
	v_cvt_f32_i32_e32 v2, s4
	v_readfirstlane_b32 s8, v2
	s_and_b32 s9, s8, 0x7fffffff
	s_cmp_lt_u32 s9, 0x43f00000
	s_cbranch_scc0 .LBB15_995
; %bb.993:
	s_cmp_gt_u32 s9, 0x3c7fffff
	s_cbranch_scc0 .LBB15_996
; %bb.994:
	s_bfe_u32 s4, s8, 0x10014
	s_add_i32 s4, s8, s4
	s_add_i32 s4, s4, 0x407ffff
	s_lshr_b32 s5, s4, 20
	s_and_b32 s4, s4, 0xff00000
	s_cmp_lg_u32 s4, 0x7f00000
	s_cselect_b32 s10, s5, 0x7e
	s_mov_b64 s[4:5], 0
	s_branch .LBB15_997
.LBB15_995:
	s_mov_b64 s[4:5], -1
                                        ; implicit-def: $vgpr3
	s_branch .LBB15_1000
.LBB15_996:
	s_mov_b64 s[4:5], -1
                                        ; implicit-def: $sgpr10
.LBB15_997:
	s_andn2_b64 vcc, exec, s[4:5]
	v_mov_b32_e32 v3, s10
	s_cbranch_vccnz .LBB15_999
; %bb.998:
	s_mov_b32 s4, 0x46800000
	v_add_f32_e64 v3, |v2|, s4
.LBB15_999:
	s_mov_b64 s[4:5], 0
.LBB15_1000:
	s_andn2_b64 vcc, exec, s[4:5]
	s_cbranch_vccnz .LBB15_1002
; %bb.1001:
	s_cmp_gt_u32 s9, 0x7f800000
	s_movk_i32 s4, 0x7f
	s_cselect_b32 s4, s4, 0x7e
	v_mov_b32_e32 v3, s4
.LBB15_1002:
	s_lshr_b32 s4, s8, 24
	s_and_b32 s4, s4, 0x80
	v_or_b32_e32 v2, s4, v3
	global_store_byte v[0:1], v2, off
.LBB15_1003:
	s_mov_b64 s[4:5], 0
.LBB15_1004:
	s_andn2_b64 vcc, exec, s[4:5]
	s_cbranch_vccnz .LBB15_1016
; %bb.1005:
	s_bfe_i32 s4, s16, 0x80000
	s_sext_i32_i16 s4, s4
	v_cvt_f32_i32_e32 v2, s4
	v_readfirstlane_b32 s8, v2
	s_and_b32 s9, s8, 0x7fffffff
	s_cmp_lt_u32 s9, 0x47800000
	s_cbranch_scc0 .LBB15_1008
; %bb.1006:
	s_cmp_gt_u32 s9, 0x387fffff
	s_cbranch_scc0 .LBB15_1009
; %bb.1007:
	s_bfe_u32 s4, s8, 0x10015
	s_add_i32 s4, s8, s4
	s_add_i32 s4, s4, 0x80fffff
	s_lshr_b32 s10, s4, 21
	s_mov_b64 s[4:5], 0
	s_branch .LBB15_1010
.LBB15_1008:
	s_mov_b64 s[4:5], -1
                                        ; implicit-def: $vgpr3
	s_branch .LBB15_1013
.LBB15_1009:
	s_mov_b64 s[4:5], -1
                                        ; implicit-def: $sgpr10
.LBB15_1010:
	s_andn2_b64 vcc, exec, s[4:5]
	v_mov_b32_e32 v3, s10
	s_cbranch_vccnz .LBB15_1012
; %bb.1011:
	s_mov_b32 s4, 0x43000000
	v_add_f32_e64 v3, |v2|, s4
.LBB15_1012:
	s_mov_b64 s[4:5], 0
.LBB15_1013:
	s_andn2_b64 vcc, exec, s[4:5]
	s_cbranch_vccnz .LBB15_1015
; %bb.1014:
	s_cmp_gt_u32 s9, 0x7f800000
	s_movk_i32 s4, 0x7f
	s_cselect_b32 s4, s4, 0x7c
	v_mov_b32_e32 v3, s4
.LBB15_1015:
	s_lshr_b32 s4, s8, 24
	s_and_b32 s4, s4, 0x80
	v_or_b32_e32 v2, s4, v3
	global_store_byte v[0:1], v2, off
.LBB15_1016:
	s_mov_b64 s[4:5], 0
.LBB15_1017:
	s_andn2_b64 vcc, exec, s[4:5]
	s_mov_b64 s[4:5], 0
	s_cbranch_vccnz .LBB15_1024
; %bb.1018:
	v_cmp_lt_i16_e32 vcc, 14, v8
	s_mov_b64 s[8:9], -1
	s_cbranch_vccz .LBB15_1022
; %bb.1019:
	v_cmp_eq_u16_e32 vcc, 15, v8
	s_mov_b64 s[0:1], -1
	s_cbranch_vccz .LBB15_1021
; %bb.1020:
	s_bfe_i32 s0, s16, 0x80000
	s_sext_i32_i16 s0, s0
	v_cvt_f32_i32_e32 v2, s0
	s_mov_b64 s[0:1], 0
	v_bfe_u32 v3, v2, 16, 1
	v_add_u32_e32 v2, v2, v3
	v_add_u32_e32 v2, 0x7fff, v2
	global_store_short_d16_hi v[0:1], v2, off
.LBB15_1021:
	s_mov_b64 s[8:9], 0
.LBB15_1022:
	s_and_b64 vcc, exec, s[8:9]
	s_cbranch_vccz .LBB15_1024
; %bb.1023:
	v_cmp_ne_u16_e64 s[0:1], 11, v8
	s_mov_b64 s[4:5], -1
.LBB15_1024:
	s_and_b64 vcc, exec, s[0:1]
	s_cbranch_vccnz .LBB15_1026
.LBB15_1025:
	s_mov_b64 s[0:1], 0
	s_branch .LBB15_940
.LBB15_1026:
	s_mov_b64 s[4:5], 0
	s_or_b64 s[2:3], s[2:3], exec
	s_trap 2
	s_branch .LBB15_1025
	.section	.rodata,"a",@progbits
	.p2align	6, 0x0
	.amdhsa_kernel _ZN2at6native32elementwise_kernel_manual_unrollILi128ELi4EZNS0_15gpu_kernel_implINS0_11FillFunctorIaEEEEvRNS_18TensorIteratorBaseERKT_EUlibE0_EEviT1_
		.amdhsa_group_segment_fixed_size 0
		.amdhsa_private_segment_fixed_size 0
		.amdhsa_kernarg_size 288
		.amdhsa_user_sgpr_count 6
		.amdhsa_user_sgpr_private_segment_buffer 1
		.amdhsa_user_sgpr_dispatch_ptr 0
		.amdhsa_user_sgpr_queue_ptr 0
		.amdhsa_user_sgpr_kernarg_segment_ptr 1
		.amdhsa_user_sgpr_dispatch_id 0
		.amdhsa_user_sgpr_flat_scratch_init 0
		.amdhsa_user_sgpr_kernarg_preload_length 0
		.amdhsa_user_sgpr_kernarg_preload_offset 0
		.amdhsa_user_sgpr_private_segment_size 0
		.amdhsa_uses_dynamic_stack 0
		.amdhsa_system_sgpr_private_segment_wavefront_offset 0
		.amdhsa_system_sgpr_workgroup_id_x 1
		.amdhsa_system_sgpr_workgroup_id_y 0
		.amdhsa_system_sgpr_workgroup_id_z 0
		.amdhsa_system_sgpr_workgroup_info 0
		.amdhsa_system_vgpr_workitem_id 0
		.amdhsa_next_free_vgpr 18
		.amdhsa_next_free_sgpr 96
		.amdhsa_accum_offset 20
		.amdhsa_reserve_vcc 1
		.amdhsa_reserve_flat_scratch 0
		.amdhsa_float_round_mode_32 0
		.amdhsa_float_round_mode_16_64 0
		.amdhsa_float_denorm_mode_32 3
		.amdhsa_float_denorm_mode_16_64 3
		.amdhsa_dx10_clamp 1
		.amdhsa_ieee_mode 1
		.amdhsa_fp16_overflow 0
		.amdhsa_tg_split 0
		.amdhsa_exception_fp_ieee_invalid_op 0
		.amdhsa_exception_fp_denorm_src 0
		.amdhsa_exception_fp_ieee_div_zero 0
		.amdhsa_exception_fp_ieee_overflow 0
		.amdhsa_exception_fp_ieee_underflow 0
		.amdhsa_exception_fp_ieee_inexact 0
		.amdhsa_exception_int_div_zero 0
	.end_amdhsa_kernel
	.section	.text._ZN2at6native32elementwise_kernel_manual_unrollILi128ELi4EZNS0_15gpu_kernel_implINS0_11FillFunctorIaEEEEvRNS_18TensorIteratorBaseERKT_EUlibE0_EEviT1_,"axG",@progbits,_ZN2at6native32elementwise_kernel_manual_unrollILi128ELi4EZNS0_15gpu_kernel_implINS0_11FillFunctorIaEEEEvRNS_18TensorIteratorBaseERKT_EUlibE0_EEviT1_,comdat
.Lfunc_end15:
	.size	_ZN2at6native32elementwise_kernel_manual_unrollILi128ELi4EZNS0_15gpu_kernel_implINS0_11FillFunctorIaEEEEvRNS_18TensorIteratorBaseERKT_EUlibE0_EEviT1_, .Lfunc_end15-_ZN2at6native32elementwise_kernel_manual_unrollILi128ELi4EZNS0_15gpu_kernel_implINS0_11FillFunctorIaEEEEvRNS_18TensorIteratorBaseERKT_EUlibE0_EEviT1_
                                        ; -- End function
	.section	.AMDGPU.csdata,"",@progbits
; Kernel info:
; codeLenInByte = 17464
; NumSgprs: 100
; NumVgprs: 18
; NumAgprs: 0
; TotalNumVgprs: 18
; ScratchSize: 0
; MemoryBound: 0
; FloatMode: 240
; IeeeMode: 1
; LDSByteSize: 0 bytes/workgroup (compile time only)
; SGPRBlocks: 12
; VGPRBlocks: 2
; NumSGPRsForWavesPerEU: 100
; NumVGPRsForWavesPerEU: 18
; AccumOffset: 20
; Occupancy: 8
; WaveLimiterHint : 1
; COMPUTE_PGM_RSRC2:SCRATCH_EN: 0
; COMPUTE_PGM_RSRC2:USER_SGPR: 6
; COMPUTE_PGM_RSRC2:TRAP_HANDLER: 0
; COMPUTE_PGM_RSRC2:TGID_X_EN: 1
; COMPUTE_PGM_RSRC2:TGID_Y_EN: 0
; COMPUTE_PGM_RSRC2:TGID_Z_EN: 0
; COMPUTE_PGM_RSRC2:TIDIG_COMP_CNT: 0
; COMPUTE_PGM_RSRC3_GFX90A:ACCUM_OFFSET: 4
; COMPUTE_PGM_RSRC3_GFX90A:TG_SPLIT: 0
	.section	.text._ZN2at6native29vectorized_elementwise_kernelILi16ENS0_11FillFunctorIiEESt5arrayIPcLm1EEEEviT0_T1_,"axG",@progbits,_ZN2at6native29vectorized_elementwise_kernelILi16ENS0_11FillFunctorIiEESt5arrayIPcLm1EEEEviT0_T1_,comdat
	.protected	_ZN2at6native29vectorized_elementwise_kernelILi16ENS0_11FillFunctorIiEESt5arrayIPcLm1EEEEviT0_T1_ ; -- Begin function _ZN2at6native29vectorized_elementwise_kernelILi16ENS0_11FillFunctorIiEESt5arrayIPcLm1EEEEviT0_T1_
	.globl	_ZN2at6native29vectorized_elementwise_kernelILi16ENS0_11FillFunctorIiEESt5arrayIPcLm1EEEEviT0_T1_
	.p2align	8
	.type	_ZN2at6native29vectorized_elementwise_kernelILi16ENS0_11FillFunctorIiEESt5arrayIPcLm1EEEEviT0_T1_,@function
_ZN2at6native29vectorized_elementwise_kernelILi16ENS0_11FillFunctorIiEESt5arrayIPcLm1EEEEviT0_T1_: ; @_ZN2at6native29vectorized_elementwise_kernelILi16ENS0_11FillFunctorIiEESt5arrayIPcLm1EEEEviT0_T1_
; %bb.0:
	s_load_dwordx4 s[0:3], s[4:5], 0x0
	s_lshl_b32 s4, s6, 10
	s_mov_b64 s[6:7], -1
	s_waitcnt lgkmcnt(0)
	s_sub_i32 s0, s0, s4
	s_cmpk_gt_i32 s0, 0x3ff
	s_cbranch_scc0 .LBB16_2
; %bb.1:
	s_ashr_i32 s5, s4, 31
	s_lshl_b64 s[6:7], s[4:5], 2
	s_add_u32 s6, s2, s6
	s_addc_u32 s7, s3, s7
	v_lshlrev_b32_e32 v1, 4, v0
	v_mov_b32_e32 v2, s1
	v_mov_b32_e32 v3, s1
	;; [unrolled: 1-line block ×4, first 2 shown]
	global_store_dwordx4 v1, v[2:5], s[6:7]
	s_mov_b64 s[6:7], 0
.LBB16_2:
	s_andn2_b64 vcc, exec, s[6:7]
	s_cbranch_vccnz .LBB16_8
; %bb.3:
	v_cmp_gt_i32_e32 vcc, s0, v0
	s_and_saveexec_b64 s[6:7], vcc
	s_cbranch_execnz .LBB16_9
; %bb.4:
	s_or_b64 exec, exec, s[6:7]
	v_cmp_gt_i32_e32 vcc, s0, v0
	s_and_saveexec_b64 s[6:7], vcc
	s_cbranch_execnz .LBB16_10
.LBB16_5:
	s_or_b64 exec, exec, s[6:7]
	v_cmp_gt_i32_e32 vcc, s0, v0
	s_and_saveexec_b64 s[6:7], vcc
	s_cbranch_execnz .LBB16_11
.LBB16_6:
	s_or_b64 exec, exec, s[6:7]
	v_cmp_gt_i32_e32 vcc, s0, v0
	s_and_saveexec_b64 s[6:7], vcc
	s_cbranch_execz .LBB16_8
.LBB16_7:
	v_add_u32_e32 v0, s4, v0
	v_mov_b32_e32 v1, 0
	v_lshlrev_b64 v[0:1], 2, v[0:1]
	v_mov_b32_e32 v2, s3
	v_add_co_u32_e32 v0, vcc, s2, v0
	v_addc_co_u32_e32 v1, vcc, v2, v1, vcc
	v_mov_b32_e32 v2, s1
	global_store_dword v[0:1], v2, off
.LBB16_8:
	s_endpgm
.LBB16_9:
	v_or_b32_e32 v2, 0x100, v0
	v_or_b32_e32 v0, s4, v0
	v_mov_b32_e32 v1, 0
	v_lshlrev_b64 v[0:1], 2, v[0:1]
	v_mov_b32_e32 v3, s3
	v_add_co_u32_e32 v0, vcc, s2, v0
	v_addc_co_u32_e32 v1, vcc, v3, v1, vcc
	v_mov_b32_e32 v3, s1
	global_store_dword v[0:1], v3, off
	v_mov_b32_e32 v0, v2
	s_or_b64 exec, exec, s[6:7]
	v_cmp_gt_i32_e32 vcc, s0, v0
	s_and_saveexec_b64 s[6:7], vcc
	s_cbranch_execz .LBB16_5
.LBB16_10:
	v_add_u32_e32 v2, s4, v0
	v_mov_b32_e32 v3, 0
	v_lshlrev_b64 v[2:3], 2, v[2:3]
	v_mov_b32_e32 v1, s3
	v_add_co_u32_e32 v2, vcc, s2, v2
	v_addc_co_u32_e32 v3, vcc, v1, v3, vcc
	v_mov_b32_e32 v1, s1
	v_add_u32_e32 v0, 0x100, v0
	global_store_dword v[2:3], v1, off
	s_or_b64 exec, exec, s[6:7]
	v_cmp_gt_i32_e32 vcc, s0, v0
	s_and_saveexec_b64 s[6:7], vcc
	s_cbranch_execz .LBB16_6
.LBB16_11:
	v_add_u32_e32 v2, s4, v0
	v_mov_b32_e32 v3, 0
	v_lshlrev_b64 v[2:3], 2, v[2:3]
	v_mov_b32_e32 v1, s3
	v_add_co_u32_e32 v2, vcc, s2, v2
	v_addc_co_u32_e32 v3, vcc, v1, v3, vcc
	v_mov_b32_e32 v1, s1
	v_add_u32_e32 v0, 0x100, v0
	global_store_dword v[2:3], v1, off
	s_or_b64 exec, exec, s[6:7]
	v_cmp_gt_i32_e32 vcc, s0, v0
	s_and_saveexec_b64 s[6:7], vcc
	s_cbranch_execnz .LBB16_7
	s_branch .LBB16_8
	.section	.rodata,"a",@progbits
	.p2align	6, 0x0
	.amdhsa_kernel _ZN2at6native29vectorized_elementwise_kernelILi16ENS0_11FillFunctorIiEESt5arrayIPcLm1EEEEviT0_T1_
		.amdhsa_group_segment_fixed_size 0
		.amdhsa_private_segment_fixed_size 0
		.amdhsa_kernarg_size 16
		.amdhsa_user_sgpr_count 6
		.amdhsa_user_sgpr_private_segment_buffer 1
		.amdhsa_user_sgpr_dispatch_ptr 0
		.amdhsa_user_sgpr_queue_ptr 0
		.amdhsa_user_sgpr_kernarg_segment_ptr 1
		.amdhsa_user_sgpr_dispatch_id 0
		.amdhsa_user_sgpr_flat_scratch_init 0
		.amdhsa_user_sgpr_kernarg_preload_length 0
		.amdhsa_user_sgpr_kernarg_preload_offset 0
		.amdhsa_user_sgpr_private_segment_size 0
		.amdhsa_uses_dynamic_stack 0
		.amdhsa_system_sgpr_private_segment_wavefront_offset 0
		.amdhsa_system_sgpr_workgroup_id_x 1
		.amdhsa_system_sgpr_workgroup_id_y 0
		.amdhsa_system_sgpr_workgroup_id_z 0
		.amdhsa_system_sgpr_workgroup_info 0
		.amdhsa_system_vgpr_workitem_id 0
		.amdhsa_next_free_vgpr 6
		.amdhsa_next_free_sgpr 8
		.amdhsa_accum_offset 8
		.amdhsa_reserve_vcc 1
		.amdhsa_reserve_flat_scratch 0
		.amdhsa_float_round_mode_32 0
		.amdhsa_float_round_mode_16_64 0
		.amdhsa_float_denorm_mode_32 3
		.amdhsa_float_denorm_mode_16_64 3
		.amdhsa_dx10_clamp 1
		.amdhsa_ieee_mode 1
		.amdhsa_fp16_overflow 0
		.amdhsa_tg_split 0
		.amdhsa_exception_fp_ieee_invalid_op 0
		.amdhsa_exception_fp_denorm_src 0
		.amdhsa_exception_fp_ieee_div_zero 0
		.amdhsa_exception_fp_ieee_overflow 0
		.amdhsa_exception_fp_ieee_underflow 0
		.amdhsa_exception_fp_ieee_inexact 0
		.amdhsa_exception_int_div_zero 0
	.end_amdhsa_kernel
	.section	.text._ZN2at6native29vectorized_elementwise_kernelILi16ENS0_11FillFunctorIiEESt5arrayIPcLm1EEEEviT0_T1_,"axG",@progbits,_ZN2at6native29vectorized_elementwise_kernelILi16ENS0_11FillFunctorIiEESt5arrayIPcLm1EEEEviT0_T1_,comdat
.Lfunc_end16:
	.size	_ZN2at6native29vectorized_elementwise_kernelILi16ENS0_11FillFunctorIiEESt5arrayIPcLm1EEEEviT0_T1_, .Lfunc_end16-_ZN2at6native29vectorized_elementwise_kernelILi16ENS0_11FillFunctorIiEESt5arrayIPcLm1EEEEviT0_T1_
                                        ; -- End function
	.section	.AMDGPU.csdata,"",@progbits
; Kernel info:
; codeLenInByte = 392
; NumSgprs: 12
; NumVgprs: 6
; NumAgprs: 0
; TotalNumVgprs: 6
; ScratchSize: 0
; MemoryBound: 0
; FloatMode: 240
; IeeeMode: 1
; LDSByteSize: 0 bytes/workgroup (compile time only)
; SGPRBlocks: 1
; VGPRBlocks: 0
; NumSGPRsForWavesPerEU: 12
; NumVGPRsForWavesPerEU: 6
; AccumOffset: 8
; Occupancy: 8
; WaveLimiterHint : 0
; COMPUTE_PGM_RSRC2:SCRATCH_EN: 0
; COMPUTE_PGM_RSRC2:USER_SGPR: 6
; COMPUTE_PGM_RSRC2:TRAP_HANDLER: 0
; COMPUTE_PGM_RSRC2:TGID_X_EN: 1
; COMPUTE_PGM_RSRC2:TGID_Y_EN: 0
; COMPUTE_PGM_RSRC2:TGID_Z_EN: 0
; COMPUTE_PGM_RSRC2:TIDIG_COMP_CNT: 0
; COMPUTE_PGM_RSRC3_GFX90A:ACCUM_OFFSET: 1
; COMPUTE_PGM_RSRC3_GFX90A:TG_SPLIT: 0
	.section	.text._ZN2at6native29vectorized_elementwise_kernelILi8ENS0_11FillFunctorIiEESt5arrayIPcLm1EEEEviT0_T1_,"axG",@progbits,_ZN2at6native29vectorized_elementwise_kernelILi8ENS0_11FillFunctorIiEESt5arrayIPcLm1EEEEviT0_T1_,comdat
	.protected	_ZN2at6native29vectorized_elementwise_kernelILi8ENS0_11FillFunctorIiEESt5arrayIPcLm1EEEEviT0_T1_ ; -- Begin function _ZN2at6native29vectorized_elementwise_kernelILi8ENS0_11FillFunctorIiEESt5arrayIPcLm1EEEEviT0_T1_
	.globl	_ZN2at6native29vectorized_elementwise_kernelILi8ENS0_11FillFunctorIiEESt5arrayIPcLm1EEEEviT0_T1_
	.p2align	8
	.type	_ZN2at6native29vectorized_elementwise_kernelILi8ENS0_11FillFunctorIiEESt5arrayIPcLm1EEEEviT0_T1_,@function
_ZN2at6native29vectorized_elementwise_kernelILi8ENS0_11FillFunctorIiEESt5arrayIPcLm1EEEEviT0_T1_: ; @_ZN2at6native29vectorized_elementwise_kernelILi8ENS0_11FillFunctorIiEESt5arrayIPcLm1EEEEviT0_T1_
; %bb.0:
	s_load_dwordx4 s[0:3], s[4:5], 0x0
	s_lshl_b32 s4, s6, 10
	s_mov_b64 s[6:7], -1
	s_waitcnt lgkmcnt(0)
	s_sub_i32 s0, s0, s4
	s_cmpk_gt_i32 s0, 0x3ff
	s_cbranch_scc0 .LBB17_2
; %bb.1:
	s_ashr_i32 s5, s4, 31
	s_lshl_b64 s[6:7], s[4:5], 2
	s_add_u32 s6, s2, s6
	s_addc_u32 s7, s3, s7
	v_lshlrev_b32_e32 v1, 4, v0
	v_mov_b32_e32 v2, s1
	v_mov_b32_e32 v3, s1
	;; [unrolled: 1-line block ×4, first 2 shown]
	global_store_dwordx4 v1, v[2:5], s[6:7]
	s_mov_b64 s[6:7], 0
.LBB17_2:
	s_andn2_b64 vcc, exec, s[6:7]
	s_cbranch_vccnz .LBB17_8
; %bb.3:
	v_cmp_gt_i32_e32 vcc, s0, v0
	s_and_saveexec_b64 s[6:7], vcc
	s_cbranch_execnz .LBB17_9
; %bb.4:
	s_or_b64 exec, exec, s[6:7]
	v_cmp_gt_i32_e32 vcc, s0, v0
	s_and_saveexec_b64 s[6:7], vcc
	s_cbranch_execnz .LBB17_10
.LBB17_5:
	s_or_b64 exec, exec, s[6:7]
	v_cmp_gt_i32_e32 vcc, s0, v0
	s_and_saveexec_b64 s[6:7], vcc
	s_cbranch_execnz .LBB17_11
.LBB17_6:
	s_or_b64 exec, exec, s[6:7]
	v_cmp_gt_i32_e32 vcc, s0, v0
	s_and_saveexec_b64 s[6:7], vcc
	s_cbranch_execz .LBB17_8
.LBB17_7:
	v_add_u32_e32 v0, s4, v0
	v_mov_b32_e32 v1, 0
	v_lshlrev_b64 v[0:1], 2, v[0:1]
	v_mov_b32_e32 v2, s3
	v_add_co_u32_e32 v0, vcc, s2, v0
	v_addc_co_u32_e32 v1, vcc, v2, v1, vcc
	v_mov_b32_e32 v2, s1
	global_store_dword v[0:1], v2, off
.LBB17_8:
	s_endpgm
.LBB17_9:
	v_or_b32_e32 v2, 0x100, v0
	v_or_b32_e32 v0, s4, v0
	v_mov_b32_e32 v1, 0
	v_lshlrev_b64 v[0:1], 2, v[0:1]
	v_mov_b32_e32 v3, s3
	v_add_co_u32_e32 v0, vcc, s2, v0
	v_addc_co_u32_e32 v1, vcc, v3, v1, vcc
	v_mov_b32_e32 v3, s1
	global_store_dword v[0:1], v3, off
	v_mov_b32_e32 v0, v2
	s_or_b64 exec, exec, s[6:7]
	v_cmp_gt_i32_e32 vcc, s0, v0
	s_and_saveexec_b64 s[6:7], vcc
	s_cbranch_execz .LBB17_5
.LBB17_10:
	v_add_u32_e32 v2, s4, v0
	v_mov_b32_e32 v3, 0
	v_lshlrev_b64 v[2:3], 2, v[2:3]
	v_mov_b32_e32 v1, s3
	v_add_co_u32_e32 v2, vcc, s2, v2
	v_addc_co_u32_e32 v3, vcc, v1, v3, vcc
	v_mov_b32_e32 v1, s1
	v_add_u32_e32 v0, 0x100, v0
	global_store_dword v[2:3], v1, off
	s_or_b64 exec, exec, s[6:7]
	v_cmp_gt_i32_e32 vcc, s0, v0
	s_and_saveexec_b64 s[6:7], vcc
	s_cbranch_execz .LBB17_6
.LBB17_11:
	v_add_u32_e32 v2, s4, v0
	v_mov_b32_e32 v3, 0
	v_lshlrev_b64 v[2:3], 2, v[2:3]
	v_mov_b32_e32 v1, s3
	v_add_co_u32_e32 v2, vcc, s2, v2
	v_addc_co_u32_e32 v3, vcc, v1, v3, vcc
	v_mov_b32_e32 v1, s1
	v_add_u32_e32 v0, 0x100, v0
	global_store_dword v[2:3], v1, off
	s_or_b64 exec, exec, s[6:7]
	v_cmp_gt_i32_e32 vcc, s0, v0
	s_and_saveexec_b64 s[6:7], vcc
	s_cbranch_execnz .LBB17_7
	s_branch .LBB17_8
	.section	.rodata,"a",@progbits
	.p2align	6, 0x0
	.amdhsa_kernel _ZN2at6native29vectorized_elementwise_kernelILi8ENS0_11FillFunctorIiEESt5arrayIPcLm1EEEEviT0_T1_
		.amdhsa_group_segment_fixed_size 0
		.amdhsa_private_segment_fixed_size 0
		.amdhsa_kernarg_size 16
		.amdhsa_user_sgpr_count 6
		.amdhsa_user_sgpr_private_segment_buffer 1
		.amdhsa_user_sgpr_dispatch_ptr 0
		.amdhsa_user_sgpr_queue_ptr 0
		.amdhsa_user_sgpr_kernarg_segment_ptr 1
		.amdhsa_user_sgpr_dispatch_id 0
		.amdhsa_user_sgpr_flat_scratch_init 0
		.amdhsa_user_sgpr_kernarg_preload_length 0
		.amdhsa_user_sgpr_kernarg_preload_offset 0
		.amdhsa_user_sgpr_private_segment_size 0
		.amdhsa_uses_dynamic_stack 0
		.amdhsa_system_sgpr_private_segment_wavefront_offset 0
		.amdhsa_system_sgpr_workgroup_id_x 1
		.amdhsa_system_sgpr_workgroup_id_y 0
		.amdhsa_system_sgpr_workgroup_id_z 0
		.amdhsa_system_sgpr_workgroup_info 0
		.amdhsa_system_vgpr_workitem_id 0
		.amdhsa_next_free_vgpr 6
		.amdhsa_next_free_sgpr 8
		.amdhsa_accum_offset 8
		.amdhsa_reserve_vcc 1
		.amdhsa_reserve_flat_scratch 0
		.amdhsa_float_round_mode_32 0
		.amdhsa_float_round_mode_16_64 0
		.amdhsa_float_denorm_mode_32 3
		.amdhsa_float_denorm_mode_16_64 3
		.amdhsa_dx10_clamp 1
		.amdhsa_ieee_mode 1
		.amdhsa_fp16_overflow 0
		.amdhsa_tg_split 0
		.amdhsa_exception_fp_ieee_invalid_op 0
		.amdhsa_exception_fp_denorm_src 0
		.amdhsa_exception_fp_ieee_div_zero 0
		.amdhsa_exception_fp_ieee_overflow 0
		.amdhsa_exception_fp_ieee_underflow 0
		.amdhsa_exception_fp_ieee_inexact 0
		.amdhsa_exception_int_div_zero 0
	.end_amdhsa_kernel
	.section	.text._ZN2at6native29vectorized_elementwise_kernelILi8ENS0_11FillFunctorIiEESt5arrayIPcLm1EEEEviT0_T1_,"axG",@progbits,_ZN2at6native29vectorized_elementwise_kernelILi8ENS0_11FillFunctorIiEESt5arrayIPcLm1EEEEviT0_T1_,comdat
.Lfunc_end17:
	.size	_ZN2at6native29vectorized_elementwise_kernelILi8ENS0_11FillFunctorIiEESt5arrayIPcLm1EEEEviT0_T1_, .Lfunc_end17-_ZN2at6native29vectorized_elementwise_kernelILi8ENS0_11FillFunctorIiEESt5arrayIPcLm1EEEEviT0_T1_
                                        ; -- End function
	.section	.AMDGPU.csdata,"",@progbits
; Kernel info:
; codeLenInByte = 392
; NumSgprs: 12
; NumVgprs: 6
; NumAgprs: 0
; TotalNumVgprs: 6
; ScratchSize: 0
; MemoryBound: 0
; FloatMode: 240
; IeeeMode: 1
; LDSByteSize: 0 bytes/workgroup (compile time only)
; SGPRBlocks: 1
; VGPRBlocks: 0
; NumSGPRsForWavesPerEU: 12
; NumVGPRsForWavesPerEU: 6
; AccumOffset: 8
; Occupancy: 8
; WaveLimiterHint : 0
; COMPUTE_PGM_RSRC2:SCRATCH_EN: 0
; COMPUTE_PGM_RSRC2:USER_SGPR: 6
; COMPUTE_PGM_RSRC2:TRAP_HANDLER: 0
; COMPUTE_PGM_RSRC2:TGID_X_EN: 1
; COMPUTE_PGM_RSRC2:TGID_Y_EN: 0
; COMPUTE_PGM_RSRC2:TGID_Z_EN: 0
; COMPUTE_PGM_RSRC2:TIDIG_COMP_CNT: 0
; COMPUTE_PGM_RSRC3_GFX90A:ACCUM_OFFSET: 1
; COMPUTE_PGM_RSRC3_GFX90A:TG_SPLIT: 0
	.section	.text._ZN2at6native29vectorized_elementwise_kernelILi4ENS0_11FillFunctorIiEESt5arrayIPcLm1EEEEviT0_T1_,"axG",@progbits,_ZN2at6native29vectorized_elementwise_kernelILi4ENS0_11FillFunctorIiEESt5arrayIPcLm1EEEEviT0_T1_,comdat
	.protected	_ZN2at6native29vectorized_elementwise_kernelILi4ENS0_11FillFunctorIiEESt5arrayIPcLm1EEEEviT0_T1_ ; -- Begin function _ZN2at6native29vectorized_elementwise_kernelILi4ENS0_11FillFunctorIiEESt5arrayIPcLm1EEEEviT0_T1_
	.globl	_ZN2at6native29vectorized_elementwise_kernelILi4ENS0_11FillFunctorIiEESt5arrayIPcLm1EEEEviT0_T1_
	.p2align	8
	.type	_ZN2at6native29vectorized_elementwise_kernelILi4ENS0_11FillFunctorIiEESt5arrayIPcLm1EEEEviT0_T1_,@function
_ZN2at6native29vectorized_elementwise_kernelILi4ENS0_11FillFunctorIiEESt5arrayIPcLm1EEEEviT0_T1_: ; @_ZN2at6native29vectorized_elementwise_kernelILi4ENS0_11FillFunctorIiEESt5arrayIPcLm1EEEEviT0_T1_
; %bb.0:
	s_load_dwordx4 s[0:3], s[4:5], 0x0
	s_lshl_b32 s4, s6, 10
	s_mov_b64 s[6:7], -1
	s_waitcnt lgkmcnt(0)
	s_sub_i32 s0, s0, s4
	s_cmpk_gt_i32 s0, 0x3ff
	s_cbranch_scc0 .LBB18_2
; %bb.1:
	s_ashr_i32 s5, s4, 31
	s_lshl_b64 s[6:7], s[4:5], 2
	s_add_u32 s6, s2, s6
	s_addc_u32 s7, s3, s7
	v_lshlrev_b32_e32 v1, 4, v0
	v_mov_b32_e32 v2, s1
	v_mov_b32_e32 v3, s1
	;; [unrolled: 1-line block ×4, first 2 shown]
	global_store_dwordx4 v1, v[2:5], s[6:7]
	s_mov_b64 s[6:7], 0
.LBB18_2:
	s_andn2_b64 vcc, exec, s[6:7]
	s_cbranch_vccnz .LBB18_8
; %bb.3:
	v_cmp_gt_i32_e32 vcc, s0, v0
	s_and_saveexec_b64 s[6:7], vcc
	s_cbranch_execnz .LBB18_9
; %bb.4:
	s_or_b64 exec, exec, s[6:7]
	v_cmp_gt_i32_e32 vcc, s0, v0
	s_and_saveexec_b64 s[6:7], vcc
	s_cbranch_execnz .LBB18_10
.LBB18_5:
	s_or_b64 exec, exec, s[6:7]
	v_cmp_gt_i32_e32 vcc, s0, v0
	s_and_saveexec_b64 s[6:7], vcc
	s_cbranch_execnz .LBB18_11
.LBB18_6:
	s_or_b64 exec, exec, s[6:7]
	v_cmp_gt_i32_e32 vcc, s0, v0
	s_and_saveexec_b64 s[6:7], vcc
	s_cbranch_execz .LBB18_8
.LBB18_7:
	v_add_u32_e32 v0, s4, v0
	v_mov_b32_e32 v1, 0
	v_lshlrev_b64 v[0:1], 2, v[0:1]
	v_mov_b32_e32 v2, s3
	v_add_co_u32_e32 v0, vcc, s2, v0
	v_addc_co_u32_e32 v1, vcc, v2, v1, vcc
	v_mov_b32_e32 v2, s1
	global_store_dword v[0:1], v2, off
.LBB18_8:
	s_endpgm
.LBB18_9:
	v_or_b32_e32 v2, 0x100, v0
	v_or_b32_e32 v0, s4, v0
	v_mov_b32_e32 v1, 0
	v_lshlrev_b64 v[0:1], 2, v[0:1]
	v_mov_b32_e32 v3, s3
	v_add_co_u32_e32 v0, vcc, s2, v0
	v_addc_co_u32_e32 v1, vcc, v3, v1, vcc
	v_mov_b32_e32 v3, s1
	global_store_dword v[0:1], v3, off
	v_mov_b32_e32 v0, v2
	s_or_b64 exec, exec, s[6:7]
	v_cmp_gt_i32_e32 vcc, s0, v0
	s_and_saveexec_b64 s[6:7], vcc
	s_cbranch_execz .LBB18_5
.LBB18_10:
	v_add_u32_e32 v2, s4, v0
	v_mov_b32_e32 v3, 0
	v_lshlrev_b64 v[2:3], 2, v[2:3]
	v_mov_b32_e32 v1, s3
	v_add_co_u32_e32 v2, vcc, s2, v2
	v_addc_co_u32_e32 v3, vcc, v1, v3, vcc
	v_mov_b32_e32 v1, s1
	v_add_u32_e32 v0, 0x100, v0
	global_store_dword v[2:3], v1, off
	s_or_b64 exec, exec, s[6:7]
	v_cmp_gt_i32_e32 vcc, s0, v0
	s_and_saveexec_b64 s[6:7], vcc
	s_cbranch_execz .LBB18_6
.LBB18_11:
	v_add_u32_e32 v2, s4, v0
	v_mov_b32_e32 v3, 0
	v_lshlrev_b64 v[2:3], 2, v[2:3]
	v_mov_b32_e32 v1, s3
	v_add_co_u32_e32 v2, vcc, s2, v2
	v_addc_co_u32_e32 v3, vcc, v1, v3, vcc
	v_mov_b32_e32 v1, s1
	v_add_u32_e32 v0, 0x100, v0
	global_store_dword v[2:3], v1, off
	s_or_b64 exec, exec, s[6:7]
	v_cmp_gt_i32_e32 vcc, s0, v0
	s_and_saveexec_b64 s[6:7], vcc
	s_cbranch_execnz .LBB18_7
	s_branch .LBB18_8
	.section	.rodata,"a",@progbits
	.p2align	6, 0x0
	.amdhsa_kernel _ZN2at6native29vectorized_elementwise_kernelILi4ENS0_11FillFunctorIiEESt5arrayIPcLm1EEEEviT0_T1_
		.amdhsa_group_segment_fixed_size 0
		.amdhsa_private_segment_fixed_size 0
		.amdhsa_kernarg_size 16
		.amdhsa_user_sgpr_count 6
		.amdhsa_user_sgpr_private_segment_buffer 1
		.amdhsa_user_sgpr_dispatch_ptr 0
		.amdhsa_user_sgpr_queue_ptr 0
		.amdhsa_user_sgpr_kernarg_segment_ptr 1
		.amdhsa_user_sgpr_dispatch_id 0
		.amdhsa_user_sgpr_flat_scratch_init 0
		.amdhsa_user_sgpr_kernarg_preload_length 0
		.amdhsa_user_sgpr_kernarg_preload_offset 0
		.amdhsa_user_sgpr_private_segment_size 0
		.amdhsa_uses_dynamic_stack 0
		.amdhsa_system_sgpr_private_segment_wavefront_offset 0
		.amdhsa_system_sgpr_workgroup_id_x 1
		.amdhsa_system_sgpr_workgroup_id_y 0
		.amdhsa_system_sgpr_workgroup_id_z 0
		.amdhsa_system_sgpr_workgroup_info 0
		.amdhsa_system_vgpr_workitem_id 0
		.amdhsa_next_free_vgpr 6
		.amdhsa_next_free_sgpr 8
		.amdhsa_accum_offset 8
		.amdhsa_reserve_vcc 1
		.amdhsa_reserve_flat_scratch 0
		.amdhsa_float_round_mode_32 0
		.amdhsa_float_round_mode_16_64 0
		.amdhsa_float_denorm_mode_32 3
		.amdhsa_float_denorm_mode_16_64 3
		.amdhsa_dx10_clamp 1
		.amdhsa_ieee_mode 1
		.amdhsa_fp16_overflow 0
		.amdhsa_tg_split 0
		.amdhsa_exception_fp_ieee_invalid_op 0
		.amdhsa_exception_fp_denorm_src 0
		.amdhsa_exception_fp_ieee_div_zero 0
		.amdhsa_exception_fp_ieee_overflow 0
		.amdhsa_exception_fp_ieee_underflow 0
		.amdhsa_exception_fp_ieee_inexact 0
		.amdhsa_exception_int_div_zero 0
	.end_amdhsa_kernel
	.section	.text._ZN2at6native29vectorized_elementwise_kernelILi4ENS0_11FillFunctorIiEESt5arrayIPcLm1EEEEviT0_T1_,"axG",@progbits,_ZN2at6native29vectorized_elementwise_kernelILi4ENS0_11FillFunctorIiEESt5arrayIPcLm1EEEEviT0_T1_,comdat
.Lfunc_end18:
	.size	_ZN2at6native29vectorized_elementwise_kernelILi4ENS0_11FillFunctorIiEESt5arrayIPcLm1EEEEviT0_T1_, .Lfunc_end18-_ZN2at6native29vectorized_elementwise_kernelILi4ENS0_11FillFunctorIiEESt5arrayIPcLm1EEEEviT0_T1_
                                        ; -- End function
	.section	.AMDGPU.csdata,"",@progbits
; Kernel info:
; codeLenInByte = 392
; NumSgprs: 12
; NumVgprs: 6
; NumAgprs: 0
; TotalNumVgprs: 6
; ScratchSize: 0
; MemoryBound: 0
; FloatMode: 240
; IeeeMode: 1
; LDSByteSize: 0 bytes/workgroup (compile time only)
; SGPRBlocks: 1
; VGPRBlocks: 0
; NumSGPRsForWavesPerEU: 12
; NumVGPRsForWavesPerEU: 6
; AccumOffset: 8
; Occupancy: 8
; WaveLimiterHint : 0
; COMPUTE_PGM_RSRC2:SCRATCH_EN: 0
; COMPUTE_PGM_RSRC2:USER_SGPR: 6
; COMPUTE_PGM_RSRC2:TRAP_HANDLER: 0
; COMPUTE_PGM_RSRC2:TGID_X_EN: 1
; COMPUTE_PGM_RSRC2:TGID_Y_EN: 0
; COMPUTE_PGM_RSRC2:TGID_Z_EN: 0
; COMPUTE_PGM_RSRC2:TIDIG_COMP_CNT: 0
; COMPUTE_PGM_RSRC3_GFX90A:ACCUM_OFFSET: 1
; COMPUTE_PGM_RSRC3_GFX90A:TG_SPLIT: 0
	.section	.text._ZN2at6native29vectorized_elementwise_kernelILi2ENS0_11FillFunctorIiEESt5arrayIPcLm1EEEEviT0_T1_,"axG",@progbits,_ZN2at6native29vectorized_elementwise_kernelILi2ENS0_11FillFunctorIiEESt5arrayIPcLm1EEEEviT0_T1_,comdat
	.protected	_ZN2at6native29vectorized_elementwise_kernelILi2ENS0_11FillFunctorIiEESt5arrayIPcLm1EEEEviT0_T1_ ; -- Begin function _ZN2at6native29vectorized_elementwise_kernelILi2ENS0_11FillFunctorIiEESt5arrayIPcLm1EEEEviT0_T1_
	.globl	_ZN2at6native29vectorized_elementwise_kernelILi2ENS0_11FillFunctorIiEESt5arrayIPcLm1EEEEviT0_T1_
	.p2align	8
	.type	_ZN2at6native29vectorized_elementwise_kernelILi2ENS0_11FillFunctorIiEESt5arrayIPcLm1EEEEviT0_T1_,@function
_ZN2at6native29vectorized_elementwise_kernelILi2ENS0_11FillFunctorIiEESt5arrayIPcLm1EEEEviT0_T1_: ; @_ZN2at6native29vectorized_elementwise_kernelILi2ENS0_11FillFunctorIiEESt5arrayIPcLm1EEEEviT0_T1_
; %bb.0:
	s_load_dwordx4 s[0:3], s[4:5], 0x0
	s_lshl_b32 s4, s6, 10
	s_mov_b64 s[6:7], -1
	s_waitcnt lgkmcnt(0)
	s_sub_i32 s8, s0, s4
	s_cmpk_gt_i32 s8, 0x3ff
	s_cbranch_scc0 .LBB19_2
; %bb.1:
	s_ashr_i32 s5, s4, 31
	s_lshl_b64 s[6:7], s[4:5], 2
	s_add_u32 s6, s2, s6
	s_mov_b32 s0, s1
	s_addc_u32 s7, s3, s7
	v_lshlrev_b32_e32 v1, 3, v0
	v_pk_mov_b32 v[2:3], s[0:1], s[0:1] op_sel:[0,1]
	global_store_dwordx2 v1, v[2:3], s[6:7]
	global_store_dwordx2 v1, v[2:3], s[6:7] offset:2048
	s_mov_b64 s[6:7], 0
.LBB19_2:
	s_andn2_b64 vcc, exec, s[6:7]
	s_cbranch_vccnz .LBB19_8
; %bb.3:
	v_cmp_gt_i32_e32 vcc, s8, v0
	s_and_saveexec_b64 s[6:7], vcc
	s_cbranch_execnz .LBB19_9
; %bb.4:
	s_or_b64 exec, exec, s[6:7]
	v_cmp_gt_i32_e32 vcc, s8, v0
	s_and_saveexec_b64 s[6:7], vcc
	s_cbranch_execnz .LBB19_10
.LBB19_5:
	s_or_b64 exec, exec, s[6:7]
	v_cmp_gt_i32_e32 vcc, s8, v0
	s_and_saveexec_b64 s[6:7], vcc
	s_cbranch_execnz .LBB19_11
.LBB19_6:
	s_or_b64 exec, exec, s[6:7]
	v_cmp_gt_i32_e32 vcc, s8, v0
	s_and_saveexec_b64 s[6:7], vcc
	s_cbranch_execz .LBB19_8
.LBB19_7:
	v_add_u32_e32 v0, s4, v0
	v_mov_b32_e32 v1, 0
	v_lshlrev_b64 v[0:1], 2, v[0:1]
	v_mov_b32_e32 v2, s3
	v_add_co_u32_e32 v0, vcc, s2, v0
	v_addc_co_u32_e32 v1, vcc, v2, v1, vcc
	v_mov_b32_e32 v2, s1
	global_store_dword v[0:1], v2, off
.LBB19_8:
	s_endpgm
.LBB19_9:
	v_or_b32_e32 v2, 0x100, v0
	v_or_b32_e32 v0, s4, v0
	v_mov_b32_e32 v1, 0
	v_lshlrev_b64 v[0:1], 2, v[0:1]
	v_mov_b32_e32 v3, s3
	v_add_co_u32_e32 v0, vcc, s2, v0
	v_addc_co_u32_e32 v1, vcc, v3, v1, vcc
	v_mov_b32_e32 v3, s1
	global_store_dword v[0:1], v3, off
	v_mov_b32_e32 v0, v2
	s_or_b64 exec, exec, s[6:7]
	v_cmp_gt_i32_e32 vcc, s8, v0
	s_and_saveexec_b64 s[6:7], vcc
	s_cbranch_execz .LBB19_5
.LBB19_10:
	v_add_u32_e32 v2, s4, v0
	v_mov_b32_e32 v3, 0
	v_lshlrev_b64 v[2:3], 2, v[2:3]
	v_mov_b32_e32 v1, s3
	v_add_co_u32_e32 v2, vcc, s2, v2
	v_addc_co_u32_e32 v3, vcc, v1, v3, vcc
	v_mov_b32_e32 v1, s1
	v_add_u32_e32 v0, 0x100, v0
	global_store_dword v[2:3], v1, off
	s_or_b64 exec, exec, s[6:7]
	v_cmp_gt_i32_e32 vcc, s8, v0
	s_and_saveexec_b64 s[6:7], vcc
	s_cbranch_execz .LBB19_6
.LBB19_11:
	v_add_u32_e32 v2, s4, v0
	v_mov_b32_e32 v3, 0
	v_lshlrev_b64 v[2:3], 2, v[2:3]
	v_mov_b32_e32 v1, s3
	v_add_co_u32_e32 v2, vcc, s2, v2
	v_addc_co_u32_e32 v3, vcc, v1, v3, vcc
	v_mov_b32_e32 v1, s1
	v_add_u32_e32 v0, 0x100, v0
	global_store_dword v[2:3], v1, off
	s_or_b64 exec, exec, s[6:7]
	v_cmp_gt_i32_e32 vcc, s8, v0
	s_and_saveexec_b64 s[6:7], vcc
	s_cbranch_execnz .LBB19_7
	s_branch .LBB19_8
	.section	.rodata,"a",@progbits
	.p2align	6, 0x0
	.amdhsa_kernel _ZN2at6native29vectorized_elementwise_kernelILi2ENS0_11FillFunctorIiEESt5arrayIPcLm1EEEEviT0_T1_
		.amdhsa_group_segment_fixed_size 0
		.amdhsa_private_segment_fixed_size 0
		.amdhsa_kernarg_size 16
		.amdhsa_user_sgpr_count 6
		.amdhsa_user_sgpr_private_segment_buffer 1
		.amdhsa_user_sgpr_dispatch_ptr 0
		.amdhsa_user_sgpr_queue_ptr 0
		.amdhsa_user_sgpr_kernarg_segment_ptr 1
		.amdhsa_user_sgpr_dispatch_id 0
		.amdhsa_user_sgpr_flat_scratch_init 0
		.amdhsa_user_sgpr_kernarg_preload_length 0
		.amdhsa_user_sgpr_kernarg_preload_offset 0
		.amdhsa_user_sgpr_private_segment_size 0
		.amdhsa_uses_dynamic_stack 0
		.amdhsa_system_sgpr_private_segment_wavefront_offset 0
		.amdhsa_system_sgpr_workgroup_id_x 1
		.amdhsa_system_sgpr_workgroup_id_y 0
		.amdhsa_system_sgpr_workgroup_id_z 0
		.amdhsa_system_sgpr_workgroup_info 0
		.amdhsa_system_vgpr_workitem_id 0
		.amdhsa_next_free_vgpr 4
		.amdhsa_next_free_sgpr 9
		.amdhsa_accum_offset 4
		.amdhsa_reserve_vcc 1
		.amdhsa_reserve_flat_scratch 0
		.amdhsa_float_round_mode_32 0
		.amdhsa_float_round_mode_16_64 0
		.amdhsa_float_denorm_mode_32 3
		.amdhsa_float_denorm_mode_16_64 3
		.amdhsa_dx10_clamp 1
		.amdhsa_ieee_mode 1
		.amdhsa_fp16_overflow 0
		.amdhsa_tg_split 0
		.amdhsa_exception_fp_ieee_invalid_op 0
		.amdhsa_exception_fp_denorm_src 0
		.amdhsa_exception_fp_ieee_div_zero 0
		.amdhsa_exception_fp_ieee_overflow 0
		.amdhsa_exception_fp_ieee_underflow 0
		.amdhsa_exception_fp_ieee_inexact 0
		.amdhsa_exception_int_div_zero 0
	.end_amdhsa_kernel
	.section	.text._ZN2at6native29vectorized_elementwise_kernelILi2ENS0_11FillFunctorIiEESt5arrayIPcLm1EEEEviT0_T1_,"axG",@progbits,_ZN2at6native29vectorized_elementwise_kernelILi2ENS0_11FillFunctorIiEESt5arrayIPcLm1EEEEviT0_T1_,comdat
.Lfunc_end19:
	.size	_ZN2at6native29vectorized_elementwise_kernelILi2ENS0_11FillFunctorIiEESt5arrayIPcLm1EEEEviT0_T1_, .Lfunc_end19-_ZN2at6native29vectorized_elementwise_kernelILi2ENS0_11FillFunctorIiEESt5arrayIPcLm1EEEEviT0_T1_
                                        ; -- End function
	.section	.AMDGPU.csdata,"",@progbits
; Kernel info:
; codeLenInByte = 396
; NumSgprs: 13
; NumVgprs: 4
; NumAgprs: 0
; TotalNumVgprs: 4
; ScratchSize: 0
; MemoryBound: 0
; FloatMode: 240
; IeeeMode: 1
; LDSByteSize: 0 bytes/workgroup (compile time only)
; SGPRBlocks: 1
; VGPRBlocks: 0
; NumSGPRsForWavesPerEU: 13
; NumVGPRsForWavesPerEU: 4
; AccumOffset: 4
; Occupancy: 8
; WaveLimiterHint : 1
; COMPUTE_PGM_RSRC2:SCRATCH_EN: 0
; COMPUTE_PGM_RSRC2:USER_SGPR: 6
; COMPUTE_PGM_RSRC2:TRAP_HANDLER: 0
; COMPUTE_PGM_RSRC2:TGID_X_EN: 1
; COMPUTE_PGM_RSRC2:TGID_Y_EN: 0
; COMPUTE_PGM_RSRC2:TGID_Z_EN: 0
; COMPUTE_PGM_RSRC2:TIDIG_COMP_CNT: 0
; COMPUTE_PGM_RSRC3_GFX90A:ACCUM_OFFSET: 0
; COMPUTE_PGM_RSRC3_GFX90A:TG_SPLIT: 0
	.section	.text._ZN2at6native27unrolled_elementwise_kernelINS0_11FillFunctorIiEESt5arrayIPcLm1EELi4E23TrivialOffsetCalculatorILi0EjES7_ILi1EjENS0_6memory15LoadWithoutCastENSA_16StoreWithoutCastEEEviT_T0_T2_T3_T4_T5_,"axG",@progbits,_ZN2at6native27unrolled_elementwise_kernelINS0_11FillFunctorIiEESt5arrayIPcLm1EELi4E23TrivialOffsetCalculatorILi0EjES7_ILi1EjENS0_6memory15LoadWithoutCastENSA_16StoreWithoutCastEEEviT_T0_T2_T3_T4_T5_,comdat
	.protected	_ZN2at6native27unrolled_elementwise_kernelINS0_11FillFunctorIiEESt5arrayIPcLm1EELi4E23TrivialOffsetCalculatorILi0EjES7_ILi1EjENS0_6memory15LoadWithoutCastENSA_16StoreWithoutCastEEEviT_T0_T2_T3_T4_T5_ ; -- Begin function _ZN2at6native27unrolled_elementwise_kernelINS0_11FillFunctorIiEESt5arrayIPcLm1EELi4E23TrivialOffsetCalculatorILi0EjES7_ILi1EjENS0_6memory15LoadWithoutCastENSA_16StoreWithoutCastEEEviT_T0_T2_T3_T4_T5_
	.globl	_ZN2at6native27unrolled_elementwise_kernelINS0_11FillFunctorIiEESt5arrayIPcLm1EELi4E23TrivialOffsetCalculatorILi0EjES7_ILi1EjENS0_6memory15LoadWithoutCastENSA_16StoreWithoutCastEEEviT_T0_T2_T3_T4_T5_
	.p2align	8
	.type	_ZN2at6native27unrolled_elementwise_kernelINS0_11FillFunctorIiEESt5arrayIPcLm1EELi4E23TrivialOffsetCalculatorILi0EjES7_ILi1EjENS0_6memory15LoadWithoutCastENSA_16StoreWithoutCastEEEviT_T0_T2_T3_T4_T5_,@function
_ZN2at6native27unrolled_elementwise_kernelINS0_11FillFunctorIiEESt5arrayIPcLm1EELi4E23TrivialOffsetCalculatorILi0EjES7_ILi1EjENS0_6memory15LoadWithoutCastENSA_16StoreWithoutCastEEEviT_T0_T2_T3_T4_T5_: ; @_ZN2at6native27unrolled_elementwise_kernelINS0_11FillFunctorIiEESt5arrayIPcLm1EELi4E23TrivialOffsetCalculatorILi0EjES7_ILi1EjENS0_6memory15LoadWithoutCastENSA_16StoreWithoutCastEEEviT_T0_T2_T3_T4_T5_
; %bb.0:
	s_load_dwordx4 s[0:3], s[4:5], 0x0
	s_lshl_b32 s6, s6, 10
	s_waitcnt lgkmcnt(0)
	s_sub_i32 s0, s0, s6
	v_cmp_gt_i32_e32 vcc, s0, v0
	s_and_saveexec_b64 s[4:5], vcc
	s_cbranch_execnz .LBB20_5
; %bb.1:
	s_or_b64 exec, exec, s[4:5]
	v_cmp_gt_i32_e32 vcc, s0, v0
	s_and_saveexec_b64 s[4:5], vcc
	s_cbranch_execnz .LBB20_6
.LBB20_2:
	s_or_b64 exec, exec, s[4:5]
	v_cmp_gt_i32_e32 vcc, s0, v0
	s_and_saveexec_b64 s[4:5], vcc
	s_cbranch_execnz .LBB20_7
.LBB20_3:
	s_or_b64 exec, exec, s[4:5]
	v_cmp_gt_i32_e32 vcc, s0, v0
	s_and_saveexec_b64 s[4:5], vcc
	s_cbranch_execnz .LBB20_8
.LBB20_4:
	s_endpgm
.LBB20_5:
	v_or_b32_e32 v2, 0x100, v0
	v_or_b32_e32 v0, s6, v0
	v_mov_b32_e32 v1, 0
	v_lshlrev_b64 v[0:1], 2, v[0:1]
	v_mov_b32_e32 v4, s3
	v_add_co_u32_e32 v0, vcc, s2, v0
	v_mov_b32_e32 v3, s1
	v_addc_co_u32_e32 v1, vcc, v4, v1, vcc
	global_store_dword v[0:1], v3, off
	v_mov_b32_e32 v0, v2
	s_or_b64 exec, exec, s[4:5]
	v_cmp_gt_i32_e32 vcc, s0, v0
	s_and_saveexec_b64 s[4:5], vcc
	s_cbranch_execz .LBB20_2
.LBB20_6:
	v_add_u32_e32 v2, 0x100, v0
	v_add_u32_e32 v0, s6, v0
	v_mov_b32_e32 v1, 0
	v_lshlrev_b64 v[0:1], 2, v[0:1]
	v_mov_b32_e32 v4, s3
	v_add_co_u32_e32 v0, vcc, s2, v0
	v_mov_b32_e32 v3, s1
	v_addc_co_u32_e32 v1, vcc, v4, v1, vcc
	global_store_dword v[0:1], v3, off
	v_mov_b32_e32 v0, v2
	s_or_b64 exec, exec, s[4:5]
	v_cmp_gt_i32_e32 vcc, s0, v0
	s_and_saveexec_b64 s[4:5], vcc
	s_cbranch_execz .LBB20_3
.LBB20_7:
	v_add_u32_e32 v2, 0x100, v0
	v_add_u32_e32 v0, s6, v0
	v_mov_b32_e32 v1, 0
	v_lshlrev_b64 v[0:1], 2, v[0:1]
	v_mov_b32_e32 v4, s3
	v_add_co_u32_e32 v0, vcc, s2, v0
	v_mov_b32_e32 v3, s1
	v_addc_co_u32_e32 v1, vcc, v4, v1, vcc
	global_store_dword v[0:1], v3, off
	v_mov_b32_e32 v0, v2
	s_or_b64 exec, exec, s[4:5]
	v_cmp_gt_i32_e32 vcc, s0, v0
	s_and_saveexec_b64 s[4:5], vcc
	s_cbranch_execz .LBB20_4
.LBB20_8:
	v_add_u32_e32 v0, s6, v0
	v_mov_b32_e32 v1, 0
	v_lshlrev_b64 v[0:1], 2, v[0:1]
	v_mov_b32_e32 v3, s3
	v_add_co_u32_e32 v0, vcc, s2, v0
	v_mov_b32_e32 v2, s1
	v_addc_co_u32_e32 v1, vcc, v3, v1, vcc
	global_store_dword v[0:1], v2, off
	s_endpgm
	.section	.rodata,"a",@progbits
	.p2align	6, 0x0
	.amdhsa_kernel _ZN2at6native27unrolled_elementwise_kernelINS0_11FillFunctorIiEESt5arrayIPcLm1EELi4E23TrivialOffsetCalculatorILi0EjES7_ILi1EjENS0_6memory15LoadWithoutCastENSA_16StoreWithoutCastEEEviT_T0_T2_T3_T4_T5_
		.amdhsa_group_segment_fixed_size 0
		.amdhsa_private_segment_fixed_size 0
		.amdhsa_kernarg_size 20
		.amdhsa_user_sgpr_count 6
		.amdhsa_user_sgpr_private_segment_buffer 1
		.amdhsa_user_sgpr_dispatch_ptr 0
		.amdhsa_user_sgpr_queue_ptr 0
		.amdhsa_user_sgpr_kernarg_segment_ptr 1
		.amdhsa_user_sgpr_dispatch_id 0
		.amdhsa_user_sgpr_flat_scratch_init 0
		.amdhsa_user_sgpr_kernarg_preload_length 0
		.amdhsa_user_sgpr_kernarg_preload_offset 0
		.amdhsa_user_sgpr_private_segment_size 0
		.amdhsa_uses_dynamic_stack 0
		.amdhsa_system_sgpr_private_segment_wavefront_offset 0
		.amdhsa_system_sgpr_workgroup_id_x 1
		.amdhsa_system_sgpr_workgroup_id_y 0
		.amdhsa_system_sgpr_workgroup_id_z 0
		.amdhsa_system_sgpr_workgroup_info 0
		.amdhsa_system_vgpr_workitem_id 0
		.amdhsa_next_free_vgpr 5
		.amdhsa_next_free_sgpr 7
		.amdhsa_accum_offset 8
		.amdhsa_reserve_vcc 1
		.amdhsa_reserve_flat_scratch 0
		.amdhsa_float_round_mode_32 0
		.amdhsa_float_round_mode_16_64 0
		.amdhsa_float_denorm_mode_32 3
		.amdhsa_float_denorm_mode_16_64 3
		.amdhsa_dx10_clamp 1
		.amdhsa_ieee_mode 1
		.amdhsa_fp16_overflow 0
		.amdhsa_tg_split 0
		.amdhsa_exception_fp_ieee_invalid_op 0
		.amdhsa_exception_fp_denorm_src 0
		.amdhsa_exception_fp_ieee_div_zero 0
		.amdhsa_exception_fp_ieee_overflow 0
		.amdhsa_exception_fp_ieee_underflow 0
		.amdhsa_exception_fp_ieee_inexact 0
		.amdhsa_exception_int_div_zero 0
	.end_amdhsa_kernel
	.section	.text._ZN2at6native27unrolled_elementwise_kernelINS0_11FillFunctorIiEESt5arrayIPcLm1EELi4E23TrivialOffsetCalculatorILi0EjES7_ILi1EjENS0_6memory15LoadWithoutCastENSA_16StoreWithoutCastEEEviT_T0_T2_T3_T4_T5_,"axG",@progbits,_ZN2at6native27unrolled_elementwise_kernelINS0_11FillFunctorIiEESt5arrayIPcLm1EELi4E23TrivialOffsetCalculatorILi0EjES7_ILi1EjENS0_6memory15LoadWithoutCastENSA_16StoreWithoutCastEEEviT_T0_T2_T3_T4_T5_,comdat
.Lfunc_end20:
	.size	_ZN2at6native27unrolled_elementwise_kernelINS0_11FillFunctorIiEESt5arrayIPcLm1EELi4E23TrivialOffsetCalculatorILi0EjES7_ILi1EjENS0_6memory15LoadWithoutCastENSA_16StoreWithoutCastEEEviT_T0_T2_T3_T4_T5_, .Lfunc_end20-_ZN2at6native27unrolled_elementwise_kernelINS0_11FillFunctorIiEESt5arrayIPcLm1EELi4E23TrivialOffsetCalculatorILi0EjES7_ILi1EjENS0_6memory15LoadWithoutCastENSA_16StoreWithoutCastEEEviT_T0_T2_T3_T4_T5_
                                        ; -- End function
	.section	.AMDGPU.csdata,"",@progbits
; Kernel info:
; codeLenInByte = 332
; NumSgprs: 11
; NumVgprs: 5
; NumAgprs: 0
; TotalNumVgprs: 5
; ScratchSize: 0
; MemoryBound: 0
; FloatMode: 240
; IeeeMode: 1
; LDSByteSize: 0 bytes/workgroup (compile time only)
; SGPRBlocks: 1
; VGPRBlocks: 0
; NumSGPRsForWavesPerEU: 11
; NumVGPRsForWavesPerEU: 5
; AccumOffset: 8
; Occupancy: 8
; WaveLimiterHint : 0
; COMPUTE_PGM_RSRC2:SCRATCH_EN: 0
; COMPUTE_PGM_RSRC2:USER_SGPR: 6
; COMPUTE_PGM_RSRC2:TRAP_HANDLER: 0
; COMPUTE_PGM_RSRC2:TGID_X_EN: 1
; COMPUTE_PGM_RSRC2:TGID_Y_EN: 0
; COMPUTE_PGM_RSRC2:TGID_Z_EN: 0
; COMPUTE_PGM_RSRC2:TIDIG_COMP_CNT: 0
; COMPUTE_PGM_RSRC3_GFX90A:ACCUM_OFFSET: 1
; COMPUTE_PGM_RSRC3_GFX90A:TG_SPLIT: 0
	.section	.text._ZN2at6native32elementwise_kernel_manual_unrollILi128ELi4EZNS0_22gpu_kernel_impl_nocastINS0_11FillFunctorIiEEEEvRNS_18TensorIteratorBaseERKT_EUlibE_EEviT1_,"axG",@progbits,_ZN2at6native32elementwise_kernel_manual_unrollILi128ELi4EZNS0_22gpu_kernel_impl_nocastINS0_11FillFunctorIiEEEEvRNS_18TensorIteratorBaseERKT_EUlibE_EEviT1_,comdat
	.protected	_ZN2at6native32elementwise_kernel_manual_unrollILi128ELi4EZNS0_22gpu_kernel_impl_nocastINS0_11FillFunctorIiEEEEvRNS_18TensorIteratorBaseERKT_EUlibE_EEviT1_ ; -- Begin function _ZN2at6native32elementwise_kernel_manual_unrollILi128ELi4EZNS0_22gpu_kernel_impl_nocastINS0_11FillFunctorIiEEEEvRNS_18TensorIteratorBaseERKT_EUlibE_EEviT1_
	.globl	_ZN2at6native32elementwise_kernel_manual_unrollILi128ELi4EZNS0_22gpu_kernel_impl_nocastINS0_11FillFunctorIiEEEEvRNS_18TensorIteratorBaseERKT_EUlibE_EEviT1_
	.p2align	8
	.type	_ZN2at6native32elementwise_kernel_manual_unrollILi128ELi4EZNS0_22gpu_kernel_impl_nocastINS0_11FillFunctorIiEEEEvRNS_18TensorIteratorBaseERKT_EUlibE_EEviT1_,@function
_ZN2at6native32elementwise_kernel_manual_unrollILi128ELi4EZNS0_22gpu_kernel_impl_nocastINS0_11FillFunctorIiEEEEvRNS_18TensorIteratorBaseERKT_EUlibE_EEviT1_: ; @_ZN2at6native32elementwise_kernel_manual_unrollILi128ELi4EZNS0_22gpu_kernel_impl_nocastINS0_11FillFunctorIiEEEEvRNS_18TensorIteratorBaseERKT_EUlibE_EEviT1_
; %bb.0:
	s_load_dword s48, s[4:5], 0x0
	s_load_dword s33, s[4:5], 0x8
	s_or_b32 s4, s4, 8
	v_lshl_or_b32 v4, s6, 9, v0
	v_or_b32_e32 v8, 0x180, v4
	s_waitcnt lgkmcnt(0)
	v_cmp_le_i32_e32 vcc, s48, v8
	s_add_i32 s46, s33, -1
	s_cmp_gt_u32 s46, 1
	s_cselect_b64 s[6:7], -1, 0
	s_and_saveexec_b64 s[0:1], vcc
	s_xor_b64 s[24:25], exec, s[0:1]
	s_cbranch_execz .LBB21_7
; %bb.1:
	s_load_dwordx4 s[0:3], s[4:5], 0x4
	s_load_dwordx2 s[30:31], s[4:5], 0x14
	s_load_dwordx2 s[28:29], s[4:5], 0xc4
	;; [unrolled: 1-line block ×3, first 2 shown]
	s_load_dword s47, s[4:5], 0x110
	s_cmp_lg_u32 s33, 0
	s_cselect_b64 s[38:39], -1, 0
	s_add_u32 s36, s4, 0xc4
	s_addc_u32 s37, s5, 0
	s_min_u32 s49, s46, 15
	s_cmp_gt_u32 s33, 1
	s_cselect_b64 s[34:35], -1, 0
	v_cmp_gt_i32_e32 vcc, s48, v4
	s_and_saveexec_b64 s[40:41], vcc
	s_cbranch_execz .LBB21_14
; %bb.2:
	s_andn2_b64 vcc, exec, s[6:7]
	s_cbranch_vccnz .LBB21_21
; %bb.3:
	s_andn2_b64 vcc, exec, s[38:39]
	s_cbranch_vccnz .LBB21_69
; %bb.4:
	s_add_i32 s51, s49, 1
	s_mov_b32 s50, 0
	s_cmp_eq_u32 s46, 2
	v_mov_b32_e32 v0, 0
	s_cbranch_scc1 .LBB21_71
; %bb.5:
	s_and_b32 s50, s51, 28
	s_mov_b32 s52, 0
	v_mov_b32_e32 v0, 0
	s_mov_b64 s[42:43], s[4:5]
	s_mov_b64 s[44:45], s[36:37]
	v_mov_b32_e32 v2, v4
.LBB21_6:                               ; =>This Inner Loop Header: Depth=1
	s_load_dwordx8 s[8:15], s[42:43], 0x4
	s_load_dwordx4 s[16:19], s[42:43], 0x24
	s_load_dwordx4 s[20:23], s[44:45], 0x0
	s_add_u32 s42, s42, 48
	s_addc_u32 s43, s43, 0
	s_waitcnt lgkmcnt(0)
	v_mul_hi_u32 v1, s9, v2
	v_add_u32_e32 v1, v2, v1
	v_lshrrev_b32_e32 v1, s10, v1
	v_mul_lo_u32 v3, v1, s8
	v_mul_hi_u32 v5, s12, v1
	v_sub_u32_e32 v2, v2, v3
	v_add_u32_e32 v3, v1, v5
	v_lshrrev_b32_e32 v3, s13, v3
	v_mul_lo_u32 v5, v3, s11
	v_mul_hi_u32 v6, s15, v3
	v_sub_u32_e32 v1, v1, v5
	v_add_u32_e32 v5, v3, v6
	v_mul_lo_u32 v2, v2, s20
	v_mul_lo_u32 v1, v1, s21
	v_lshrrev_b32_e32 v5, s16, v5
	v_add3_u32 v0, v2, v0, v1
	v_mul_hi_u32 v2, s18, v5
	v_add_u32_e32 v2, v5, v2
	v_mul_lo_u32 v1, v5, s14
	v_lshrrev_b32_e32 v2, s19, v2
	s_add_i32 s52, s52, 4
	v_sub_u32_e32 v1, v3, v1
	v_mul_lo_u32 v3, v2, s17
	s_add_u32 s44, s44, 16
	v_sub_u32_e32 v3, v5, v3
	s_addc_u32 s45, s45, 0
	v_mul_lo_u32 v1, v1, s22
	v_mul_lo_u32 v3, v3, s23
	s_cmp_lg_u32 s50, s52
	v_add3_u32 v0, v1, v0, v3
	s_cbranch_scc1 .LBB21_6
	s_branch .LBB21_72
.LBB21_7:
	s_andn2_saveexec_b64 s[0:1], s[24:25]
	s_cbranch_execz .LBB21_97
.LBB21_8:
	v_cndmask_b32_e64 v0, 0, 1, s[6:7]
	v_cmp_ne_u32_e64 s[0:1], 1, v0
	s_andn2_b64 vcc, exec, s[6:7]
	s_cbranch_vccnz .LBB21_20
; %bb.9:
	s_mov_b32 s24, 0
	s_cmp_eq_u32 s33, 0
	v_mov_b32_e32 v0, 0
	s_cbranch_scc1 .LBB21_26
; %bb.10:
	s_min_u32 s25, s46, 15
	s_add_i32 s25, s25, 1
	s_cmp_eq_u32 s46, 2
	v_mov_b32_e32 v0, 0
	s_cbranch_scc1 .LBB21_23
; %bb.11:
	s_add_u32 s2, s4, 0xc4
	s_addc_u32 s3, s5, 0
	s_and_b32 s24, s25, 28
	s_mov_b32 s26, 0
	v_mov_b32_e32 v0, 0
	s_mov_b64 s[6:7], s[4:5]
	v_mov_b32_e32 v2, v4
.LBB21_12:                              ; =>This Inner Loop Header: Depth=1
	s_load_dwordx8 s[8:15], s[6:7], 0x4
	s_load_dwordx4 s[16:19], s[6:7], 0x24
	s_load_dwordx4 s[20:23], s[2:3], 0x0
	s_add_u32 s6, s6, 48
	s_addc_u32 s7, s7, 0
	s_waitcnt lgkmcnt(0)
	v_mul_hi_u32 v1, s9, v2
	v_add_u32_e32 v1, v2, v1
	v_lshrrev_b32_e32 v1, s10, v1
	v_mul_lo_u32 v3, v1, s8
	v_mul_hi_u32 v5, s12, v1
	v_sub_u32_e32 v2, v2, v3
	v_add_u32_e32 v3, v1, v5
	v_lshrrev_b32_e32 v3, s13, v3
	v_mul_lo_u32 v5, v3, s11
	v_mul_hi_u32 v6, s15, v3
	v_sub_u32_e32 v1, v1, v5
	v_add_u32_e32 v5, v3, v6
	v_mul_lo_u32 v2, v2, s20
	v_mul_lo_u32 v1, v1, s21
	v_lshrrev_b32_e32 v5, s16, v5
	v_add3_u32 v0, v2, v0, v1
	v_mul_hi_u32 v2, s18, v5
	v_add_u32_e32 v2, v5, v2
	v_mul_lo_u32 v1, v5, s14
	v_lshrrev_b32_e32 v2, s19, v2
	s_add_i32 s26, s26, 4
	v_sub_u32_e32 v1, v3, v1
	v_mul_lo_u32 v3, v2, s17
	s_add_u32 s2, s2, 16
	v_sub_u32_e32 v3, v5, v3
	s_addc_u32 s3, s3, 0
	v_mul_lo_u32 v1, v1, s22
	v_mul_lo_u32 v3, v3, s23
	s_cmp_lg_u32 s24, s26
	v_add3_u32 v0, v1, v0, v3
	s_cbranch_scc1 .LBB21_12
; %bb.13:
	s_and_b32 s8, s25, 3
	s_cmp_eq_u32 s8, 0
	s_cbranch_scc0 .LBB21_24
	s_branch .LBB21_26
.LBB21_14:
	s_or_b64 exec, exec, s[40:41]
	v_cmp_gt_i32_e32 vcc, s48, v4
	s_and_saveexec_b64 s[40:41], vcc
	s_cbranch_execz .LBB21_79
.LBB21_15:
	s_andn2_b64 vcc, exec, s[6:7]
	s_cbranch_vccnz .LBB21_22
; %bb.16:
	s_andn2_b64 vcc, exec, s[38:39]
	s_cbranch_vccnz .LBB21_70
; %bb.17:
	s_add_i32 s51, s49, 1
	s_mov_b32 s50, 0
	s_cmp_eq_u32 s46, 2
	v_mov_b32_e32 v0, 0
	s_cbranch_scc1 .LBB21_87
; %bb.18:
	s_and_b32 s50, s51, 28
	s_mov_b32 s52, 0
	v_mov_b32_e32 v0, 0
	s_mov_b64 s[42:43], s[4:5]
	s_mov_b64 s[44:45], s[36:37]
	v_mov_b32_e32 v2, v4
.LBB21_19:                              ; =>This Inner Loop Header: Depth=1
	s_load_dwordx8 s[8:15], s[42:43], 0x4
	s_load_dwordx4 s[16:19], s[42:43], 0x24
	s_load_dwordx4 s[20:23], s[44:45], 0x0
	s_add_u32 s42, s42, 48
	s_addc_u32 s43, s43, 0
	s_waitcnt lgkmcnt(0)
	v_mul_hi_u32 v1, s9, v2
	v_add_u32_e32 v1, v2, v1
	v_lshrrev_b32_e32 v1, s10, v1
	v_mul_lo_u32 v3, v1, s8
	v_mul_hi_u32 v5, s12, v1
	v_sub_u32_e32 v2, v2, v3
	v_add_u32_e32 v3, v1, v5
	v_lshrrev_b32_e32 v3, s13, v3
	v_mul_lo_u32 v5, v3, s11
	v_mul_hi_u32 v6, s15, v3
	v_sub_u32_e32 v1, v1, v5
	v_add_u32_e32 v5, v3, v6
	v_mul_lo_u32 v2, v2, s20
	v_mul_lo_u32 v1, v1, s21
	v_lshrrev_b32_e32 v5, s16, v5
	v_add3_u32 v0, v2, v0, v1
	v_mul_hi_u32 v2, s18, v5
	v_add_u32_e32 v2, v5, v2
	v_mul_lo_u32 v1, v5, s14
	v_lshrrev_b32_e32 v2, s19, v2
	s_add_i32 s52, s52, 4
	v_sub_u32_e32 v1, v3, v1
	v_mul_lo_u32 v3, v2, s17
	s_add_u32 s44, s44, 16
	v_sub_u32_e32 v3, v5, v3
	s_addc_u32 s45, s45, 0
	v_mul_lo_u32 v1, v1, s22
	v_mul_lo_u32 v3, v3, s23
	s_cmp_eq_u32 s50, s52
	v_add3_u32 v0, v1, v0, v3
	s_cbranch_scc0 .LBB21_19
	s_branch .LBB21_88
.LBB21_20:
                                        ; implicit-def: $vgpr0
	s_branch .LBB21_27
.LBB21_21:
                                        ; implicit-def: $vgpr0
	s_branch .LBB21_76
.LBB21_22:
                                        ; implicit-def: $vgpr0
	s_branch .LBB21_92
.LBB21_23:
	v_mov_b32_e32 v2, v4
	s_and_b32 s8, s25, 3
	s_cmp_eq_u32 s8, 0
	s_cbranch_scc1 .LBB21_26
.LBB21_24:
	s_lshl_b32 s2, s24, 2
	s_add_u32 s2, s2, s4
	s_addc_u32 s3, 0, s5
	s_add_u32 s2, s2, 0xc4
	s_addc_u32 s3, s3, 0
	s_mul_i32 s6, s24, 12
	s_add_u32 s6, s4, s6
	s_addc_u32 s7, 0, s5
.LBB21_25:                              ; =>This Inner Loop Header: Depth=1
	s_load_dwordx2 s[10:11], s[6:7], 0x4
	s_load_dword s9, s[6:7], 0xc
	s_load_dword s12, s[2:3], 0x0
	s_add_u32 s6, s6, 12
	s_addc_u32 s7, s7, 0
	s_waitcnt lgkmcnt(0)
	v_mul_hi_u32 v1, s11, v2
	v_add_u32_e32 v1, v2, v1
	v_lshrrev_b32_e32 v1, s9, v1
	s_add_u32 s2, s2, 4
	v_mul_lo_u32 v3, v1, s10
	s_addc_u32 s3, s3, 0
	s_add_i32 s8, s8, -1
	v_sub_u32_e32 v3, v2, v3
	s_cmp_lg_u32 s8, 0
	v_mov_b32_e32 v2, v1
	v_mad_u64_u32 v[0:1], s[10:11], v3, s12, v[0:1]
	s_cbranch_scc1 .LBB21_25
.LBB21_26:
	s_cbranch_execnz .LBB21_29
.LBB21_27:
	s_load_dwordx4 s[8:11], s[4:5], 0x4
	s_load_dword s2, s[4:5], 0xc4
	s_cmp_lt_u32 s33, 2
	s_waitcnt lgkmcnt(0)
	v_mul_hi_u32 v0, s9, v4
	v_add_u32_e32 v0, v4, v0
	v_lshrrev_b32_e32 v1, s10, v0
	v_mul_lo_u32 v0, v1, s8
	v_sub_u32_e32 v0, v4, v0
	v_mul_lo_u32 v0, v0, s2
	s_cbranch_scc1 .LBB21_29
; %bb.28:
	s_load_dwordx4 s[8:11], s[4:5], 0x10
	s_load_dword s2, s[4:5], 0xc8
	s_waitcnt lgkmcnt(0)
	v_mul_hi_u32 v2, s9, v1
	v_add_u32_e32 v2, v1, v2
	v_lshrrev_b32_e32 v2, s10, v2
	v_mul_lo_u32 v2, v2, s8
	v_sub_u32_e32 v1, v1, v2
	v_mad_u64_u32 v[0:1], s[2:3], v1, s2, v[0:1]
.LBB21_29:
	s_and_b64 vcc, exec, s[0:1]
	v_add_u32_e32 v1, 0x80, v4
	s_cbranch_vccnz .LBB21_35
; %bb.30:
	s_mov_b32 s24, 0
	s_cmp_eq_u32 s33, 0
	v_mov_b32_e32 v2, 0
	s_cbranch_scc1 .LBB21_39
; %bb.31:
	s_min_u32 s25, s46, 15
	s_add_i32 s25, s25, 1
	s_cmp_eq_u32 s46, 2
	v_mov_b32_e32 v2, 0
	s_cbranch_scc1 .LBB21_36
; %bb.32:
	s_add_u32 s2, s4, 0xc4
	s_addc_u32 s3, s5, 0
	s_and_b32 s24, s25, 28
	s_mov_b32 s26, 0
	v_mov_b32_e32 v2, 0
	s_mov_b64 s[6:7], s[4:5]
	v_mov_b32_e32 v5, v1
.LBB21_33:                              ; =>This Inner Loop Header: Depth=1
	s_load_dwordx8 s[8:15], s[6:7], 0x4
	s_load_dwordx4 s[16:19], s[6:7], 0x24
	s_load_dwordx4 s[20:23], s[2:3], 0x0
	s_add_u32 s6, s6, 48
	s_addc_u32 s7, s7, 0
	s_waitcnt lgkmcnt(0)
	v_mul_hi_u32 v3, s9, v5
	v_add_u32_e32 v3, v5, v3
	v_lshrrev_b32_e32 v3, s10, v3
	v_mul_lo_u32 v6, v3, s8
	v_mul_hi_u32 v7, s12, v3
	v_sub_u32_e32 v5, v5, v6
	v_add_u32_e32 v6, v3, v7
	v_lshrrev_b32_e32 v6, s13, v6
	v_mul_lo_u32 v7, v6, s11
	v_mul_hi_u32 v9, s15, v6
	v_sub_u32_e32 v3, v3, v7
	v_add_u32_e32 v7, v6, v9
	v_mul_lo_u32 v5, v5, s20
	v_mul_lo_u32 v3, v3, s21
	v_lshrrev_b32_e32 v7, s16, v7
	v_add3_u32 v2, v5, v2, v3
	v_mul_hi_u32 v5, s18, v7
	v_add_u32_e32 v5, v7, v5
	v_mul_lo_u32 v3, v7, s14
	v_lshrrev_b32_e32 v5, s19, v5
	s_add_i32 s26, s26, 4
	v_sub_u32_e32 v3, v6, v3
	v_mul_lo_u32 v6, v5, s17
	s_add_u32 s2, s2, 16
	v_sub_u32_e32 v6, v7, v6
	s_addc_u32 s3, s3, 0
	v_mul_lo_u32 v3, v3, s22
	v_mul_lo_u32 v6, v6, s23
	s_cmp_lg_u32 s24, s26
	v_add3_u32 v2, v3, v2, v6
	s_cbranch_scc1 .LBB21_33
; %bb.34:
	s_and_b32 s8, s25, 3
	s_cmp_eq_u32 s8, 0
	s_cbranch_scc0 .LBB21_37
	s_branch .LBB21_39
.LBB21_35:
                                        ; implicit-def: $vgpr2
	s_branch .LBB21_40
.LBB21_36:
	v_mov_b32_e32 v5, v1
	s_and_b32 s8, s25, 3
	s_cmp_eq_u32 s8, 0
	s_cbranch_scc1 .LBB21_39
.LBB21_37:
	s_lshl_b32 s2, s24, 2
	s_add_u32 s2, s2, s4
	s_addc_u32 s3, 0, s5
	s_add_u32 s2, s2, 0xc4
	s_addc_u32 s3, s3, 0
	s_mul_i32 s6, s24, 12
	s_add_u32 s6, s4, s6
	s_addc_u32 s7, 0, s5
.LBB21_38:                              ; =>This Inner Loop Header: Depth=1
	s_load_dwordx2 s[10:11], s[6:7], 0x4
	s_load_dword s9, s[6:7], 0xc
	s_load_dword s12, s[2:3], 0x0
	s_add_u32 s6, s6, 12
	s_addc_u32 s7, s7, 0
	s_waitcnt lgkmcnt(0)
	v_mul_hi_u32 v3, s11, v5
	v_add_u32_e32 v3, v5, v3
	v_lshrrev_b32_e32 v3, s9, v3
	s_add_u32 s2, s2, 4
	v_mul_lo_u32 v6, v3, s10
	s_addc_u32 s3, s3, 0
	s_add_i32 s8, s8, -1
	v_sub_u32_e32 v6, v5, v6
	s_cmp_lg_u32 s8, 0
	v_mov_b32_e32 v5, v3
	v_mad_u64_u32 v[2:3], s[10:11], v6, s12, v[2:3]
	s_cbranch_scc1 .LBB21_38
.LBB21_39:
	s_cbranch_execnz .LBB21_42
.LBB21_40:
	s_load_dwordx4 s[8:11], s[4:5], 0x4
	s_load_dword s2, s[4:5], 0xc4
	s_cmp_lt_u32 s33, 2
	s_waitcnt lgkmcnt(0)
	v_mul_hi_u32 v2, s9, v1
	v_add_u32_e32 v2, v1, v2
	v_lshrrev_b32_e32 v3, s10, v2
	v_mul_lo_u32 v2, v3, s8
	v_sub_u32_e32 v1, v1, v2
	v_mul_lo_u32 v2, v1, s2
	s_cbranch_scc1 .LBB21_42
; %bb.41:
	s_load_dwordx4 s[8:11], s[4:5], 0x10
	s_load_dword s2, s[4:5], 0xc8
	s_waitcnt lgkmcnt(0)
	v_mul_hi_u32 v1, s9, v3
	v_add_u32_e32 v1, v3, v1
	v_lshrrev_b32_e32 v1, s10, v1
	v_mul_lo_u32 v1, v1, s8
	v_sub_u32_e32 v1, v3, v1
	v_mad_u64_u32 v[2:3], s[2:3], v1, s2, v[2:3]
.LBB21_42:
	s_and_b64 vcc, exec, s[0:1]
	v_add_u32_e32 v1, 0x100, v4
	s_cbranch_vccnz .LBB21_48
; %bb.43:
	s_mov_b32 s24, 0
	s_cmp_eq_u32 s33, 0
	v_mov_b32_e32 v4, 0
	s_cbranch_scc1 .LBB21_52
; %bb.44:
	s_min_u32 s25, s46, 15
	s_add_i32 s25, s25, 1
	s_cmp_eq_u32 s46, 2
	v_mov_b32_e32 v4, 0
	s_cbranch_scc1 .LBB21_49
; %bb.45:
	s_add_u32 s2, s4, 0xc4
	s_addc_u32 s3, s5, 0
	s_and_b32 s24, s25, 28
	s_mov_b32 s26, 0
	v_mov_b32_e32 v4, 0
	s_mov_b64 s[6:7], s[4:5]
	v_mov_b32_e32 v3, v1
.LBB21_46:                              ; =>This Inner Loop Header: Depth=1
	s_load_dwordx8 s[8:15], s[6:7], 0x4
	s_load_dwordx4 s[16:19], s[6:7], 0x24
	s_load_dwordx4 s[20:23], s[2:3], 0x0
	s_add_u32 s6, s6, 48
	s_addc_u32 s7, s7, 0
	s_waitcnt lgkmcnt(0)
	v_mul_hi_u32 v5, s9, v3
	v_add_u32_e32 v5, v3, v5
	v_lshrrev_b32_e32 v5, s10, v5
	v_mul_lo_u32 v6, v5, s8
	v_mul_hi_u32 v7, s12, v5
	v_sub_u32_e32 v3, v3, v6
	v_add_u32_e32 v6, v5, v7
	v_lshrrev_b32_e32 v6, s13, v6
	v_mul_lo_u32 v7, v6, s11
	v_mul_hi_u32 v9, s15, v6
	v_sub_u32_e32 v5, v5, v7
	v_add_u32_e32 v7, v6, v9
	v_mul_lo_u32 v3, v3, s20
	v_mul_lo_u32 v5, v5, s21
	v_lshrrev_b32_e32 v7, s16, v7
	v_add3_u32 v4, v3, v4, v5
	v_mul_lo_u32 v3, v7, s14
	v_mul_hi_u32 v5, s18, v7
	v_sub_u32_e32 v3, v6, v3
	v_add_u32_e32 v5, v7, v5
	v_mul_lo_u32 v6, v3, s22
	v_lshrrev_b32_e32 v3, s19, v5
	s_add_i32 s26, s26, 4
	v_mul_lo_u32 v5, v3, s17
	s_add_u32 s2, s2, 16
	v_sub_u32_e32 v5, v7, v5
	s_addc_u32 s3, s3, 0
	v_mul_lo_u32 v5, v5, s23
	s_cmp_lg_u32 s24, s26
	v_add3_u32 v4, v6, v4, v5
	s_cbranch_scc1 .LBB21_46
; %bb.47:
	s_and_b32 s8, s25, 3
	s_cmp_eq_u32 s8, 0
	s_cbranch_scc0 .LBB21_50
	s_branch .LBB21_52
.LBB21_48:
                                        ; implicit-def: $vgpr4
	s_branch .LBB21_53
.LBB21_49:
	v_mov_b32_e32 v3, v1
	s_and_b32 s8, s25, 3
	s_cmp_eq_u32 s8, 0
	s_cbranch_scc1 .LBB21_52
.LBB21_50:
	s_lshl_b32 s2, s24, 2
	s_add_u32 s2, s2, s4
	s_addc_u32 s3, 0, s5
	s_add_u32 s2, s2, 0xc4
	s_addc_u32 s3, s3, 0
	s_mul_i32 s6, s24, 12
	s_add_u32 s6, s4, s6
	s_addc_u32 s7, 0, s5
.LBB21_51:                              ; =>This Inner Loop Header: Depth=1
	s_load_dwordx2 s[10:11], s[6:7], 0x4
	s_load_dword s9, s[6:7], 0xc
	s_load_dword s12, s[2:3], 0x0
	s_add_u32 s6, s6, 12
	s_addc_u32 s7, s7, 0
	s_waitcnt lgkmcnt(0)
	v_mul_hi_u32 v5, s11, v3
	v_add_u32_e32 v5, v3, v5
	v_lshrrev_b32_e32 v5, s9, v5
	s_add_u32 s2, s2, 4
	v_mul_lo_u32 v6, v5, s10
	s_addc_u32 s3, s3, 0
	s_add_i32 s8, s8, -1
	v_sub_u32_e32 v6, v3, v6
	s_cmp_lg_u32 s8, 0
	v_mov_b32_e32 v3, v5
	v_mad_u64_u32 v[4:5], s[10:11], v6, s12, v[4:5]
	s_cbranch_scc1 .LBB21_51
.LBB21_52:
	s_cbranch_execnz .LBB21_55
.LBB21_53:
	s_load_dwordx4 s[8:11], s[4:5], 0x4
	s_load_dword s2, s[4:5], 0xc4
	s_cmp_lt_u32 s33, 2
	s_waitcnt lgkmcnt(0)
	v_mul_hi_u32 v3, s9, v1
	v_add_u32_e32 v3, v1, v3
	v_lshrrev_b32_e32 v3, s10, v3
	v_mul_lo_u32 v4, v3, s8
	v_sub_u32_e32 v1, v1, v4
	v_mul_lo_u32 v4, v1, s2
	s_cbranch_scc1 .LBB21_55
; %bb.54:
	s_load_dwordx4 s[8:11], s[4:5], 0x10
	s_load_dword s2, s[4:5], 0xc8
	s_waitcnt lgkmcnt(0)
	v_mul_hi_u32 v1, s9, v3
	v_add_u32_e32 v1, v3, v1
	v_lshrrev_b32_e32 v1, s10, v1
	v_mul_lo_u32 v1, v1, s8
	v_sub_u32_e32 v1, v3, v1
	v_mad_u64_u32 v[4:5], s[2:3], v1, s2, v[4:5]
.LBB21_55:
	s_and_b64 vcc, exec, s[0:1]
	s_cbranch_vccnz .LBB21_61
; %bb.56:
	s_mov_b32 s22, 0
	s_cmp_eq_u32 s33, 0
	v_mov_b32_e32 v6, 0
	s_cbranch_scc1 .LBB21_65
; %bb.57:
	s_min_u32 s23, s46, 15
	s_add_i32 s23, s23, 1
	s_cmp_eq_u32 s46, 2
	v_mov_b32_e32 v6, 0
	s_cbranch_scc1 .LBB21_62
; %bb.58:
	s_add_u32 s6, s4, 0xc4
	s_addc_u32 s7, s5, 0
	s_and_b32 s22, s23, 28
	s_mov_b32 s24, 0
	v_mov_b32_e32 v6, 0
	s_mov_b64 s[20:21], s[4:5]
	v_mov_b32_e32 v1, v8
.LBB21_59:                              ; =>This Inner Loop Header: Depth=1
	s_load_dwordx8 s[8:15], s[20:21], 0x4
	s_load_dwordx4 s[0:3], s[20:21], 0x24
	s_load_dwordx4 s[16:19], s[6:7], 0x0
	s_add_u32 s20, s20, 48
	s_addc_u32 s21, s21, 0
	s_waitcnt lgkmcnt(0)
	v_mul_hi_u32 v3, s9, v1
	v_add_u32_e32 v3, v1, v3
	v_lshrrev_b32_e32 v3, s10, v3
	v_mul_lo_u32 v5, v3, s8
	v_mul_hi_u32 v7, s12, v3
	v_sub_u32_e32 v1, v1, v5
	v_add_u32_e32 v5, v3, v7
	v_lshrrev_b32_e32 v5, s13, v5
	v_mul_lo_u32 v7, v5, s11
	v_mul_hi_u32 v9, s15, v5
	v_sub_u32_e32 v3, v3, v7
	v_add_u32_e32 v7, v5, v9
	v_mul_lo_u32 v1, v1, s16
	v_mul_lo_u32 v3, v3, s17
	v_lshrrev_b32_e32 v7, s0, v7
	v_add3_u32 v3, v1, v6, v3
	v_mul_lo_u32 v1, v7, s14
	v_mul_hi_u32 v6, s2, v7
	v_sub_u32_e32 v1, v5, v1
	v_add_u32_e32 v5, v7, v6
	v_mul_lo_u32 v6, v1, s18
	v_lshrrev_b32_e32 v1, s3, v5
	s_add_i32 s24, s24, 4
	v_mul_lo_u32 v5, v1, s1
	s_add_u32 s6, s6, 16
	v_sub_u32_e32 v5, v7, v5
	s_addc_u32 s7, s7, 0
	v_mul_lo_u32 v5, v5, s19
	s_cmp_lg_u32 s22, s24
	v_add3_u32 v6, v6, v3, v5
	s_cbranch_scc1 .LBB21_59
; %bb.60:
	s_and_b32 s6, s23, 3
	s_cmp_eq_u32 s6, 0
	s_cbranch_scc0 .LBB21_63
	s_branch .LBB21_65
.LBB21_61:
                                        ; implicit-def: $vgpr6
	s_branch .LBB21_66
.LBB21_62:
	v_mov_b32_e32 v1, v8
	s_and_b32 s6, s23, 3
	s_cmp_eq_u32 s6, 0
	s_cbranch_scc1 .LBB21_65
.LBB21_63:
	s_lshl_b32 s0, s22, 2
	s_add_u32 s0, s0, s4
	s_addc_u32 s1, 0, s5
	s_add_u32 s0, s0, 0xc4
	s_addc_u32 s1, s1, 0
	s_mul_i32 s2, s22, 12
	s_add_u32 s2, s4, s2
	s_addc_u32 s3, 0, s5
.LBB21_64:                              ; =>This Inner Loop Header: Depth=1
	s_load_dwordx2 s[8:9], s[2:3], 0x4
	s_load_dword s7, s[2:3], 0xc
	s_load_dword s10, s[0:1], 0x0
	s_add_u32 s2, s2, 12
	s_addc_u32 s3, s3, 0
	s_waitcnt lgkmcnt(0)
	v_mul_hi_u32 v3, s9, v1
	v_add_u32_e32 v3, v1, v3
	v_lshrrev_b32_e32 v3, s7, v3
	s_add_u32 s0, s0, 4
	v_mul_lo_u32 v5, v3, s8
	s_addc_u32 s1, s1, 0
	s_add_i32 s6, s6, -1
	v_sub_u32_e32 v5, v1, v5
	s_cmp_lg_u32 s6, 0
	v_mov_b32_e32 v1, v3
	v_mad_u64_u32 v[6:7], s[8:9], v5, s10, v[6:7]
	s_cbranch_scc1 .LBB21_64
.LBB21_65:
	s_cbranch_execnz .LBB21_68
.LBB21_66:
	s_load_dwordx4 s[0:3], s[4:5], 0x4
	s_waitcnt lgkmcnt(0)
	s_load_dword s3, s[4:5], 0xc4
	s_cmp_lt_u32 s33, 2
	v_mul_hi_u32 v1, s1, v8
	v_add_u32_e32 v1, v8, v1
	v_lshrrev_b32_e32 v1, s2, v1
	v_mul_lo_u32 v3, v1, s0
	v_sub_u32_e32 v3, v8, v3
	s_waitcnt lgkmcnt(0)
	v_mul_lo_u32 v6, v3, s3
	s_cbranch_scc1 .LBB21_68
; %bb.67:
	s_load_dwordx4 s[0:3], s[4:5], 0x10
	s_waitcnt lgkmcnt(0)
	s_load_dword s3, s[4:5], 0xc8
	v_mul_hi_u32 v3, s1, v1
	v_add_u32_e32 v3, v1, v3
	v_lshrrev_b32_e32 v3, s2, v3
	v_mul_lo_u32 v3, v3, s0
	v_sub_u32_e32 v1, v1, v3
	s_waitcnt lgkmcnt(0)
	v_mad_u64_u32 v[6:7], s[0:1], v1, s3, v[6:7]
.LBB21_68:
	s_load_dword s2, s[4:5], 0x110
	s_load_dwordx2 s[0:1], s[4:5], 0x108
	s_waitcnt lgkmcnt(0)
	v_mov_b32_e32 v1, s2
	s_nop 0
	global_store_dword v0, v1, s[0:1]
	global_store_dword v2, v1, s[0:1]
	;; [unrolled: 1-line block ×4, first 2 shown]
	s_endpgm
.LBB21_69:
	v_mov_b32_e32 v0, 0
	s_branch .LBB21_75
.LBB21_70:
	v_mov_b32_e32 v0, 0
	s_branch .LBB21_91
.LBB21_71:
	v_mov_b32_e32 v2, v4
.LBB21_72:
	s_and_b32 s12, s51, 3
	s_cmp_eq_u32 s12, 0
	s_cbranch_scc1 .LBB21_75
; %bb.73:
	s_lshl_b32 s8, s50, 2
	s_add_u32 s8, s8, s4
	s_addc_u32 s9, s5, 0
	s_add_u32 s8, s8, 0xc4
	s_addc_u32 s9, s9, 0
	s_mul_i32 s10, s50, 12
	s_add_u32 s10, s4, s10
	s_addc_u32 s11, s5, 0
.LBB21_74:                              ; =>This Inner Loop Header: Depth=1
	s_load_dwordx2 s[14:15], s[10:11], 0x4
	s_load_dword s13, s[10:11], 0xc
	s_load_dword s16, s[8:9], 0x0
	s_add_u32 s10, s10, 12
	s_addc_u32 s11, s11, 0
	s_waitcnt lgkmcnt(0)
	v_mul_hi_u32 v1, s15, v2
	v_add_u32_e32 v1, v2, v1
	v_lshrrev_b32_e32 v1, s13, v1
	s_add_u32 s8, s8, 4
	v_mul_lo_u32 v3, v1, s14
	s_addc_u32 s9, s9, 0
	s_add_i32 s12, s12, -1
	v_sub_u32_e32 v3, v2, v3
	s_cmp_lg_u32 s12, 0
	v_mov_b32_e32 v2, v1
	v_mad_u64_u32 v[0:1], s[14:15], v3, s16, v[0:1]
	s_cbranch_scc1 .LBB21_74
.LBB21_75:
	s_cbranch_execnz .LBB21_78
.LBB21_76:
	s_waitcnt lgkmcnt(0)
	v_mul_hi_u32 v0, s1, v4
	v_add_u32_e32 v0, v4, v0
	v_lshrrev_b32_e32 v1, s2, v0
	v_mul_lo_u32 v0, v1, s0
	v_sub_u32_e32 v0, v4, v0
	s_andn2_b64 vcc, exec, s[34:35]
	v_mul_lo_u32 v0, v0, s28
	s_cbranch_vccnz .LBB21_78
; %bb.77:
	v_mul_hi_u32 v2, s30, v1
	v_add_u32_e32 v2, v1, v2
	v_lshrrev_b32_e32 v2, s31, v2
	v_mul_lo_u32 v2, v2, s3
	v_sub_u32_e32 v1, v1, v2
	v_mad_u64_u32 v[0:1], s[8:9], v1, s29, v[0:1]
.LBB21_78:
	s_waitcnt lgkmcnt(0)
	v_mov_b32_e32 v1, s47
	v_add_u32_e32 v4, 0x80, v4
	global_store_dword v0, v1, s[26:27]
	s_or_b64 exec, exec, s[40:41]
	v_cmp_gt_i32_e32 vcc, s48, v4
	s_and_saveexec_b64 s[40:41], vcc
	s_cbranch_execnz .LBB21_15
.LBB21_79:
	s_or_b64 exec, exec, s[40:41]
	v_cmp_gt_i32_e32 vcc, s48, v4
	s_and_saveexec_b64 s[40:41], vcc
	s_cbranch_execz .LBB21_95
.LBB21_80:
	s_andn2_b64 vcc, exec, s[6:7]
	s_cbranch_vccnz .LBB21_85
; %bb.81:
	s_andn2_b64 vcc, exec, s[38:39]
	s_cbranch_vccnz .LBB21_86
; %bb.82:
	s_add_i32 s51, s49, 1
	s_mov_b32 s50, 0
	s_cmp_eq_u32 s46, 2
	v_mov_b32_e32 v0, 0
	s_cbranch_scc1 .LBB21_98
; %bb.83:
	s_and_b32 s50, s51, 28
	s_mov_b32 s52, 0
	v_mov_b32_e32 v0, 0
	s_mov_b64 s[42:43], s[4:5]
	s_mov_b64 s[44:45], s[36:37]
	v_mov_b32_e32 v2, v4
.LBB21_84:                              ; =>This Inner Loop Header: Depth=1
	s_load_dwordx8 s[8:15], s[42:43], 0x4
	s_load_dwordx4 s[16:19], s[42:43], 0x24
	s_load_dwordx4 s[20:23], s[44:45], 0x0
	s_add_u32 s42, s42, 48
	s_addc_u32 s43, s43, 0
	s_waitcnt lgkmcnt(0)
	v_mul_hi_u32 v1, s9, v2
	v_add_u32_e32 v1, v2, v1
	v_lshrrev_b32_e32 v1, s10, v1
	v_mul_lo_u32 v3, v1, s8
	v_mul_hi_u32 v5, s12, v1
	v_sub_u32_e32 v2, v2, v3
	v_add_u32_e32 v3, v1, v5
	v_lshrrev_b32_e32 v3, s13, v3
	v_mul_lo_u32 v5, v3, s11
	v_mul_hi_u32 v6, s15, v3
	v_sub_u32_e32 v1, v1, v5
	v_add_u32_e32 v5, v3, v6
	v_mul_lo_u32 v2, v2, s20
	v_mul_lo_u32 v1, v1, s21
	v_lshrrev_b32_e32 v5, s16, v5
	v_add3_u32 v0, v2, v0, v1
	v_mul_hi_u32 v2, s18, v5
	v_add_u32_e32 v2, v5, v2
	v_mul_lo_u32 v1, v5, s14
	v_lshrrev_b32_e32 v2, s19, v2
	s_add_i32 s52, s52, 4
	v_sub_u32_e32 v1, v3, v1
	v_mul_lo_u32 v3, v2, s17
	s_add_u32 s44, s44, 16
	v_sub_u32_e32 v3, v5, v3
	s_addc_u32 s45, s45, 0
	v_mul_lo_u32 v1, v1, s22
	v_mul_lo_u32 v3, v3, s23
	s_cmp_eq_u32 s50, s52
	v_add3_u32 v0, v1, v0, v3
	s_cbranch_scc0 .LBB21_84
	s_branch .LBB21_99
.LBB21_85:
                                        ; implicit-def: $vgpr0
	s_branch .LBB21_103
.LBB21_86:
	v_mov_b32_e32 v0, 0
	s_branch .LBB21_102
.LBB21_87:
	v_mov_b32_e32 v2, v4
.LBB21_88:
	s_and_b32 s12, s51, 3
	s_cmp_eq_u32 s12, 0
	s_cbranch_scc1 .LBB21_91
; %bb.89:
	s_lshl_b32 s8, s50, 2
	s_add_u32 s8, s8, s4
	s_addc_u32 s9, s5, 0
	s_add_u32 s8, s8, 0xc4
	s_addc_u32 s9, s9, 0
	s_mul_i32 s10, s50, 12
	s_add_u32 s10, s4, s10
	s_addc_u32 s11, s5, 0
.LBB21_90:                              ; =>This Inner Loop Header: Depth=1
	s_load_dwordx2 s[14:15], s[10:11], 0x4
	s_load_dword s13, s[10:11], 0xc
	s_load_dword s16, s[8:9], 0x0
	s_add_u32 s10, s10, 12
	s_addc_u32 s11, s11, 0
	s_waitcnt lgkmcnt(0)
	v_mul_hi_u32 v1, s15, v2
	v_add_u32_e32 v1, v2, v1
	v_lshrrev_b32_e32 v1, s13, v1
	s_add_u32 s8, s8, 4
	v_mul_lo_u32 v3, v1, s14
	s_addc_u32 s9, s9, 0
	s_add_i32 s12, s12, -1
	v_sub_u32_e32 v3, v2, v3
	s_cmp_lg_u32 s12, 0
	v_mov_b32_e32 v2, v1
	v_mad_u64_u32 v[0:1], s[14:15], v3, s16, v[0:1]
	s_cbranch_scc1 .LBB21_90
.LBB21_91:
	s_cbranch_execnz .LBB21_94
.LBB21_92:
	s_waitcnt lgkmcnt(0)
	v_mul_hi_u32 v0, s1, v4
	v_add_u32_e32 v0, v4, v0
	v_lshrrev_b32_e32 v1, s2, v0
	v_mul_lo_u32 v0, v1, s0
	v_sub_u32_e32 v0, v4, v0
	s_andn2_b64 vcc, exec, s[34:35]
	v_mul_lo_u32 v0, v0, s28
	s_cbranch_vccnz .LBB21_94
; %bb.93:
	v_mul_hi_u32 v2, s30, v1
	v_add_u32_e32 v2, v1, v2
	v_lshrrev_b32_e32 v2, s31, v2
	v_mul_lo_u32 v2, v2, s3
	v_sub_u32_e32 v1, v1, v2
	v_mad_u64_u32 v[0:1], s[8:9], v1, s29, v[0:1]
.LBB21_94:
	s_waitcnt lgkmcnt(0)
	v_mov_b32_e32 v1, s47
	v_add_u32_e32 v4, 0x80, v4
	global_store_dword v0, v1, s[26:27]
	s_or_b64 exec, exec, s[40:41]
	v_cmp_gt_i32_e32 vcc, s48, v4
	s_and_saveexec_b64 s[40:41], vcc
	s_cbranch_execnz .LBB21_80
.LBB21_95:
	s_or_b64 exec, exec, s[40:41]
	v_cmp_gt_i32_e32 vcc, s48, v4
	s_and_saveexec_b64 s[40:41], vcc
	s_cbranch_execnz .LBB21_106
.LBB21_96:
	s_or_b64 exec, exec, s[40:41]
                                        ; implicit-def: $vgpr8
                                        ; implicit-def: $vgpr4
	s_waitcnt lgkmcnt(0)
	s_andn2_saveexec_b64 s[0:1], s[24:25]
	s_cbranch_execnz .LBB21_8
.LBB21_97:
	s_endpgm
.LBB21_98:
	v_mov_b32_e32 v2, v4
.LBB21_99:
	s_and_b32 s12, s51, 3
	s_cmp_eq_u32 s12, 0
	s_cbranch_scc1 .LBB21_102
; %bb.100:
	s_lshl_b32 s8, s50, 2
	s_add_u32 s8, s8, s4
	s_addc_u32 s9, s5, 0
	s_add_u32 s8, s8, 0xc4
	s_addc_u32 s9, s9, 0
	s_mul_i32 s10, s50, 12
	s_add_u32 s10, s4, s10
	s_addc_u32 s11, s5, 0
.LBB21_101:                             ; =>This Inner Loop Header: Depth=1
	s_load_dwordx2 s[14:15], s[10:11], 0x4
	s_load_dword s13, s[10:11], 0xc
	s_load_dword s16, s[8:9], 0x0
	s_add_u32 s10, s10, 12
	s_addc_u32 s11, s11, 0
	s_waitcnt lgkmcnt(0)
	v_mul_hi_u32 v1, s15, v2
	v_add_u32_e32 v1, v2, v1
	v_lshrrev_b32_e32 v1, s13, v1
	s_add_u32 s8, s8, 4
	v_mul_lo_u32 v3, v1, s14
	s_addc_u32 s9, s9, 0
	s_add_i32 s12, s12, -1
	v_sub_u32_e32 v3, v2, v3
	s_cmp_lg_u32 s12, 0
	v_mov_b32_e32 v2, v1
	v_mad_u64_u32 v[0:1], s[14:15], v3, s16, v[0:1]
	s_cbranch_scc1 .LBB21_101
.LBB21_102:
	s_cbranch_execnz .LBB21_105
.LBB21_103:
	s_waitcnt lgkmcnt(0)
	v_mul_hi_u32 v0, s1, v4
	v_add_u32_e32 v0, v4, v0
	v_lshrrev_b32_e32 v1, s2, v0
	v_mul_lo_u32 v0, v1, s0
	v_sub_u32_e32 v0, v4, v0
	s_andn2_b64 vcc, exec, s[34:35]
	v_mul_lo_u32 v0, v0, s28
	s_cbranch_vccnz .LBB21_105
; %bb.104:
	v_mul_hi_u32 v2, s30, v1
	v_add_u32_e32 v2, v1, v2
	v_lshrrev_b32_e32 v2, s31, v2
	v_mul_lo_u32 v2, v2, s3
	v_sub_u32_e32 v1, v1, v2
	v_mad_u64_u32 v[0:1], s[8:9], v1, s29, v[0:1]
.LBB21_105:
	s_waitcnt lgkmcnt(0)
	v_mov_b32_e32 v1, s47
	v_add_u32_e32 v4, 0x80, v4
	global_store_dword v0, v1, s[26:27]
	s_or_b64 exec, exec, s[40:41]
	v_cmp_gt_i32_e32 vcc, s48, v4
	s_and_saveexec_b64 s[40:41], vcc
	s_cbranch_execz .LBB21_96
.LBB21_106:
	s_andn2_b64 vcc, exec, s[6:7]
	s_cbranch_vccnz .LBB21_111
; %bb.107:
	s_andn2_b64 vcc, exec, s[38:39]
	s_cbranch_vccnz .LBB21_112
; %bb.108:
	s_add_i32 s49, s49, 1
	s_mov_b32 s42, 0
	s_cmp_eq_u32 s46, 2
	v_mov_b32_e32 v0, 0
	s_cbranch_scc1 .LBB21_113
; %bb.109:
	s_and_b32 s42, s49, 28
	s_mov_b32 s43, 0
	v_mov_b32_e32 v0, 0
	s_mov_b64 s[38:39], s[4:5]
	v_mov_b32_e32 v2, v4
.LBB21_110:                             ; =>This Inner Loop Header: Depth=1
	s_load_dwordx8 s[8:15], s[38:39], 0x4
	s_load_dwordx4 s[16:19], s[38:39], 0x24
	s_load_dwordx4 s[20:23], s[36:37], 0x0
	s_add_u32 s38, s38, 48
	s_addc_u32 s39, s39, 0
	s_waitcnt lgkmcnt(0)
	v_mul_hi_u32 v1, s9, v2
	v_add_u32_e32 v1, v2, v1
	v_lshrrev_b32_e32 v1, s10, v1
	v_mul_lo_u32 v3, v1, s8
	v_mul_hi_u32 v5, s12, v1
	v_sub_u32_e32 v2, v2, v3
	v_add_u32_e32 v3, v1, v5
	v_lshrrev_b32_e32 v3, s13, v3
	v_mul_lo_u32 v5, v3, s11
	v_mul_hi_u32 v6, s15, v3
	v_sub_u32_e32 v1, v1, v5
	v_add_u32_e32 v5, v3, v6
	v_mul_lo_u32 v2, v2, s20
	v_mul_lo_u32 v1, v1, s21
	v_lshrrev_b32_e32 v5, s16, v5
	v_add3_u32 v0, v2, v0, v1
	v_mul_hi_u32 v2, s18, v5
	v_add_u32_e32 v2, v5, v2
	v_mul_lo_u32 v1, v5, s14
	v_lshrrev_b32_e32 v2, s19, v2
	s_add_i32 s43, s43, 4
	v_sub_u32_e32 v1, v3, v1
	v_mul_lo_u32 v3, v2, s17
	s_add_u32 s36, s36, 16
	v_sub_u32_e32 v3, v5, v3
	s_addc_u32 s37, s37, 0
	v_mul_lo_u32 v1, v1, s22
	v_mul_lo_u32 v3, v3, s23
	s_cmp_eq_u32 s42, s43
	v_add3_u32 v0, v1, v0, v3
	s_cbranch_scc0 .LBB21_110
	s_branch .LBB21_114
.LBB21_111:
                                        ; implicit-def: $vgpr0
	s_branch .LBB21_118
.LBB21_112:
	v_mov_b32_e32 v0, 0
	s_branch .LBB21_117
.LBB21_113:
	v_mov_b32_e32 v2, v4
.LBB21_114:
	s_and_b32 s12, s49, 3
	s_cmp_eq_u32 s12, 0
	s_cbranch_scc1 .LBB21_117
; %bb.115:
	s_lshl_b32 s8, s42, 2
	s_add_u32 s8, s8, s4
	s_addc_u32 s9, s5, 0
	s_add_u32 s8, s8, 0xc4
	s_addc_u32 s9, s9, 0
	s_mul_i32 s10, s42, 12
	s_add_u32 s10, s4, s10
	s_addc_u32 s11, s5, 0
.LBB21_116:                             ; =>This Inner Loop Header: Depth=1
	s_load_dwordx2 s[14:15], s[10:11], 0x4
	s_load_dword s13, s[10:11], 0xc
	s_load_dword s16, s[8:9], 0x0
	s_add_u32 s10, s10, 12
	s_addc_u32 s11, s11, 0
	s_waitcnt lgkmcnt(0)
	v_mul_hi_u32 v1, s15, v2
	v_add_u32_e32 v1, v2, v1
	v_lshrrev_b32_e32 v1, s13, v1
	s_add_u32 s8, s8, 4
	v_mul_lo_u32 v3, v1, s14
	s_addc_u32 s9, s9, 0
	s_add_i32 s12, s12, -1
	v_sub_u32_e32 v3, v2, v3
	s_cmp_lg_u32 s12, 0
	v_mov_b32_e32 v2, v1
	v_mad_u64_u32 v[0:1], s[14:15], v3, s16, v[0:1]
	s_cbranch_scc1 .LBB21_116
.LBB21_117:
	s_cbranch_execnz .LBB21_120
.LBB21_118:
	s_waitcnt lgkmcnt(0)
	v_mul_hi_u32 v0, s1, v4
	v_add_u32_e32 v0, v4, v0
	v_lshrrev_b32_e32 v1, s2, v0
	v_mul_lo_u32 v0, v1, s0
	v_sub_u32_e32 v0, v4, v0
	s_andn2_b64 vcc, exec, s[34:35]
	v_mul_lo_u32 v0, v0, s28
	s_cbranch_vccnz .LBB21_120
; %bb.119:
	v_mul_hi_u32 v2, s30, v1
	v_add_u32_e32 v2, v1, v2
	v_lshrrev_b32_e32 v2, s31, v2
	v_mul_lo_u32 v2, v2, s3
	v_sub_u32_e32 v1, v1, v2
	v_mad_u64_u32 v[0:1], s[0:1], v1, s29, v[0:1]
.LBB21_120:
	s_waitcnt lgkmcnt(0)
	v_mov_b32_e32 v1, s47
	global_store_dword v0, v1, s[26:27]
	s_or_b64 exec, exec, s[40:41]
                                        ; implicit-def: $vgpr8
                                        ; implicit-def: $vgpr4
	s_andn2_saveexec_b64 s[0:1], s[24:25]
	s_cbranch_execz .LBB21_97
	s_branch .LBB21_8
	.section	.rodata,"a",@progbits
	.p2align	6, 0x0
	.amdhsa_kernel _ZN2at6native32elementwise_kernel_manual_unrollILi128ELi4EZNS0_22gpu_kernel_impl_nocastINS0_11FillFunctorIiEEEEvRNS_18TensorIteratorBaseERKT_EUlibE_EEviT1_
		.amdhsa_group_segment_fixed_size 0
		.amdhsa_private_segment_fixed_size 0
		.amdhsa_kernarg_size 288
		.amdhsa_user_sgpr_count 6
		.amdhsa_user_sgpr_private_segment_buffer 1
		.amdhsa_user_sgpr_dispatch_ptr 0
		.amdhsa_user_sgpr_queue_ptr 0
		.amdhsa_user_sgpr_kernarg_segment_ptr 1
		.amdhsa_user_sgpr_dispatch_id 0
		.amdhsa_user_sgpr_flat_scratch_init 0
		.amdhsa_user_sgpr_kernarg_preload_length 0
		.amdhsa_user_sgpr_kernarg_preload_offset 0
		.amdhsa_user_sgpr_private_segment_size 0
		.amdhsa_uses_dynamic_stack 0
		.amdhsa_system_sgpr_private_segment_wavefront_offset 0
		.amdhsa_system_sgpr_workgroup_id_x 1
		.amdhsa_system_sgpr_workgroup_id_y 0
		.amdhsa_system_sgpr_workgroup_id_z 0
		.amdhsa_system_sgpr_workgroup_info 0
		.amdhsa_system_vgpr_workitem_id 0
		.amdhsa_next_free_vgpr 10
		.amdhsa_next_free_sgpr 53
		.amdhsa_accum_offset 12
		.amdhsa_reserve_vcc 1
		.amdhsa_reserve_flat_scratch 0
		.amdhsa_float_round_mode_32 0
		.amdhsa_float_round_mode_16_64 0
		.amdhsa_float_denorm_mode_32 3
		.amdhsa_float_denorm_mode_16_64 3
		.amdhsa_dx10_clamp 1
		.amdhsa_ieee_mode 1
		.amdhsa_fp16_overflow 0
		.amdhsa_tg_split 0
		.amdhsa_exception_fp_ieee_invalid_op 0
		.amdhsa_exception_fp_denorm_src 0
		.amdhsa_exception_fp_ieee_div_zero 0
		.amdhsa_exception_fp_ieee_overflow 0
		.amdhsa_exception_fp_ieee_underflow 0
		.amdhsa_exception_fp_ieee_inexact 0
		.amdhsa_exception_int_div_zero 0
	.end_amdhsa_kernel
	.section	.text._ZN2at6native32elementwise_kernel_manual_unrollILi128ELi4EZNS0_22gpu_kernel_impl_nocastINS0_11FillFunctorIiEEEEvRNS_18TensorIteratorBaseERKT_EUlibE_EEviT1_,"axG",@progbits,_ZN2at6native32elementwise_kernel_manual_unrollILi128ELi4EZNS0_22gpu_kernel_impl_nocastINS0_11FillFunctorIiEEEEvRNS_18TensorIteratorBaseERKT_EUlibE_EEviT1_,comdat
.Lfunc_end21:
	.size	_ZN2at6native32elementwise_kernel_manual_unrollILi128ELi4EZNS0_22gpu_kernel_impl_nocastINS0_11FillFunctorIiEEEEvRNS_18TensorIteratorBaseERKT_EUlibE_EEviT1_, .Lfunc_end21-_ZN2at6native32elementwise_kernel_manual_unrollILi128ELi4EZNS0_22gpu_kernel_impl_nocastINS0_11FillFunctorIiEEEEvRNS_18TensorIteratorBaseERKT_EUlibE_EEviT1_
                                        ; -- End function
	.section	.AMDGPU.csdata,"",@progbits
; Kernel info:
; codeLenInByte = 4928
; NumSgprs: 57
; NumVgprs: 10
; NumAgprs: 0
; TotalNumVgprs: 10
; ScratchSize: 0
; MemoryBound: 0
; FloatMode: 240
; IeeeMode: 1
; LDSByteSize: 0 bytes/workgroup (compile time only)
; SGPRBlocks: 7
; VGPRBlocks: 1
; NumSGPRsForWavesPerEU: 57
; NumVGPRsForWavesPerEU: 10
; AccumOffset: 12
; Occupancy: 8
; WaveLimiterHint : 1
; COMPUTE_PGM_RSRC2:SCRATCH_EN: 0
; COMPUTE_PGM_RSRC2:USER_SGPR: 6
; COMPUTE_PGM_RSRC2:TRAP_HANDLER: 0
; COMPUTE_PGM_RSRC2:TGID_X_EN: 1
; COMPUTE_PGM_RSRC2:TGID_Y_EN: 0
; COMPUTE_PGM_RSRC2:TGID_Z_EN: 0
; COMPUTE_PGM_RSRC2:TIDIG_COMP_CNT: 0
; COMPUTE_PGM_RSRC3_GFX90A:ACCUM_OFFSET: 2
; COMPUTE_PGM_RSRC3_GFX90A:TG_SPLIT: 0
	.section	.text._ZN2at6native32elementwise_kernel_manual_unrollILi128ELi4EZNS0_15gpu_kernel_implINS0_11FillFunctorIiEEEEvRNS_18TensorIteratorBaseERKT_EUlibE_EEviT1_,"axG",@progbits,_ZN2at6native32elementwise_kernel_manual_unrollILi128ELi4EZNS0_15gpu_kernel_implINS0_11FillFunctorIiEEEEvRNS_18TensorIteratorBaseERKT_EUlibE_EEviT1_,comdat
	.protected	_ZN2at6native32elementwise_kernel_manual_unrollILi128ELi4EZNS0_15gpu_kernel_implINS0_11FillFunctorIiEEEEvRNS_18TensorIteratorBaseERKT_EUlibE_EEviT1_ ; -- Begin function _ZN2at6native32elementwise_kernel_manual_unrollILi128ELi4EZNS0_15gpu_kernel_implINS0_11FillFunctorIiEEEEvRNS_18TensorIteratorBaseERKT_EUlibE_EEviT1_
	.globl	_ZN2at6native32elementwise_kernel_manual_unrollILi128ELi4EZNS0_15gpu_kernel_implINS0_11FillFunctorIiEEEEvRNS_18TensorIteratorBaseERKT_EUlibE_EEviT1_
	.p2align	8
	.type	_ZN2at6native32elementwise_kernel_manual_unrollILi128ELi4EZNS0_15gpu_kernel_implINS0_11FillFunctorIiEEEEvRNS_18TensorIteratorBaseERKT_EUlibE_EEviT1_,@function
_ZN2at6native32elementwise_kernel_manual_unrollILi128ELi4EZNS0_15gpu_kernel_implINS0_11FillFunctorIiEEEEvRNS_18TensorIteratorBaseERKT_EUlibE_EEviT1_: ; @_ZN2at6native32elementwise_kernel_manual_unrollILi128ELi4EZNS0_15gpu_kernel_implINS0_11FillFunctorIiEEEEvRNS_18TensorIteratorBaseERKT_EUlibE_EEviT1_
; %bb.0:
	s_load_dword s50, s[4:5], 0x0
	s_load_dwordx4 s[8:11], s[4:5], 0x8
	s_load_dword s33, s[4:5], 0x18
	v_lshl_or_b32 v15, s6, 9, v0
	v_or_b32_e32 v0, 0x180, v15
	s_waitcnt lgkmcnt(0)
	v_cmp_le_i32_e32 vcc, s50, v0
	s_mov_b64 s[6:7], 0
	s_mov_b64 s[0:1], 0
	s_and_saveexec_b64 s[2:3], vcc
	s_xor_b64 s[12:13], exec, s[2:3]
	s_cbranch_execz .LBB22_404
; %bb.1:
	v_cvt_f32_i32_e32 v4, s11
	s_movk_i32 s0, 0xff
	s_ashr_i32 s15, s11, 31
	s_mov_b32 s14, s11
	v_and_b32_e32 v2, 0x400000, v4
	v_bfe_u32 v1, v4, 23, 8
	v_cmp_ne_u32_e32 vcc, 0, v2
	v_and_b32_e32 v2, 0x3fffff, v4
	v_cmp_eq_u32_e64 s[4:5], s0, v1
	v_or_b32_e32 v1, v1, v2
	v_cmp_ne_u32_e64 s[0:1], 0, v1
	v_readfirstlane_b32 s18, v4
	s_and_b64 s[0:1], vcc, s[0:1]
	s_and_b32 s34, s18, 0x7fffffff
	s_cmp_lt_u32 s34, 0x43800000
	s_cselect_b64 s[28:29], -1, 0
	s_cmp_gt_u32 s34, 0x3bffffff
	v_cndmask_b32_e64 v1, 0, 1, s[0:1]
	s_cselect_b64 s[2:3], -1, 0
	s_bfe_u32 s0, s18, 0x10014
	s_add_i32 s19, s18, s0
	s_add_i32 s0, s19, 0x487ffff
	s_lshr_b32 s61, s0, 20
	s_mov_b32 s0, 0x46000000
	v_add_f32_e64 v13, |v4|, s0
	v_readfirstlane_b32 s0, v13
	s_and_b32 s0, s0, 0xff
	s_cmp_lg_u32 s0, 0
	s_cselect_b64 s[30:31], -1, 0
	s_cmp_gt_u32 s34, 0x477fffff
	s_cselect_b64 s[16:17], -1, 0
	s_cmp_lt_u32 s34, 0x47800000
	s_movk_i32 s0, 0x80
	s_cselect_b64 s[24:25], -1, 0
	s_cmp_gt_u32 s34, 0x37ffffff
	v_and_b32_sdwa v10, v4, s0 dst_sel:DWORD dst_unused:UNUSED_PAD src0_sel:BYTE_3 src1_sel:DWORD
	s_cselect_b64 s[0:1], -1, 0
	s_bfe_u32 s20, s18, 0x10015
	s_add_i32 s35, s18, s20
	s_add_i32 s18, s35, 0x88fffff
	s_lshr_b32 s59, s18, 21
	s_mov_b32 s18, 0x42800000
	v_add_f32_e64 v12, |v4|, s18
	v_readfirstlane_b32 s18, v12
	s_and_b32 s18, s18, 0xff
	s_cmp_lg_u32 s18, 0
	s_cselect_b64 s[26:27], -1, 0
	s_cmp_gt_u32 s34, 0x43efffff
	s_cselect_b64 s[20:21], -1, 0
	s_cmp_lt_u32 s34, 0x3c800000
	s_cselect_b64 s[22:23], -1, 0
	s_add_i32 s19, s19, 0x407ffff
	s_lshr_b32 s18, s19, 20
	s_and_b32 s19, s19, 0xff00000
	s_cmp_lg_u32 s19, 0x7f00000
	v_lshrrev_b32_e32 v0, 23, v4
	s_cselect_b32 s57, s18, 0x7e
	s_mov_b32 s18, 0x46800000
	s_cmp_lt_u32 s34, 0x38800000
	v_add_u32_e32 v14, v0, v1
	v_add_f32_e64 v0, |v4|, s18
	s_cselect_b64 s[18:19], -1, 0
	s_add_i32 s35, s35, 0x80fffff
	s_lshr_b32 s54, s35, 21
	s_cmp_gt_u32 s34, 0x7f800000
	s_movk_i32 s34, 0x7f
	s_cselect_b32 s60, s34, 0x7e
	s_mov_b32 s34, 0x43000000
	v_readfirstlane_b32 s58, v0
	v_add_f32_e64 v0, |v4|, s34
	v_readfirstlane_b32 s55, v0
	s_movk_i32 s34, 0x7c
	v_bfe_u32 v0, v4, 16, 1
	v_cvt_f16_f32_e32 v8, v4
	s_cselect_b32 s56, 0x7f, s34
	v_add_u32_e32 v0, v4, v0
	s_cmp_lg_u32 s11, 0
	v_add_u32_e32 v0, 0x7fff, v0
	s_cselect_b64 s[34:35], -1, 0
	v_lshrrev_b32_e32 v11, 16, v0
	v_cndmask_b32_e64 v9, 0, 1, s[34:35]
	v_cvt_f64_i32_e32 v[0:1], s11
	v_cmp_gt_i32_e32 vcc, s50, v15
	s_mov_b64 s[38:39], -1
	s_mov_b64 s[40:41], 0
	s_mov_b64 s[34:35], 0
	s_and_saveexec_b64 s[36:37], vcc
	s_cbranch_execz .LBB22_100
; %bb.2:
	v_mul_lo_u32 v2, v15, s10
	v_ashrrev_i32_e32 v3, 31, v2
	v_mov_b32_e32 v5, s9
	v_add_co_u32_e32 v6, vcc, s8, v2
	v_mov_b32_e32 v2, 11
	v_addc_co_u32_e32 v7, vcc, v5, v3, vcc
	v_cmp_lt_i16_sdwa s[34:35], s33, v2 src0_sel:BYTE_0 src1_sel:DWORD
	s_and_b64 vcc, exec, s[34:35]
	s_cbranch_vccnz .LBB22_9
; %bb.3:
	v_mov_b32_e32 v2, 25
	v_cmp_gt_i16_sdwa s[34:35], s33, v2 src0_sel:BYTE_0 src1_sel:DWORD
	s_and_b64 vcc, exec, s[34:35]
	s_cbranch_vccz .LBB22_12
; %bb.4:
	v_mov_b32_e32 v2, 28
	v_cmp_gt_i16_sdwa s[34:35], s33, v2 src0_sel:BYTE_0 src1_sel:DWORD
	s_and_b64 vcc, exec, s[34:35]
	s_cbranch_vccz .LBB22_13
	;; [unrolled: 5-line block ×4, first 2 shown]
; %bb.7:
	v_mov_b32_e32 v2, 46
	v_cmp_eq_u16_sdwa s[38:39], s33, v2 src0_sel:BYTE_0 src1_sel:DWORD
	s_mov_b64 s[42:43], 0
	s_mov_b64 s[34:35], -1
	s_and_b64 vcc, exec, s[38:39]
	s_mov_b64 s[38:39], 0
	s_cbranch_vccz .LBB22_16
; %bb.8:
	global_store_dword v[6:7], v11, off
	s_mov_b64 s[38:39], -1
	s_mov_b64 s[34:35], 0
	s_branch .LBB22_16
.LBB22_9:
	s_mov_b64 s[34:35], 0
	s_mov_b64 s[38:39], 0
	s_cbranch_execnz .LBB22_60
.LBB22_10:
	s_andn2_b64 vcc, exec, s[38:39]
	s_cbranch_vccnz .LBB22_98
.LBB22_11:
	v_add_u32_e32 v15, 0x80, v15
	s_mov_b64 s[38:39], -1
	s_branch .LBB22_99
.LBB22_12:
	s_mov_b64 s[34:35], 0
	s_mov_b64 s[38:39], 0
	s_cbranch_execnz .LBB22_38
	s_branch .LBB22_59
.LBB22_13:
	s_mov_b64 s[42:43], -1
	s_mov_b64 s[34:35], 0
	s_mov_b64 s[38:39], 0
	s_branch .LBB22_24
.LBB22_14:
	s_mov_b64 s[42:43], -1
	s_mov_b64 s[34:35], 0
	s_mov_b64 s[38:39], 0
	s_branch .LBB22_20
.LBB22_15:
	s_mov_b64 s[42:43], -1
	s_mov_b64 s[34:35], 0
	s_mov_b64 s[38:39], 0
.LBB22_16:
	s_and_b64 vcc, exec, s[42:43]
	s_cbranch_vccz .LBB22_19
; %bb.17:
	v_mov_b32_e32 v2, 44
	v_cmp_eq_u16_sdwa s[42:43], s33, v2 src0_sel:BYTE_0 src1_sel:DWORD
	s_mov_b64 s[34:35], -1
	s_and_b64 vcc, exec, s[42:43]
	s_cbranch_vccz .LBB22_19
; %bb.18:
	v_mov_b32_e32 v2, 0xff
	v_cndmask_b32_e64 v2, v14, v2, s[4:5]
	global_store_byte v[6:7], v2, off
	s_mov_b64 s[38:39], -1
	s_mov_b64 s[34:35], 0
.LBB22_19:
	s_mov_b64 s[42:43], 0
.LBB22_20:
	s_and_b64 vcc, exec, s[42:43]
	s_cbranch_vccz .LBB22_23
; %bb.21:
	v_mov_b32_e32 v2, 29
	v_cmp_eq_u16_sdwa s[42:43], s33, v2 src0_sel:BYTE_0 src1_sel:DWORD
	s_mov_b64 s[34:35], -1
	s_and_b64 vcc, exec, s[42:43]
	s_cbranch_vccz .LBB22_23
; %bb.22:
	v_pk_mov_b32 v[2:3], s[14:15], s[14:15] op_sel:[0,1]
	global_store_dwordx2 v[6:7], v[2:3], off
	s_mov_b64 s[38:39], -1
	s_mov_b64 s[34:35], 0
.LBB22_23:
	s_mov_b64 s[42:43], 0
.LBB22_24:
	s_and_b64 vcc, exec, s[42:43]
	s_cbranch_vccz .LBB22_37
; %bb.25:
	v_mov_b32_e32 v2, 27
	v_cmp_lt_i16_sdwa s[42:43], s33, v2 src0_sel:BYTE_0 src1_sel:DWORD
	s_mov_b64 s[38:39], -1
	s_and_b64 vcc, exec, s[42:43]
	s_cbranch_vccnz .LBB22_31
; %bb.26:
	v_cmp_gt_i16_sdwa s[42:43], s33, v2 src0_sel:BYTE_0 src1_sel:DWORD
	s_and_b64 vcc, exec, s[42:43]
	s_cbranch_vccz .LBB22_28
; %bb.27:
	v_mov_b32_e32 v2, s11
	s_mov_b64 s[38:39], 0
	global_store_dword v[6:7], v2, off
.LBB22_28:
	s_andn2_b64 vcc, exec, s[38:39]
	s_cbranch_vccnz .LBB22_30
; %bb.29:
	v_mov_b32_e32 v2, s11
	global_store_short v[6:7], v2, off
.LBB22_30:
	s_mov_b64 s[38:39], 0
.LBB22_31:
	s_andn2_b64 vcc, exec, s[38:39]
	s_cbranch_vccnz .LBB22_36
; %bb.32:
	s_andn2_b64 vcc, exec, s[28:29]
	v_mov_b32_e32 v2, 0x80
	s_cbranch_vccnz .LBB22_35
; %bb.33:
	s_or_b64 s[38:39], s[2:3], s[30:31]
	s_andn2_b64 vcc, exec, s[38:39]
	v_mov_b32_e32 v2, 0
	s_cbranch_vccnz .LBB22_35
; %bb.34:
	v_mov_b32_e32 v2, s61
	v_cndmask_b32_e64 v2, v13, v2, s[2:3]
	v_or_b32_e32 v2, v2, v10
.LBB22_35:
	global_store_byte v[6:7], v2, off
.LBB22_36:
	s_mov_b64 s[38:39], -1
.LBB22_37:
	s_branch .LBB22_59
.LBB22_38:
	v_mov_b32_e32 v2, 22
	v_cmp_gt_i16_sdwa s[44:45], s33, v2 src0_sel:BYTE_0 src1_sel:DWORD
	s_mov_b64 s[42:43], -1
	s_and_b64 vcc, exec, s[44:45]
	s_cbranch_vccz .LBB22_51
; %bb.39:
	v_mov_b32_e32 v2, 24
	v_cmp_lt_i16_sdwa s[42:43], s33, v2 src0_sel:BYTE_0 src1_sel:DWORD
	s_mov_b64 s[38:39], -1
	s_and_b64 vcc, exec, s[42:43]
	s_cbranch_vccnz .LBB22_48
; %bb.40:
	v_cmp_gt_i16_sdwa s[42:43], s33, v2 src0_sel:BYTE_0 src1_sel:DWORD
	s_and_b64 vcc, exec, s[42:43]
	s_cbranch_vccz .LBB22_45
; %bb.41:
	s_andn2_b64 vcc, exec, s[24:25]
	v_mov_b32_e32 v2, 0x80
	s_cbranch_vccnz .LBB22_44
; %bb.42:
	s_or_b64 s[38:39], s[0:1], s[26:27]
	s_andn2_b64 vcc, exec, s[38:39]
	v_mov_b32_e32 v2, 0
	s_cbranch_vccnz .LBB22_44
; %bb.43:
	v_mov_b32_e32 v2, s59
	v_cndmask_b32_e64 v2, v12, v2, s[0:1]
	v_or_b32_e32 v2, v2, v10
.LBB22_44:
	s_mov_b64 s[38:39], 0
	global_store_byte v[6:7], v2, off
.LBB22_45:
	s_and_b64 vcc, exec, s[38:39]
	s_cbranch_vccz .LBB22_47
; %bb.46:
	s_and_b64 s[38:39], s[22:23], exec
	s_cselect_b32 s42, s58, s57
	s_and_b64 s[38:39], s[20:21], exec
	s_cselect_b32 s38, s60, s42
	v_or_b32_e32 v2, s38, v10
	global_store_byte v[6:7], v2, off
.LBB22_47:
	s_mov_b64 s[38:39], 0
.LBB22_48:
	s_andn2_b64 vcc, exec, s[38:39]
	s_cbranch_vccnz .LBB22_50
; %bb.49:
	s_and_b64 s[38:39], s[18:19], exec
	s_cselect_b32 s42, s55, s54
	s_and_b64 s[38:39], s[16:17], exec
	s_cselect_b32 s38, s56, s42
	v_or_b32_e32 v2, s38, v10
	global_store_byte v[6:7], v2, off
.LBB22_50:
	s_mov_b64 s[42:43], 0
	s_mov_b64 s[38:39], -1
.LBB22_51:
	s_andn2_b64 vcc, exec, s[42:43]
	s_cbranch_vccnz .LBB22_59
; %bb.52:
	v_mov_b32_e32 v2, 14
	v_cmp_gt_i16_sdwa s[44:45], s33, v2 src0_sel:BYTE_0 src1_sel:DWORD
	s_mov_b64 s[42:43], -1
	s_and_b64 vcc, exec, s[44:45]
	s_cbranch_vccz .LBB22_56
; %bb.53:
	v_mov_b32_e32 v2, 15
	v_cmp_eq_u16_sdwa s[42:43], s33, v2 src0_sel:BYTE_0 src1_sel:DWORD
	s_mov_b64 s[34:35], -1
	s_and_b64 vcc, exec, s[42:43]
	s_cbranch_vccz .LBB22_55
; %bb.54:
	global_store_short v[6:7], v11, off
	s_mov_b64 s[38:39], -1
	s_mov_b64 s[34:35], 0
.LBB22_55:
	s_mov_b64 s[42:43], 0
.LBB22_56:
	s_and_b64 vcc, exec, s[42:43]
	s_cbranch_vccz .LBB22_59
; %bb.57:
	v_mov_b32_e32 v2, 11
	v_cmp_eq_u16_sdwa s[42:43], s33, v2 src0_sel:BYTE_0 src1_sel:DWORD
	s_mov_b64 s[34:35], -1
	s_and_b64 vcc, exec, s[42:43]
	s_cbranch_vccz .LBB22_59
; %bb.58:
	s_mov_b64 s[38:39], -1
	s_mov_b64 s[34:35], 0
	global_store_byte v[6:7], v9, off
.LBB22_59:
	s_branch .LBB22_10
.LBB22_60:
	v_mov_b32_e32 v2, 5
	v_cmp_lt_i16_sdwa s[42:43], s33, v2 src0_sel:BYTE_0 src1_sel:DWORD
	s_mov_b64 s[38:39], -1
	s_and_b64 vcc, exec, s[42:43]
	s_cbranch_vccnz .LBB22_81
; %bb.61:
	v_mov_b32_e32 v2, 8
	v_cmp_lt_i16_sdwa s[42:43], s33, v2 src0_sel:BYTE_0 src1_sel:DWORD
	s_and_b64 vcc, exec, s[42:43]
	s_cbranch_vccnz .LBB22_71
; %bb.62:
	v_mov_b32_e32 v2, 9
	v_cmp_lt_i16_sdwa s[42:43], s33, v2 src0_sel:BYTE_0 src1_sel:DWORD
	s_and_b64 vcc, exec, s[42:43]
	s_cbranch_vccnz .LBB22_68
; %bb.63:
	v_cmp_gt_i16_sdwa s[42:43], s33, v2 src0_sel:BYTE_0 src1_sel:DWORD
	s_and_b64 vcc, exec, s[42:43]
	s_cbranch_vccz .LBB22_65
; %bb.64:
	v_mov_b32_e32 v2, 0
	v_mov_b32_e32 v3, v2
	global_store_dwordx4 v[6:7], v[0:3], off
	s_mov_b64 s[38:39], 0
.LBB22_65:
	s_andn2_b64 vcc, exec, s[38:39]
	s_cbranch_vccnz .LBB22_67
; %bb.66:
	v_mov_b32_e32 v5, 0
	global_store_dwordx2 v[6:7], v[4:5], off
.LBB22_67:
	s_mov_b64 s[38:39], 0
.LBB22_68:
	s_andn2_b64 vcc, exec, s[38:39]
	s_cbranch_vccnz .LBB22_70
; %bb.69:
	global_store_dword v[6:7], v8, off
.LBB22_70:
	s_mov_b64 s[38:39], 0
.LBB22_71:
	s_andn2_b64 vcc, exec, s[38:39]
	s_cbranch_vccnz .LBB22_80
; %bb.72:
	v_mov_b32_e32 v2, 6
	v_cmp_lt_i16_sdwa s[42:43], s33, v2 src0_sel:BYTE_0 src1_sel:DWORD
	s_mov_b64 s[38:39], -1
	s_and_b64 vcc, exec, s[42:43]
	s_cbranch_vccnz .LBB22_78
; %bb.73:
	v_cmp_gt_i16_sdwa s[42:43], s33, v2 src0_sel:BYTE_0 src1_sel:DWORD
	s_and_b64 vcc, exec, s[42:43]
	s_cbranch_vccz .LBB22_75
; %bb.74:
	global_store_dwordx2 v[6:7], v[0:1], off
	s_mov_b64 s[38:39], 0
.LBB22_75:
	s_andn2_b64 vcc, exec, s[38:39]
	s_cbranch_vccnz .LBB22_77
; %bb.76:
	global_store_dword v[6:7], v4, off
.LBB22_77:
	s_mov_b64 s[38:39], 0
.LBB22_78:
	s_andn2_b64 vcc, exec, s[38:39]
	s_cbranch_vccnz .LBB22_80
; %bb.79:
	global_store_short v[6:7], v8, off
.LBB22_80:
	s_mov_b64 s[38:39], 0
.LBB22_81:
	s_andn2_b64 vcc, exec, s[38:39]
	s_cbranch_vccnz .LBB22_97
; %bb.82:
	v_mov_b32_e32 v2, 2
	v_cmp_lt_i16_sdwa s[42:43], s33, v2 src0_sel:BYTE_0 src1_sel:DWORD
	s_mov_b64 s[38:39], -1
	s_and_b64 vcc, exec, s[42:43]
	s_cbranch_vccnz .LBB22_92
; %bb.83:
	v_mov_b32_e32 v2, 3
	v_cmp_lt_i16_sdwa s[42:43], s33, v2 src0_sel:BYTE_0 src1_sel:DWORD
	s_and_b64 vcc, exec, s[42:43]
	s_cbranch_vccnz .LBB22_89
; %bb.84:
	v_cmp_gt_i16_sdwa s[42:43], s33, v2 src0_sel:BYTE_0 src1_sel:DWORD
	s_and_b64 vcc, exec, s[42:43]
	s_cbranch_vccz .LBB22_86
; %bb.85:
	v_pk_mov_b32 v[2:3], s[14:15], s[14:15] op_sel:[0,1]
	global_store_dwordx2 v[6:7], v[2:3], off
	s_mov_b64 s[38:39], 0
.LBB22_86:
	s_andn2_b64 vcc, exec, s[38:39]
	s_cbranch_vccnz .LBB22_88
; %bb.87:
	v_mov_b32_e32 v2, s11
	global_store_dword v[6:7], v2, off
.LBB22_88:
	s_mov_b64 s[38:39], 0
.LBB22_89:
	s_andn2_b64 vcc, exec, s[38:39]
	s_cbranch_vccnz .LBB22_91
; %bb.90:
	v_mov_b32_e32 v2, s11
	global_store_short v[6:7], v2, off
.LBB22_91:
	s_mov_b64 s[38:39], 0
.LBB22_92:
	s_andn2_b64 vcc, exec, s[38:39]
	s_cbranch_vccnz .LBB22_97
; %bb.93:
	v_mov_b32_e32 v2, 0
	v_cmp_gt_i16_sdwa s[42:43], s33, v2 src0_sel:BYTE_0 src1_sel:DWORD
	s_mov_b64 s[38:39], -1
	s_and_b64 vcc, exec, s[42:43]
	s_cbranch_vccz .LBB22_95
; %bb.94:
	v_mov_b32_e32 v2, s11
	global_store_byte v[6:7], v2, off
	s_mov_b64 s[38:39], 0
.LBB22_95:
	s_andn2_b64 vcc, exec, s[38:39]
	s_cbranch_vccnz .LBB22_97
; %bb.96:
	v_mov_b32_e32 v2, s11
	global_store_byte v[6:7], v2, off
.LBB22_97:
	s_branch .LBB22_11
.LBB22_98:
	s_mov_b64 s[38:39], 0
                                        ; implicit-def: $vgpr15
.LBB22_99:
	s_and_b64 s[34:35], s[34:35], exec
	s_orn2_b64 s[38:39], s[38:39], exec
.LBB22_100:
	s_or_b64 exec, exec, s[36:37]
	s_mov_b64 s[42:43], 0
                                        ; implicit-def: $vgpr16
                                        ; implicit-def: $vgpr6_vgpr7
	s_and_saveexec_b64 s[36:37], s[38:39]
	s_cbranch_execz .LBB22_109
; %bb.101:
	v_cmp_gt_i32_e32 vcc, s50, v15
	s_mov_b64 s[44:45], -1
	s_mov_b64 s[38:39], s[34:35]
	s_and_saveexec_b64 s[40:41], vcc
	s_cbranch_execz .LBB22_204
; %bb.102:
	v_mul_lo_u32 v2, v15, s10
	v_ashrrev_i32_e32 v3, 31, v2
	v_mov_b32_e32 v5, s9
	v_add_co_u32_e32 v6, vcc, s8, v2
	v_mov_b32_e32 v2, 11
	v_addc_co_u32_e32 v7, vcc, v5, v3, vcc
	v_cmp_lt_i16_sdwa s[38:39], s33, v2 src0_sel:BYTE_0 src1_sel:DWORD
	s_and_b64 vcc, exec, s[38:39]
	s_cbranch_vccnz .LBB22_112
; %bb.103:
	v_mov_b32_e32 v2, 25
	v_cmp_gt_i16_sdwa s[38:39], s33, v2 src0_sel:BYTE_0 src1_sel:DWORD
	s_and_b64 vcc, exec, s[38:39]
	s_cbranch_vccz .LBB22_115
; %bb.104:
	v_mov_b32_e32 v2, 28
	v_cmp_gt_i16_sdwa s[38:39], s33, v2 src0_sel:BYTE_0 src1_sel:DWORD
	s_and_b64 vcc, exec, s[38:39]
	s_cbranch_vccz .LBB22_116
	;; [unrolled: 5-line block ×4, first 2 shown]
; %bb.107:
	v_mov_b32_e32 v2, 46
	v_cmp_eq_u16_sdwa s[42:43], s33, v2 src0_sel:BYTE_0 src1_sel:DWORD
	s_mov_b64 s[44:45], 0
	s_mov_b64 s[38:39], -1
	s_and_b64 vcc, exec, s[42:43]
	s_mov_b64 s[42:43], 0
	s_cbranch_vccz .LBB22_119
; %bb.108:
	global_store_dword v[6:7], v11, off
	s_mov_b64 s[42:43], -1
	s_mov_b64 s[38:39], 0
	s_branch .LBB22_119
.LBB22_109:
	s_or_b64 exec, exec, s[36:37]
	s_mov_b64 s[0:1], 0
	s_and_saveexec_b64 s[2:3], s[34:35]
	s_cbranch_execnz .LBB22_364
.LBB22_110:
	s_or_b64 exec, exec, s[2:3]
	s_and_saveexec_b64 s[2:3], s[40:41]
	s_xor_b64 s[2:3], exec, s[2:3]
	s_cbranch_execz .LBB22_365
.LBB22_111:
	global_store_byte v[6:7], v9, off
	s_or_b64 exec, exec, s[2:3]
	s_and_saveexec_b64 s[2:3], s[42:43]
	s_xor_b64 s[2:3], exec, s[2:3]
	s_cbranch_execz .LBB22_403
	s_branch .LBB22_366
.LBB22_112:
	s_mov_b64 s[38:39], s[34:35]
	s_and_b64 vcc, exec, s[44:45]
	s_cbranch_vccnz .LBB22_164
.LBB22_113:
	s_andn2_b64 vcc, exec, s[42:43]
	s_cbranch_vccnz .LBB22_202
.LBB22_114:
	v_add_u32_e32 v15, 0x80, v15
	s_mov_b64 s[42:43], -1
	s_branch .LBB22_203
.LBB22_115:
	s_mov_b64 s[38:39], s[34:35]
	s_branch .LBB22_141
.LBB22_116:
	s_mov_b64 s[38:39], s[34:35]
	s_branch .LBB22_127
.LBB22_117:
	s_mov_b64 s[38:39], s[34:35]
	s_branch .LBB22_123
.LBB22_118:
	s_mov_b64 s[38:39], s[34:35]
.LBB22_119:
	s_and_b64 vcc, exec, s[44:45]
	s_cbranch_vccz .LBB22_122
; %bb.120:
	v_mov_b32_e32 v2, 44
	v_cmp_eq_u16_sdwa s[44:45], s33, v2 src0_sel:BYTE_0 src1_sel:DWORD
	s_mov_b64 s[38:39], -1
	s_and_b64 vcc, exec, s[44:45]
	s_cbranch_vccz .LBB22_122
; %bb.121:
	v_mov_b32_e32 v2, 0xff
	v_cndmask_b32_e64 v2, v14, v2, s[4:5]
	s_mov_b64 s[42:43], -1
	s_mov_b64 s[38:39], 0
	global_store_byte v[6:7], v2, off
.LBB22_122:
	s_mov_b64 s[44:45], 0
.LBB22_123:
	s_and_b64 vcc, exec, s[44:45]
	s_cbranch_vccz .LBB22_126
; %bb.124:
	v_mov_b32_e32 v2, 29
	v_cmp_eq_u16_sdwa s[44:45], s33, v2 src0_sel:BYTE_0 src1_sel:DWORD
	s_mov_b64 s[38:39], -1
	s_and_b64 vcc, exec, s[44:45]
	s_cbranch_vccz .LBB22_126
; %bb.125:
	v_pk_mov_b32 v[2:3], s[14:15], s[14:15] op_sel:[0,1]
	global_store_dwordx2 v[6:7], v[2:3], off
	s_mov_b64 s[42:43], -1
	s_mov_b64 s[38:39], 0
.LBB22_126:
	s_mov_b64 s[44:45], 0
.LBB22_127:
	s_and_b64 vcc, exec, s[44:45]
	s_cbranch_vccz .LBB22_140
; %bb.128:
	v_mov_b32_e32 v2, 27
	v_cmp_lt_i16_sdwa s[44:45], s33, v2 src0_sel:BYTE_0 src1_sel:DWORD
	s_mov_b64 s[42:43], -1
	s_and_b64 vcc, exec, s[44:45]
	s_cbranch_vccnz .LBB22_134
; %bb.129:
	v_cmp_gt_i16_sdwa s[44:45], s33, v2 src0_sel:BYTE_0 src1_sel:DWORD
	s_and_b64 vcc, exec, s[44:45]
	s_cbranch_vccz .LBB22_131
; %bb.130:
	v_mov_b32_e32 v2, s11
	s_mov_b64 s[42:43], 0
	global_store_dword v[6:7], v2, off
.LBB22_131:
	s_andn2_b64 vcc, exec, s[42:43]
	s_cbranch_vccnz .LBB22_133
; %bb.132:
	v_mov_b32_e32 v2, s11
	global_store_short v[6:7], v2, off
.LBB22_133:
	s_mov_b64 s[42:43], 0
.LBB22_134:
	s_andn2_b64 vcc, exec, s[42:43]
	s_cbranch_vccnz .LBB22_139
; %bb.135:
	s_andn2_b64 vcc, exec, s[28:29]
	v_mov_b32_e32 v2, 0x80
	s_cbranch_vccnz .LBB22_138
; %bb.136:
	s_or_b64 s[42:43], s[2:3], s[30:31]
	s_andn2_b64 vcc, exec, s[42:43]
	v_mov_b32_e32 v2, 0
	s_cbranch_vccnz .LBB22_138
; %bb.137:
	v_mov_b32_e32 v2, s61
	v_cndmask_b32_e64 v2, v13, v2, s[2:3]
	v_or_b32_e32 v2, v2, v10
.LBB22_138:
	global_store_byte v[6:7], v2, off
.LBB22_139:
	s_mov_b64 s[42:43], -1
.LBB22_140:
	s_mov_b64 s[44:45], 0
.LBB22_141:
	s_and_b64 vcc, exec, s[44:45]
	s_cbranch_vccz .LBB22_163
; %bb.142:
	v_mov_b32_e32 v2, 22
	v_cmp_gt_i16_sdwa s[46:47], s33, v2 src0_sel:BYTE_0 src1_sel:DWORD
	s_mov_b64 s[44:45], -1
	s_and_b64 vcc, exec, s[46:47]
	s_cbranch_vccz .LBB22_155
; %bb.143:
	v_mov_b32_e32 v2, 24
	v_cmp_lt_i16_sdwa s[44:45], s33, v2 src0_sel:BYTE_0 src1_sel:DWORD
	s_mov_b64 s[42:43], -1
	s_and_b64 vcc, exec, s[44:45]
	s_cbranch_vccnz .LBB22_152
; %bb.144:
	v_cmp_gt_i16_sdwa s[44:45], s33, v2 src0_sel:BYTE_0 src1_sel:DWORD
	s_and_b64 vcc, exec, s[44:45]
	s_cbranch_vccz .LBB22_149
; %bb.145:
	s_andn2_b64 vcc, exec, s[24:25]
	v_mov_b32_e32 v2, 0x80
	s_cbranch_vccnz .LBB22_148
; %bb.146:
	s_or_b64 s[42:43], s[0:1], s[26:27]
	s_andn2_b64 vcc, exec, s[42:43]
	v_mov_b32_e32 v2, 0
	s_cbranch_vccnz .LBB22_148
; %bb.147:
	v_mov_b32_e32 v2, s59
	v_cndmask_b32_e64 v2, v12, v2, s[0:1]
	v_or_b32_e32 v2, v2, v10
.LBB22_148:
	s_mov_b64 s[42:43], 0
	global_store_byte v[6:7], v2, off
.LBB22_149:
	s_and_b64 vcc, exec, s[42:43]
	s_cbranch_vccz .LBB22_151
; %bb.150:
	s_and_b64 s[42:43], s[22:23], exec
	s_cselect_b32 s44, s58, s57
	s_and_b64 s[42:43], s[20:21], exec
	s_cselect_b32 s42, s60, s44
	v_or_b32_e32 v2, s42, v10
	global_store_byte v[6:7], v2, off
.LBB22_151:
	s_mov_b64 s[42:43], 0
.LBB22_152:
	s_andn2_b64 vcc, exec, s[42:43]
	s_cbranch_vccnz .LBB22_154
; %bb.153:
	s_and_b64 s[42:43], s[18:19], exec
	s_cselect_b32 s44, s55, s54
	s_and_b64 s[42:43], s[16:17], exec
	s_cselect_b32 s42, s56, s44
	v_or_b32_e32 v2, s42, v10
	global_store_byte v[6:7], v2, off
.LBB22_154:
	s_mov_b64 s[44:45], 0
	s_mov_b64 s[42:43], -1
.LBB22_155:
	s_andn2_b64 vcc, exec, s[44:45]
	s_cbranch_vccnz .LBB22_163
; %bb.156:
	v_mov_b32_e32 v2, 14
	v_cmp_gt_i16_sdwa s[46:47], s33, v2 src0_sel:BYTE_0 src1_sel:DWORD
	s_mov_b64 s[44:45], -1
	s_and_b64 vcc, exec, s[46:47]
	s_cbranch_vccz .LBB22_160
; %bb.157:
	v_mov_b32_e32 v2, 15
	v_cmp_eq_u16_sdwa s[44:45], s33, v2 src0_sel:BYTE_0 src1_sel:DWORD
	s_mov_b64 s[38:39], -1
	s_and_b64 vcc, exec, s[44:45]
	s_cbranch_vccz .LBB22_159
; %bb.158:
	global_store_short v[6:7], v11, off
	s_mov_b64 s[42:43], -1
	s_mov_b64 s[38:39], 0
.LBB22_159:
	s_mov_b64 s[44:45], 0
.LBB22_160:
	s_and_b64 vcc, exec, s[44:45]
	s_cbranch_vccz .LBB22_163
; %bb.161:
	v_mov_b32_e32 v2, 11
	v_cmp_eq_u16_sdwa s[44:45], s33, v2 src0_sel:BYTE_0 src1_sel:DWORD
	s_mov_b64 s[38:39], -1
	s_and_b64 vcc, exec, s[44:45]
	s_cbranch_vccz .LBB22_163
; %bb.162:
	s_mov_b64 s[42:43], -1
	s_mov_b64 s[38:39], 0
	global_store_byte v[6:7], v9, off
.LBB22_163:
	s_branch .LBB22_113
.LBB22_164:
	v_mov_b32_e32 v2, 5
	v_cmp_lt_i16_sdwa s[44:45], s33, v2 src0_sel:BYTE_0 src1_sel:DWORD
	s_mov_b64 s[42:43], -1
	s_and_b64 vcc, exec, s[44:45]
	s_cbranch_vccnz .LBB22_185
; %bb.165:
	v_mov_b32_e32 v2, 8
	v_cmp_lt_i16_sdwa s[44:45], s33, v2 src0_sel:BYTE_0 src1_sel:DWORD
	s_and_b64 vcc, exec, s[44:45]
	s_cbranch_vccnz .LBB22_175
; %bb.166:
	v_mov_b32_e32 v2, 9
	v_cmp_lt_i16_sdwa s[44:45], s33, v2 src0_sel:BYTE_0 src1_sel:DWORD
	s_and_b64 vcc, exec, s[44:45]
	s_cbranch_vccnz .LBB22_172
; %bb.167:
	v_cmp_gt_i16_sdwa s[44:45], s33, v2 src0_sel:BYTE_0 src1_sel:DWORD
	s_and_b64 vcc, exec, s[44:45]
	s_cbranch_vccz .LBB22_169
; %bb.168:
	v_mov_b32_e32 v2, 0
	v_mov_b32_e32 v3, v2
	s_mov_b64 s[42:43], 0
	global_store_dwordx4 v[6:7], v[0:3], off
.LBB22_169:
	s_andn2_b64 vcc, exec, s[42:43]
	s_cbranch_vccnz .LBB22_171
; %bb.170:
	v_mov_b32_e32 v5, 0
	global_store_dwordx2 v[6:7], v[4:5], off
.LBB22_171:
	s_mov_b64 s[42:43], 0
.LBB22_172:
	s_andn2_b64 vcc, exec, s[42:43]
	s_cbranch_vccnz .LBB22_174
; %bb.173:
	global_store_dword v[6:7], v8, off
.LBB22_174:
	s_mov_b64 s[42:43], 0
.LBB22_175:
	s_andn2_b64 vcc, exec, s[42:43]
	s_cbranch_vccnz .LBB22_184
; %bb.176:
	v_mov_b32_e32 v2, 6
	v_cmp_lt_i16_sdwa s[44:45], s33, v2 src0_sel:BYTE_0 src1_sel:DWORD
	s_mov_b64 s[42:43], -1
	s_and_b64 vcc, exec, s[44:45]
	s_cbranch_vccnz .LBB22_182
; %bb.177:
	v_cmp_gt_i16_sdwa s[44:45], s33, v2 src0_sel:BYTE_0 src1_sel:DWORD
	s_and_b64 vcc, exec, s[44:45]
	s_cbranch_vccz .LBB22_179
; %bb.178:
	s_mov_b64 s[42:43], 0
	global_store_dwordx2 v[6:7], v[0:1], off
.LBB22_179:
	s_andn2_b64 vcc, exec, s[42:43]
	s_cbranch_vccnz .LBB22_181
; %bb.180:
	global_store_dword v[6:7], v4, off
.LBB22_181:
	s_mov_b64 s[42:43], 0
.LBB22_182:
	s_andn2_b64 vcc, exec, s[42:43]
	s_cbranch_vccnz .LBB22_184
; %bb.183:
	global_store_short v[6:7], v8, off
.LBB22_184:
	s_mov_b64 s[42:43], 0
.LBB22_185:
	s_andn2_b64 vcc, exec, s[42:43]
	s_cbranch_vccnz .LBB22_201
; %bb.186:
	v_mov_b32_e32 v2, 2
	v_cmp_lt_i16_sdwa s[44:45], s33, v2 src0_sel:BYTE_0 src1_sel:DWORD
	s_mov_b64 s[42:43], -1
	s_and_b64 vcc, exec, s[44:45]
	s_cbranch_vccnz .LBB22_196
; %bb.187:
	v_mov_b32_e32 v2, 3
	v_cmp_lt_i16_sdwa s[44:45], s33, v2 src0_sel:BYTE_0 src1_sel:DWORD
	s_and_b64 vcc, exec, s[44:45]
	s_cbranch_vccnz .LBB22_193
; %bb.188:
	v_cmp_gt_i16_sdwa s[44:45], s33, v2 src0_sel:BYTE_0 src1_sel:DWORD
	s_and_b64 vcc, exec, s[44:45]
	s_cbranch_vccz .LBB22_190
; %bb.189:
	v_pk_mov_b32 v[2:3], s[14:15], s[14:15] op_sel:[0,1]
	s_mov_b64 s[42:43], 0
	global_store_dwordx2 v[6:7], v[2:3], off
.LBB22_190:
	s_andn2_b64 vcc, exec, s[42:43]
	s_cbranch_vccnz .LBB22_192
; %bb.191:
	v_mov_b32_e32 v2, s11
	global_store_dword v[6:7], v2, off
.LBB22_192:
	s_mov_b64 s[42:43], 0
.LBB22_193:
	s_andn2_b64 vcc, exec, s[42:43]
	s_cbranch_vccnz .LBB22_195
; %bb.194:
	v_mov_b32_e32 v2, s11
	global_store_short v[6:7], v2, off
.LBB22_195:
	s_mov_b64 s[42:43], 0
.LBB22_196:
	s_andn2_b64 vcc, exec, s[42:43]
	s_cbranch_vccnz .LBB22_201
; %bb.197:
	v_mov_b32_e32 v2, 0
	v_cmp_gt_i16_sdwa s[44:45], s33, v2 src0_sel:BYTE_0 src1_sel:DWORD
	s_mov_b64 s[42:43], -1
	s_and_b64 vcc, exec, s[44:45]
	s_cbranch_vccz .LBB22_199
; %bb.198:
	v_mov_b32_e32 v2, s11
	s_mov_b64 s[42:43], 0
	global_store_byte v[6:7], v2, off
.LBB22_199:
	s_andn2_b64 vcc, exec, s[42:43]
	s_cbranch_vccnz .LBB22_201
; %bb.200:
	v_mov_b32_e32 v2, s11
	global_store_byte v[6:7], v2, off
.LBB22_201:
	s_branch .LBB22_114
.LBB22_202:
	s_mov_b64 s[42:43], 0
                                        ; implicit-def: $vgpr15
.LBB22_203:
	s_andn2_b64 s[44:45], s[34:35], exec
	s_and_b64 s[38:39], s[38:39], exec
	s_or_b64 s[38:39], s[44:45], s[38:39]
	s_orn2_b64 s[44:45], s[42:43], exec
.LBB22_204:
	s_or_b64 exec, exec, s[40:41]
	s_mov_b64 s[46:47], 0
	s_mov_b64 s[42:43], 0
                                        ; implicit-def: $vgpr16
                                        ; implicit-def: $vgpr6_vgpr7
	s_and_saveexec_b64 s[40:41], s[44:45]
	s_cbranch_execz .LBB22_363
; %bb.205:
	v_cmp_gt_i32_e32 vcc, s50, v15
	s_mov_b64 s[48:49], -1
	s_mov_b64 s[44:45], s[38:39]
	s_and_saveexec_b64 s[42:43], vcc
	s_cbranch_execz .LBB22_306
; %bb.206:
	v_mul_lo_u32 v2, v15, s10
	v_ashrrev_i32_e32 v3, 31, v2
	v_mov_b32_e32 v5, s9
	v_add_co_u32_e32 v6, vcc, s8, v2
	v_mov_b32_e32 v2, 11
	v_addc_co_u32_e32 v7, vcc, v5, v3, vcc
	v_cmp_lt_i16_sdwa s[44:45], s33, v2 src0_sel:BYTE_0 src1_sel:DWORD
	s_and_b64 vcc, exec, s[44:45]
	s_cbranch_vccnz .LBB22_213
; %bb.207:
	v_mov_b32_e32 v2, 25
	v_cmp_gt_i16_sdwa s[44:45], s33, v2 src0_sel:BYTE_0 src1_sel:DWORD
	s_and_b64 vcc, exec, s[44:45]
	s_cbranch_vccz .LBB22_214
; %bb.208:
	v_mov_b32_e32 v2, 28
	v_cmp_gt_i16_sdwa s[44:45], s33, v2 src0_sel:BYTE_0 src1_sel:DWORD
	s_and_b64 vcc, exec, s[44:45]
	s_cbranch_vccz .LBB22_215
	;; [unrolled: 5-line block ×4, first 2 shown]
; %bb.211:
	v_mov_b32_e32 v2, 46
	v_cmp_eq_u16_sdwa s[46:47], s33, v2 src0_sel:BYTE_0 src1_sel:DWORD
	s_mov_b64 s[48:49], 0
	s_mov_b64 s[44:45], -1
	s_and_b64 vcc, exec, s[46:47]
	s_mov_b64 s[46:47], 0
	s_cbranch_vccz .LBB22_218
; %bb.212:
	global_store_dword v[6:7], v11, off
	s_mov_b64 s[46:47], -1
	s_mov_b64 s[44:45], 0
	s_branch .LBB22_218
.LBB22_213:
	s_mov_b64 s[44:45], s[38:39]
	s_branch .LBB22_263
.LBB22_214:
	s_mov_b64 s[44:45], s[38:39]
	s_branch .LBB22_240
.LBB22_215:
	s_mov_b64 s[44:45], s[38:39]
	s_branch .LBB22_226
.LBB22_216:
	s_mov_b64 s[44:45], s[38:39]
	s_branch .LBB22_222
.LBB22_217:
	s_mov_b64 s[44:45], s[38:39]
.LBB22_218:
	s_and_b64 vcc, exec, s[48:49]
	s_cbranch_vccz .LBB22_221
; %bb.219:
	v_mov_b32_e32 v2, 44
	v_cmp_eq_u16_sdwa s[48:49], s33, v2 src0_sel:BYTE_0 src1_sel:DWORD
	s_mov_b64 s[44:45], -1
	s_and_b64 vcc, exec, s[48:49]
	s_cbranch_vccz .LBB22_221
; %bb.220:
	v_mov_b32_e32 v2, 0xff
	v_cndmask_b32_e64 v2, v14, v2, s[4:5]
	s_mov_b64 s[46:47], -1
	s_mov_b64 s[44:45], 0
	global_store_byte v[6:7], v2, off
.LBB22_221:
	s_mov_b64 s[48:49], 0
.LBB22_222:
	s_and_b64 vcc, exec, s[48:49]
	s_cbranch_vccz .LBB22_225
; %bb.223:
	v_mov_b32_e32 v2, 29
	v_cmp_eq_u16_sdwa s[48:49], s33, v2 src0_sel:BYTE_0 src1_sel:DWORD
	s_mov_b64 s[44:45], -1
	s_and_b64 vcc, exec, s[48:49]
	s_cbranch_vccz .LBB22_225
; %bb.224:
	v_pk_mov_b32 v[2:3], s[14:15], s[14:15] op_sel:[0,1]
	global_store_dwordx2 v[6:7], v[2:3], off
	s_mov_b64 s[46:47], -1
	s_mov_b64 s[44:45], 0
.LBB22_225:
	s_mov_b64 s[48:49], 0
.LBB22_226:
	s_and_b64 vcc, exec, s[48:49]
	s_cbranch_vccz .LBB22_239
; %bb.227:
	v_mov_b32_e32 v2, 27
	v_cmp_lt_i16_sdwa s[48:49], s33, v2 src0_sel:BYTE_0 src1_sel:DWORD
	s_mov_b64 s[46:47], -1
	s_and_b64 vcc, exec, s[48:49]
	s_cbranch_vccnz .LBB22_233
; %bb.228:
	v_cmp_gt_i16_sdwa s[48:49], s33, v2 src0_sel:BYTE_0 src1_sel:DWORD
	s_and_b64 vcc, exec, s[48:49]
	s_cbranch_vccz .LBB22_230
; %bb.229:
	v_mov_b32_e32 v2, s11
	s_mov_b64 s[46:47], 0
	global_store_dword v[6:7], v2, off
.LBB22_230:
	s_andn2_b64 vcc, exec, s[46:47]
	s_cbranch_vccnz .LBB22_232
; %bb.231:
	v_mov_b32_e32 v2, s11
	global_store_short v[6:7], v2, off
.LBB22_232:
	s_mov_b64 s[46:47], 0
.LBB22_233:
	s_andn2_b64 vcc, exec, s[46:47]
	s_cbranch_vccnz .LBB22_238
; %bb.234:
	s_andn2_b64 vcc, exec, s[28:29]
	v_mov_b32_e32 v2, 0x80
	s_cbranch_vccnz .LBB22_237
; %bb.235:
	s_or_b64 s[46:47], s[2:3], s[30:31]
	s_andn2_b64 vcc, exec, s[46:47]
	v_mov_b32_e32 v2, 0
	s_cbranch_vccnz .LBB22_237
; %bb.236:
	v_mov_b32_e32 v2, s61
	v_cndmask_b32_e64 v2, v13, v2, s[2:3]
	v_or_b32_e32 v2, v2, v10
.LBB22_237:
	global_store_byte v[6:7], v2, off
.LBB22_238:
	s_mov_b64 s[46:47], -1
.LBB22_239:
	s_mov_b64 s[48:49], 0
.LBB22_240:
	s_and_b64 vcc, exec, s[48:49]
	s_cbranch_vccz .LBB22_262
; %bb.241:
	v_mov_b32_e32 v2, 22
	v_cmp_gt_i16_sdwa s[52:53], s33, v2 src0_sel:BYTE_0 src1_sel:DWORD
	s_mov_b64 s[48:49], -1
	s_and_b64 vcc, exec, s[52:53]
	s_cbranch_vccz .LBB22_254
; %bb.242:
	v_mov_b32_e32 v2, 24
	v_cmp_lt_i16_sdwa s[48:49], s33, v2 src0_sel:BYTE_0 src1_sel:DWORD
	s_mov_b64 s[46:47], -1
	s_and_b64 vcc, exec, s[48:49]
	s_cbranch_vccnz .LBB22_251
; %bb.243:
	v_cmp_gt_i16_sdwa s[48:49], s33, v2 src0_sel:BYTE_0 src1_sel:DWORD
	s_and_b64 vcc, exec, s[48:49]
	s_cbranch_vccz .LBB22_248
; %bb.244:
	s_andn2_b64 vcc, exec, s[24:25]
	v_mov_b32_e32 v2, 0x80
	s_cbranch_vccnz .LBB22_247
; %bb.245:
	s_or_b64 s[46:47], s[0:1], s[26:27]
	s_andn2_b64 vcc, exec, s[46:47]
	v_mov_b32_e32 v2, 0
	s_cbranch_vccnz .LBB22_247
; %bb.246:
	v_mov_b32_e32 v2, s59
	v_cndmask_b32_e64 v2, v12, v2, s[0:1]
	v_or_b32_e32 v2, v2, v10
.LBB22_247:
	s_mov_b64 s[46:47], 0
	global_store_byte v[6:7], v2, off
.LBB22_248:
	s_and_b64 vcc, exec, s[46:47]
	s_cbranch_vccz .LBB22_250
; %bb.249:
	s_and_b64 s[46:47], s[22:23], exec
	s_cselect_b32 s48, s58, s57
	s_and_b64 s[46:47], s[20:21], exec
	s_cselect_b32 s46, s60, s48
	v_or_b32_e32 v2, s46, v10
	global_store_byte v[6:7], v2, off
.LBB22_250:
	s_mov_b64 s[46:47], 0
.LBB22_251:
	s_andn2_b64 vcc, exec, s[46:47]
	s_cbranch_vccnz .LBB22_253
; %bb.252:
	s_and_b64 s[46:47], s[18:19], exec
	s_cselect_b32 s48, s55, s54
	s_and_b64 s[46:47], s[16:17], exec
	s_cselect_b32 s46, s56, s48
	v_or_b32_e32 v2, s46, v10
	global_store_byte v[6:7], v2, off
.LBB22_253:
	s_mov_b64 s[48:49], 0
	s_mov_b64 s[46:47], -1
.LBB22_254:
	s_andn2_b64 vcc, exec, s[48:49]
	s_cbranch_vccnz .LBB22_262
; %bb.255:
	v_mov_b32_e32 v2, 14
	v_cmp_gt_i16_sdwa s[52:53], s33, v2 src0_sel:BYTE_0 src1_sel:DWORD
	s_mov_b64 s[48:49], -1
	s_and_b64 vcc, exec, s[52:53]
	s_cbranch_vccz .LBB22_259
; %bb.256:
	v_mov_b32_e32 v2, 15
	v_cmp_eq_u16_sdwa s[48:49], s33, v2 src0_sel:BYTE_0 src1_sel:DWORD
	s_mov_b64 s[44:45], -1
	s_and_b64 vcc, exec, s[48:49]
	s_cbranch_vccz .LBB22_258
; %bb.257:
	global_store_short v[6:7], v11, off
	s_mov_b64 s[46:47], -1
	s_mov_b64 s[44:45], 0
.LBB22_258:
	s_mov_b64 s[48:49], 0
.LBB22_259:
	s_and_b64 vcc, exec, s[48:49]
	s_cbranch_vccz .LBB22_262
; %bb.260:
	v_mov_b32_e32 v2, 11
	v_cmp_eq_u16_sdwa s[48:49], s33, v2 src0_sel:BYTE_0 src1_sel:DWORD
	s_mov_b64 s[44:45], -1
	s_and_b64 vcc, exec, s[48:49]
	s_cbranch_vccz .LBB22_262
; %bb.261:
	s_mov_b64 s[46:47], -1
	s_mov_b64 s[44:45], 0
	global_store_byte v[6:7], v9, off
.LBB22_262:
	s_mov_b64 s[48:49], 0
.LBB22_263:
	s_and_b64 vcc, exec, s[48:49]
	s_cbranch_vccz .LBB22_302
; %bb.264:
	v_mov_b32_e32 v2, 5
	v_cmp_lt_i16_sdwa s[48:49], s33, v2 src0_sel:BYTE_0 src1_sel:DWORD
	s_mov_b64 s[46:47], -1
	s_and_b64 vcc, exec, s[48:49]
	s_cbranch_vccnz .LBB22_285
; %bb.265:
	v_mov_b32_e32 v2, 8
	v_cmp_lt_i16_sdwa s[48:49], s33, v2 src0_sel:BYTE_0 src1_sel:DWORD
	s_and_b64 vcc, exec, s[48:49]
	s_cbranch_vccnz .LBB22_275
; %bb.266:
	v_mov_b32_e32 v2, 9
	v_cmp_lt_i16_sdwa s[48:49], s33, v2 src0_sel:BYTE_0 src1_sel:DWORD
	s_and_b64 vcc, exec, s[48:49]
	s_cbranch_vccnz .LBB22_272
; %bb.267:
	v_cmp_gt_i16_sdwa s[48:49], s33, v2 src0_sel:BYTE_0 src1_sel:DWORD
	s_and_b64 vcc, exec, s[48:49]
	s_cbranch_vccz .LBB22_269
; %bb.268:
	v_mov_b32_e32 v2, 0
	v_mov_b32_e32 v3, v2
	s_mov_b64 s[46:47], 0
	global_store_dwordx4 v[6:7], v[0:3], off
.LBB22_269:
	s_andn2_b64 vcc, exec, s[46:47]
	s_cbranch_vccnz .LBB22_271
; %bb.270:
	v_mov_b32_e32 v5, 0
	global_store_dwordx2 v[6:7], v[4:5], off
.LBB22_271:
	s_mov_b64 s[46:47], 0
.LBB22_272:
	s_andn2_b64 vcc, exec, s[46:47]
	s_cbranch_vccnz .LBB22_274
; %bb.273:
	global_store_dword v[6:7], v8, off
.LBB22_274:
	s_mov_b64 s[46:47], 0
.LBB22_275:
	s_andn2_b64 vcc, exec, s[46:47]
	s_cbranch_vccnz .LBB22_284
; %bb.276:
	v_mov_b32_e32 v2, 6
	v_cmp_lt_i16_sdwa s[48:49], s33, v2 src0_sel:BYTE_0 src1_sel:DWORD
	s_mov_b64 s[46:47], -1
	s_and_b64 vcc, exec, s[48:49]
	s_cbranch_vccnz .LBB22_282
; %bb.277:
	v_cmp_gt_i16_sdwa s[48:49], s33, v2 src0_sel:BYTE_0 src1_sel:DWORD
	s_and_b64 vcc, exec, s[48:49]
	s_cbranch_vccz .LBB22_279
; %bb.278:
	s_mov_b64 s[46:47], 0
	global_store_dwordx2 v[6:7], v[0:1], off
.LBB22_279:
	s_andn2_b64 vcc, exec, s[46:47]
	s_cbranch_vccnz .LBB22_281
; %bb.280:
	global_store_dword v[6:7], v4, off
.LBB22_281:
	s_mov_b64 s[46:47], 0
.LBB22_282:
	s_andn2_b64 vcc, exec, s[46:47]
	s_cbranch_vccnz .LBB22_284
; %bb.283:
	global_store_short v[6:7], v8, off
.LBB22_284:
	s_mov_b64 s[46:47], 0
.LBB22_285:
	s_andn2_b64 vcc, exec, s[46:47]
	s_cbranch_vccnz .LBB22_301
; %bb.286:
	v_mov_b32_e32 v2, 2
	v_cmp_lt_i16_sdwa s[48:49], s33, v2 src0_sel:BYTE_0 src1_sel:DWORD
	s_mov_b64 s[46:47], -1
	s_and_b64 vcc, exec, s[48:49]
	s_cbranch_vccnz .LBB22_296
; %bb.287:
	v_mov_b32_e32 v2, 3
	v_cmp_lt_i16_sdwa s[48:49], s33, v2 src0_sel:BYTE_0 src1_sel:DWORD
	s_and_b64 vcc, exec, s[48:49]
	s_cbranch_vccnz .LBB22_293
; %bb.288:
	v_cmp_gt_i16_sdwa s[48:49], s33, v2 src0_sel:BYTE_0 src1_sel:DWORD
	s_and_b64 vcc, exec, s[48:49]
	s_cbranch_vccz .LBB22_290
; %bb.289:
	v_pk_mov_b32 v[2:3], s[14:15], s[14:15] op_sel:[0,1]
	s_mov_b64 s[46:47], 0
	global_store_dwordx2 v[6:7], v[2:3], off
.LBB22_290:
	s_andn2_b64 vcc, exec, s[46:47]
	s_cbranch_vccnz .LBB22_292
; %bb.291:
	v_mov_b32_e32 v2, s11
	global_store_dword v[6:7], v2, off
.LBB22_292:
	s_mov_b64 s[46:47], 0
.LBB22_293:
	s_andn2_b64 vcc, exec, s[46:47]
	s_cbranch_vccnz .LBB22_295
; %bb.294:
	v_mov_b32_e32 v2, s11
	global_store_short v[6:7], v2, off
.LBB22_295:
	s_mov_b64 s[46:47], 0
.LBB22_296:
	s_andn2_b64 vcc, exec, s[46:47]
	s_cbranch_vccnz .LBB22_301
; %bb.297:
	v_mov_b32_e32 v2, 0
	v_cmp_gt_i16_sdwa s[48:49], s33, v2 src0_sel:BYTE_0 src1_sel:DWORD
	s_mov_b64 s[46:47], -1
	s_and_b64 vcc, exec, s[48:49]
	s_cbranch_vccz .LBB22_299
; %bb.298:
	v_mov_b32_e32 v2, s11
	s_mov_b64 s[46:47], 0
	global_store_byte v[6:7], v2, off
.LBB22_299:
	s_andn2_b64 vcc, exec, s[46:47]
	s_cbranch_vccnz .LBB22_301
; %bb.300:
	v_mov_b32_e32 v2, s11
	global_store_byte v[6:7], v2, off
.LBB22_301:
	s_mov_b64 s[46:47], -1
.LBB22_302:
	s_andn2_b64 vcc, exec, s[46:47]
	s_cbranch_vccnz .LBB22_304
; %bb.303:
	v_add_u32_e32 v15, 0x80, v15
	s_mov_b64 s[46:47], -1
	s_branch .LBB22_305
.LBB22_304:
	s_mov_b64 s[46:47], 0
                                        ; implicit-def: $vgpr15
.LBB22_305:
	s_andn2_b64 s[48:49], s[38:39], exec
	s_and_b64 s[44:45], s[44:45], exec
	s_or_b64 s[44:45], s[48:49], s[44:45]
	s_orn2_b64 s[48:49], s[46:47], exec
.LBB22_306:
	s_or_b64 exec, exec, s[42:43]
	s_mov_b64 s[46:47], 0
	s_mov_b64 s[52:53], 0
                                        ; implicit-def: $vgpr16
                                        ; implicit-def: $vgpr6_vgpr7
	s_and_saveexec_b64 s[42:43], s[48:49]
	s_cbranch_execz .LBB22_362
; %bb.307:
	v_cmp_gt_i32_e32 vcc, s50, v15
	s_mov_b64 s[50:51], 0
	s_mov_b64 s[48:49], s[44:45]
                                        ; implicit-def: $vgpr16
                                        ; implicit-def: $vgpr6_vgpr7
	s_and_saveexec_b64 s[46:47], vcc
	s_cbranch_execz .LBB22_361
; %bb.308:
	v_mul_lo_u32 v2, v15, s10
	v_ashrrev_i32_e32 v3, 31, v2
	v_mov_b32_e32 v5, s9
	v_add_co_u32_e32 v6, vcc, s8, v2
	v_mov_b32_e32 v2, 0xff
	v_addc_co_u32_e32 v7, vcc, v5, v3, vcc
	v_and_b32_e32 v16, s33, v2
	v_cmp_gt_i16_e32 vcc, 11, v16
	s_cbranch_vccnz .LBB22_358
; %bb.309:
	v_cmp_lt_i16_e32 vcc, 25, v16
	s_mov_b64 s[50:51], -1
	s_mov_b64 s[48:49], s[44:45]
	s_cbranch_vccz .LBB22_337
; %bb.310:
	v_cmp_lt_i16_e32 vcc, 28, v16
	s_mov_b64 s[48:49], s[44:45]
	s_cbranch_vccz .LBB22_324
; %bb.311:
	v_cmp_lt_i16_e32 vcc, 43, v16
	s_mov_b64 s[48:49], s[44:45]
	s_cbranch_vccz .LBB22_320
; %bb.312:
	v_cmp_lt_i16_e32 vcc, 45, v16
	s_mov_b64 s[48:49], s[44:45]
	s_cbranch_vccz .LBB22_316
; %bb.313:
	v_cmp_eq_u16_e32 vcc, 46, v16
	s_mov_b64 s[48:49], -1
	s_cbranch_vccz .LBB22_315
; %bb.314:
	global_store_dword v[6:7], v11, off
	s_mov_b64 s[48:49], 0
.LBB22_315:
	s_mov_b64 s[50:51], 0
.LBB22_316:
	s_and_b64 vcc, exec, s[50:51]
	s_cbranch_vccz .LBB22_319
; %bb.317:
	v_cmp_eq_u16_e32 vcc, 44, v16
	s_mov_b64 s[48:49], -1
	s_cbranch_vccz .LBB22_319
; %bb.318:
	v_mov_b32_e32 v2, 0xff
	v_cndmask_b32_e64 v2, v14, v2, s[4:5]
	global_store_byte v[6:7], v2, off
	s_mov_b64 s[48:49], 0
.LBB22_319:
	s_mov_b64 s[50:51], 0
.LBB22_320:
	s_and_b64 vcc, exec, s[50:51]
	s_cbranch_vccz .LBB22_323
; %bb.321:
	v_cmp_eq_u16_e32 vcc, 29, v16
	s_mov_b64 s[48:49], -1
	s_cbranch_vccz .LBB22_323
; %bb.322:
	v_pk_mov_b32 v[2:3], s[14:15], s[14:15] op_sel:[0,1]
	global_store_dwordx2 v[6:7], v[2:3], off
	s_mov_b64 s[48:49], 0
.LBB22_323:
	s_mov_b64 s[50:51], 0
.LBB22_324:
	s_and_b64 vcc, exec, s[50:51]
	s_cbranch_vccz .LBB22_336
; %bb.325:
	v_cmp_gt_i16_e32 vcc, 27, v16
	s_mov_b64 s[4:5], -1
	s_cbranch_vccnz .LBB22_331
; %bb.326:
	v_cmp_lt_i16_e32 vcc, 27, v16
	s_cbranch_vccz .LBB22_328
; %bb.327:
	v_mov_b32_e32 v2, s11
	s_mov_b64 s[4:5], 0
	global_store_dword v[6:7], v2, off
.LBB22_328:
	s_andn2_b64 vcc, exec, s[4:5]
	s_cbranch_vccnz .LBB22_330
; %bb.329:
	v_mov_b32_e32 v2, s11
	global_store_short v[6:7], v2, off
.LBB22_330:
	s_mov_b64 s[4:5], 0
.LBB22_331:
	s_andn2_b64 vcc, exec, s[4:5]
	s_cbranch_vccnz .LBB22_336
; %bb.332:
	s_andn2_b64 vcc, exec, s[28:29]
	v_mov_b32_e32 v2, 0x80
	s_cbranch_vccnz .LBB22_335
; %bb.333:
	s_or_b64 s[4:5], s[2:3], s[30:31]
	s_andn2_b64 vcc, exec, s[4:5]
	v_mov_b32_e32 v2, 0
	s_cbranch_vccnz .LBB22_335
; %bb.334:
	v_mov_b32_e32 v2, s61
	v_cndmask_b32_e64 v2, v13, v2, s[2:3]
	v_or_b32_e32 v2, v2, v10
.LBB22_335:
	global_store_byte v[6:7], v2, off
.LBB22_336:
	s_mov_b64 s[50:51], 0
.LBB22_337:
	s_mov_b64 s[2:3], 0
	s_and_b64 vcc, exec, s[50:51]
	s_cbranch_vccz .LBB22_359
; %bb.338:
	v_cmp_lt_i16_e32 vcc, 22, v16
	s_mov_b64 s[4:5], -1
	s_cbranch_vccz .LBB22_351
; %bb.339:
	v_cmp_gt_i16_e32 vcc, 24, v16
	s_cbranch_vccnz .LBB22_348
; %bb.340:
	v_cmp_lt_i16_e32 vcc, 24, v16
	s_cbranch_vccz .LBB22_345
; %bb.341:
	s_andn2_b64 vcc, exec, s[24:25]
	v_mov_b32_e32 v2, 0x80
	s_cbranch_vccnz .LBB22_344
; %bb.342:
	s_or_b64 s[4:5], s[0:1], s[26:27]
	s_andn2_b64 vcc, exec, s[4:5]
	v_mov_b32_e32 v2, 0
	s_cbranch_vccnz .LBB22_344
; %bb.343:
	v_mov_b32_e32 v2, s59
	v_cndmask_b32_e64 v2, v12, v2, s[0:1]
	v_or_b32_e32 v2, v2, v10
.LBB22_344:
	s_mov_b64 s[4:5], 0
	global_store_byte v[6:7], v2, off
.LBB22_345:
	s_and_b64 vcc, exec, s[4:5]
	s_cbranch_vccz .LBB22_347
; %bb.346:
	s_and_b64 s[0:1], s[22:23], exec
	s_cselect_b32 s4, s58, s57
	s_and_b64 s[0:1], s[20:21], exec
	s_cselect_b32 s0, s60, s4
	v_or_b32_e32 v2, s0, v10
	global_store_byte v[6:7], v2, off
.LBB22_347:
	s_mov_b64 s[4:5], 0
.LBB22_348:
	s_andn2_b64 vcc, exec, s[4:5]
	s_cbranch_vccnz .LBB22_350
; %bb.349:
	s_and_b64 s[0:1], s[18:19], exec
	s_cselect_b32 s4, s55, s54
	s_and_b64 s[0:1], s[16:17], exec
	s_cselect_b32 s0, s56, s4
	v_or_b32_e32 v2, s0, v10
	global_store_byte v[6:7], v2, off
.LBB22_350:
	s_mov_b64 s[4:5], 0
.LBB22_351:
	s_andn2_b64 vcc, exec, s[4:5]
	s_mov_b64 s[0:1], 0
	s_cbranch_vccnz .LBB22_360
; %bb.352:
	v_cmp_lt_i16_e32 vcc, 14, v16
	s_mov_b64 s[4:5], -1
	s_cbranch_vccz .LBB22_356
; %bb.353:
	v_cmp_eq_u16_e32 vcc, 15, v16
	s_mov_b64 s[48:49], -1
	s_cbranch_vccz .LBB22_355
; %bb.354:
	global_store_short v[6:7], v11, off
	s_mov_b64 s[48:49], 0
.LBB22_355:
	s_mov_b64 s[4:5], 0
.LBB22_356:
	s_and_b64 vcc, exec, s[4:5]
	s_cbranch_vccz .LBB22_360
; %bb.357:
	v_cmp_ne_u16_e32 vcc, 11, v16
	s_andn2_b64 s[4:5], s[48:49], exec
	s_and_b64 s[16:17], vcc, exec
	s_mov_b64 s[0:1], -1
	s_or_b64 s[48:49], s[4:5], s[16:17]
	s_branch .LBB22_360
.LBB22_358:
	s_mov_b64 s[0:1], 0
	s_mov_b64 s[2:3], -1
	s_mov_b64 s[48:49], s[44:45]
	s_branch .LBB22_360
.LBB22_359:
	s_mov_b64 s[0:1], 0
.LBB22_360:
	s_and_b64 s[52:53], s[2:3], exec
	s_and_b64 s[50:51], s[0:1], exec
	s_andn2_b64 s[0:1], s[44:45], exec
	s_and_b64 s[2:3], s[48:49], exec
	s_or_b64 s[48:49], s[0:1], s[2:3]
.LBB22_361:
	s_or_b64 exec, exec, s[46:47]
	s_andn2_b64 s[0:1], s[44:45], exec
	s_and_b64 s[2:3], s[48:49], exec
	s_and_b64 s[52:53], s[52:53], exec
	;; [unrolled: 1-line block ×3, first 2 shown]
	s_or_b64 s[44:45], s[0:1], s[2:3]
.LBB22_362:
	s_or_b64 exec, exec, s[42:43]
	s_andn2_b64 s[0:1], s[38:39], exec
	s_and_b64 s[2:3], s[44:45], exec
	s_and_b64 s[42:43], s[52:53], exec
	;; [unrolled: 1-line block ×3, first 2 shown]
	s_or_b64 s[38:39], s[0:1], s[2:3]
.LBB22_363:
	s_or_b64 exec, exec, s[40:41]
	s_andn2_b64 s[0:1], s[34:35], exec
	s_and_b64 s[2:3], s[38:39], exec
	s_and_b64 s[42:43], s[42:43], exec
	;; [unrolled: 1-line block ×3, first 2 shown]
	s_or_b64 s[34:35], s[0:1], s[2:3]
	s_or_b64 exec, exec, s[36:37]
	s_mov_b64 s[0:1], 0
	s_and_saveexec_b64 s[2:3], s[34:35]
	s_cbranch_execz .LBB22_110
.LBB22_364:
	s_mov_b64 s[0:1], exec
	s_andn2_b64 s[40:41], s[40:41], exec
	s_trap 2
	s_or_b64 exec, exec, s[2:3]
	s_and_saveexec_b64 s[2:3], s[40:41]
	s_xor_b64 s[2:3], exec, s[2:3]
	s_cbranch_execnz .LBB22_111
.LBB22_365:
	s_or_b64 exec, exec, s[2:3]
	s_and_saveexec_b64 s[2:3], s[42:43]
	s_xor_b64 s[2:3], exec, s[2:3]
	s_cbranch_execz .LBB22_403
.LBB22_366:
	v_cmp_gt_i16_e32 vcc, 5, v16
	s_mov_b64 s[4:5], -1
	s_cbranch_vccnz .LBB22_387
; %bb.367:
	v_cmp_gt_i16_e32 vcc, 8, v16
	s_cbranch_vccnz .LBB22_377
; %bb.368:
	v_cmp_gt_i16_e32 vcc, 9, v16
	s_cbranch_vccnz .LBB22_374
; %bb.369:
	v_cmp_lt_i16_e32 vcc, 9, v16
	s_cbranch_vccz .LBB22_371
; %bb.370:
	v_mov_b32_e32 v2, 0
	v_mov_b32_e32 v3, v2
	s_mov_b64 s[4:5], 0
	global_store_dwordx4 v[6:7], v[0:3], off
.LBB22_371:
	s_andn2_b64 vcc, exec, s[4:5]
	s_cbranch_vccnz .LBB22_373
; %bb.372:
	v_mov_b32_e32 v5, 0
	global_store_dwordx2 v[6:7], v[4:5], off
.LBB22_373:
	s_mov_b64 s[4:5], 0
.LBB22_374:
	s_andn2_b64 vcc, exec, s[4:5]
	s_cbranch_vccnz .LBB22_376
; %bb.375:
	global_store_dword v[6:7], v8, off
.LBB22_376:
	s_mov_b64 s[4:5], 0
.LBB22_377:
	s_andn2_b64 vcc, exec, s[4:5]
	s_cbranch_vccnz .LBB22_386
; %bb.378:
	v_cmp_gt_i16_e32 vcc, 6, v16
	s_mov_b64 s[4:5], -1
	s_cbranch_vccnz .LBB22_384
; %bb.379:
	v_cmp_lt_i16_e32 vcc, 6, v16
	s_cbranch_vccz .LBB22_381
; %bb.380:
	s_mov_b64 s[4:5], 0
	global_store_dwordx2 v[6:7], v[0:1], off
.LBB22_381:
	s_andn2_b64 vcc, exec, s[4:5]
	s_cbranch_vccnz .LBB22_383
; %bb.382:
	global_store_dword v[6:7], v4, off
.LBB22_383:
	s_mov_b64 s[4:5], 0
.LBB22_384:
	s_andn2_b64 vcc, exec, s[4:5]
	s_cbranch_vccnz .LBB22_386
; %bb.385:
	global_store_short v[6:7], v8, off
.LBB22_386:
	s_mov_b64 s[4:5], 0
.LBB22_387:
	s_andn2_b64 vcc, exec, s[4:5]
	s_cbranch_vccnz .LBB22_403
; %bb.388:
	v_cmp_gt_i16_e32 vcc, 2, v16
	s_mov_b64 s[4:5], -1
	s_cbranch_vccnz .LBB22_398
; %bb.389:
	v_cmp_gt_i16_e32 vcc, 3, v16
	s_cbranch_vccnz .LBB22_395
; %bb.390:
	v_cmp_lt_i16_e32 vcc, 3, v16
	s_cbranch_vccz .LBB22_392
; %bb.391:
	v_pk_mov_b32 v[0:1], s[14:15], s[14:15] op_sel:[0,1]
	s_mov_b64 s[4:5], 0
	global_store_dwordx2 v[6:7], v[0:1], off
.LBB22_392:
	s_andn2_b64 vcc, exec, s[4:5]
	s_cbranch_vccnz .LBB22_394
; %bb.393:
	v_mov_b32_e32 v0, s11
	global_store_dword v[6:7], v0, off
.LBB22_394:
	s_mov_b64 s[4:5], 0
.LBB22_395:
	s_andn2_b64 vcc, exec, s[4:5]
	s_cbranch_vccnz .LBB22_397
; %bb.396:
	v_mov_b32_e32 v0, s11
	global_store_short v[6:7], v0, off
.LBB22_397:
	s_mov_b64 s[4:5], 0
.LBB22_398:
	s_andn2_b64 vcc, exec, s[4:5]
	s_cbranch_vccnz .LBB22_403
; %bb.399:
	v_cmp_lt_i16_e32 vcc, 0, v16
	s_mov_b64 s[4:5], -1
	s_cbranch_vccz .LBB22_401
; %bb.400:
	v_mov_b32_e32 v0, s11
	s_mov_b64 s[4:5], 0
	global_store_byte v[6:7], v0, off
.LBB22_401:
	s_andn2_b64 vcc, exec, s[4:5]
	s_cbranch_vccnz .LBB22_403
; %bb.402:
	v_mov_b32_e32 v0, s11
	global_store_byte v[6:7], v0, off
.LBB22_403:
	s_or_b64 exec, exec, s[2:3]
	s_and_b64 s[0:1], s[0:1], exec
                                        ; implicit-def: $vgpr15
.LBB22_404:
	s_or_saveexec_b64 s[2:3], s[12:13]
	s_mov_b64 s[12:13], 0
                                        ; implicit-def: $vgpr2
                                        ; implicit-def: $vgpr0_vgpr1
	s_xor_b64 exec, exec, s[2:3]
	s_cbranch_execz .LBB22_412
; %bb.405:
	v_mul_lo_u32 v2, s10, v15
	v_ashrrev_i32_e32 v1, 31, v2
	v_mov_b32_e32 v3, s9
	v_add_co_u32_e32 v0, vcc, s8, v2
	v_addc_co_u32_e32 v1, vcc, v3, v1, vcc
	v_mov_b32_e32 v3, 11
	v_cmp_lt_i16_sdwa s[4:5], s33, v3 src0_sel:BYTE_0 src1_sel:DWORD
	s_and_b64 vcc, exec, s[4:5]
	s_cbranch_vccnz .LBB22_415
; %bb.406:
	v_mov_b32_e32 v3, 25
	v_cmp_gt_i16_sdwa s[4:5], s33, v3 src0_sel:BYTE_0 src1_sel:DWORD
	s_mov_b64 s[14:15], -1
	s_and_b64 vcc, exec, s[4:5]
	s_mov_b64 s[4:5], 0
	s_cbranch_vccz .LBB22_447
; %bb.407:
	v_mov_b32_e32 v3, 28
	v_cmp_gt_i16_sdwa s[4:5], s33, v3 src0_sel:BYTE_0 src1_sel:DWORD
	s_and_b64 vcc, exec, s[4:5]
	s_cbranch_vccz .LBB22_417
; %bb.408:
	v_mov_b32_e32 v3, 43
	v_cmp_gt_i16_sdwa s[4:5], s33, v3 src0_sel:BYTE_0 src1_sel:DWORD
	s_and_b64 vcc, exec, s[4:5]
	;; [unrolled: 5-line block ×3, first 2 shown]
	s_cbranch_vccz .LBB22_419
; %bb.410:
	v_mov_b32_e32 v3, 46
	v_cmp_eq_u16_sdwa s[12:13], s33, v3 src0_sel:BYTE_0 src1_sel:DWORD
	s_mov_b64 s[4:5], -1
	s_mov_b64 s[14:15], 0
	s_and_b64 vcc, exec, s[12:13]
	s_mov_b64 s[12:13], 0
	s_cbranch_vccz .LBB22_420
; %bb.411:
	v_cvt_f32_i32_e32 v3, s11
	s_mov_b64 s[4:5], 0
	s_mov_b64 s[12:13], -1
	v_bfe_u32 v4, v3, 16, 1
	v_add_u32_e32 v3, v3, v4
	v_add_u32_e32 v3, 0x7fff, v3
	v_lshrrev_b32_e32 v3, 16, v3
	global_store_dword v[0:1], v3, off
	s_branch .LBB22_420
.LBB22_412:
	s_or_b64 exec, exec, s[2:3]
	s_and_saveexec_b64 s[2:3], s[0:1]
	s_cbranch_execz .LBB22_841
.LBB22_413:
	; divergent unreachable
	s_or_b64 exec, exec, s[2:3]
	s_and_saveexec_b64 s[0:1], s[6:7]
	s_xor_b64 s[0:1], exec, s[0:1]
	s_cbranch_execnz .LBB22_842
.LBB22_414:
	s_or_b64 exec, exec, s[0:1]
	s_and_saveexec_b64 s[0:1], s[12:13]
	s_cbranch_execnz .LBB22_843
	s_branch .LBB22_880
.LBB22_415:
	s_mov_b64 s[4:5], s[0:1]
	s_cbranch_execnz .LBB22_497
.LBB22_416:
	s_andn2_b64 vcc, exec, s[12:13]
	s_cbranch_vccz .LBB22_535
	s_branch .LBB22_839
.LBB22_417:
	s_mov_b64 s[4:5], 0
	s_and_b64 vcc, exec, s[14:15]
	s_cbranch_vccz .LBB22_446
	s_branch .LBB22_429
.LBB22_418:
	s_mov_b64 s[4:5], 0
	s_and_b64 vcc, exec, s[14:15]
	s_cbranch_vccnz .LBB22_426
	s_branch .LBB22_428
.LBB22_419:
	s_mov_b64 s[4:5], 0
.LBB22_420:
	s_and_b64 vcc, exec, s[14:15]
	s_cbranch_vccz .LBB22_425
; %bb.421:
	v_mov_b32_e32 v3, 44
	v_cmp_eq_u16_sdwa s[14:15], s33, v3 src0_sel:BYTE_0 src1_sel:DWORD
	s_mov_b64 s[4:5], -1
	s_and_b64 vcc, exec, s[14:15]
	s_cbranch_vccz .LBB22_425
; %bb.422:
	v_cvt_f32_i32_e32 v3, s11
	v_mov_b32_e32 v4, 0xff
	v_readfirstlane_b32 s4, v3
	s_bfe_u32 s5, s4, 0x80017
	s_cmpk_eq_i32 s5, 0xff
	s_cbranch_scc1 .LBB22_424
; %bb.423:
	s_bitcmp1_b32 s4, 22
	s_cselect_b64 s[12:13], -1, 0
	s_and_b32 s4, s4, 0x3fffff
	s_or_b32 s4, s5, s4
	s_cmp_lg_u32 s4, 0
	s_cselect_b64 s[4:5], -1, 0
	s_and_b64 s[4:5], s[12:13], s[4:5]
	v_lshrrev_b32_e32 v3, 23, v3
	v_cndmask_b32_e64 v4, 0, 1, s[4:5]
	v_add_u32_e32 v4, v3, v4
.LBB22_424:
	s_mov_b64 s[4:5], 0
	s_mov_b64 s[12:13], -1
	global_store_byte v[0:1], v4, off
.LBB22_425:
	s_branch .LBB22_428
.LBB22_426:
	v_mov_b32_e32 v3, 29
	v_cmp_eq_u16_sdwa s[14:15], s33, v3 src0_sel:BYTE_0 src1_sel:DWORD
	s_mov_b64 s[4:5], -1
	s_and_b64 vcc, exec, s[14:15]
	s_cbranch_vccz .LBB22_428
; %bb.427:
	s_ashr_i32 s4, s11, 31
	v_mov_b32_e32 v4, s11
	v_mov_b32_e32 v5, s4
	global_store_dwordx2 v[0:1], v[4:5], off
	s_mov_b64 s[4:5], 0
	s_mov_b64 s[12:13], -1
.LBB22_428:
	s_branch .LBB22_446
.LBB22_429:
	v_mov_b32_e32 v3, 27
	v_cmp_lt_i16_sdwa s[14:15], s33, v3 src0_sel:BYTE_0 src1_sel:DWORD
	s_mov_b64 s[12:13], -1
	s_and_b64 vcc, exec, s[14:15]
	s_cbranch_vccnz .LBB22_435
; %bb.430:
	v_cmp_gt_i16_sdwa s[14:15], s33, v3 src0_sel:BYTE_0 src1_sel:DWORD
	s_and_b64 vcc, exec, s[14:15]
	s_cbranch_vccz .LBB22_432
; %bb.431:
	v_mov_b32_e32 v3, s11
	s_mov_b64 s[12:13], 0
	global_store_dword v[0:1], v3, off
.LBB22_432:
	s_andn2_b64 vcc, exec, s[12:13]
	s_cbranch_vccnz .LBB22_434
; %bb.433:
	v_mov_b32_e32 v3, s11
	global_store_short v[0:1], v3, off
.LBB22_434:
	s_mov_b64 s[12:13], 0
.LBB22_435:
	s_andn2_b64 vcc, exec, s[12:13]
	s_cbranch_vccnz .LBB22_445
; %bb.436:
	v_cvt_f32_i32_e32 v3, s11
	v_mov_b32_e32 v4, 0x80
	v_readfirstlane_b32 s16, v3
	s_and_b32 s12, s16, 0x7fffffff
	s_cmp_gt_u32 s12, 0x437fffff
	s_cbranch_scc1 .LBB22_444
; %bb.437:
	s_cmp_gt_u32 s12, 0x3bffffff
	s_cbranch_scc0 .LBB22_439
; %bb.438:
	s_bfe_u32 s12, s16, 0x10014
	s_add_i32 s12, s16, s12
	s_add_i32 s12, s12, 0x487ffff
	s_lshr_b32 s17, s12, 20
	s_mov_b64 s[14:15], 0
	s_mov_b64 s[12:13], -1
	s_branch .LBB22_440
.LBB22_439:
	s_mov_b64 s[14:15], -1
	s_mov_b64 s[12:13], 0
                                        ; implicit-def: $sgpr17
.LBB22_440:
	s_andn2_b64 vcc, exec, s[14:15]
	v_mov_b32_e32 v3, s17
                                        ; implicit-def: $sgpr14
	s_cbranch_vccnz .LBB22_442
; %bb.441:
	v_mov_b32_e32 v3, 0x46000000
	v_add_f32_e64 v3, |s16|, v3
	v_and_b32_e32 v3, 0xff, v3
	s_mov_b32 s14, 0
	v_cmp_ne_u32_e64 s[12:13], 0, v3
.LBB22_442:
	s_andn2_b64 vcc, exec, s[12:13]
	v_mov_b32_e32 v4, s14
	s_cbranch_vccnz .LBB22_444
; %bb.443:
	s_lshr_b32 s12, s16, 24
	s_and_b32 s12, s12, 0x80
	v_or_b32_e32 v4, s12, v3
.LBB22_444:
	global_store_byte v[0:1], v4, off
.LBB22_445:
	s_mov_b64 s[12:13], -1
.LBB22_446:
	s_mov_b64 s[14:15], 0
.LBB22_447:
	s_and_b64 vcc, exec, s[14:15]
	s_cbranch_vccz .LBB22_493
; %bb.448:
	v_mov_b32_e32 v3, 22
	v_cmp_gt_i16_sdwa s[14:15], s33, v3 src0_sel:BYTE_0 src1_sel:DWORD
	s_mov_b64 s[6:7], -1
	s_and_b64 vcc, exec, s[14:15]
	s_cbranch_vccz .LBB22_486
; %bb.449:
	v_mov_b32_e32 v3, 24
	v_cmp_lt_i16_sdwa s[12:13], s33, v3 src0_sel:BYTE_0 src1_sel:DWORD
	s_and_b64 vcc, exec, s[12:13]
	s_cbranch_vccnz .LBB22_473
; %bb.450:
	v_cmp_gt_i16_sdwa s[12:13], s33, v3 src0_sel:BYTE_0 src1_sel:DWORD
	s_and_b64 vcc, exec, s[12:13]
	s_cbranch_vccz .LBB22_460
; %bb.451:
	v_cvt_f32_i32_e32 v3, s11
	v_mov_b32_e32 v4, 0x80
	v_readfirstlane_b32 s14, v3
	s_and_b32 s6, s14, 0x7fffffff
	s_cmp_gt_u32 s6, 0x477fffff
	s_cbranch_scc1 .LBB22_459
; %bb.452:
	s_cmp_gt_u32 s6, 0x37ffffff
	s_cbranch_scc0 .LBB22_454
; %bb.453:
	s_bfe_u32 s6, s14, 0x10015
	s_add_i32 s6, s14, s6
	s_add_i32 s6, s6, 0x88fffff
	s_lshr_b32 s15, s6, 21
	s_mov_b64 s[12:13], 0
	s_mov_b64 s[6:7], -1
	s_branch .LBB22_455
.LBB22_454:
	s_mov_b64 s[12:13], -1
	s_mov_b64 s[6:7], 0
                                        ; implicit-def: $sgpr15
.LBB22_455:
	s_andn2_b64 vcc, exec, s[12:13]
	v_mov_b32_e32 v3, s15
                                        ; implicit-def: $sgpr12
	s_cbranch_vccnz .LBB22_457
; %bb.456:
	v_mov_b32_e32 v3, 0x42800000
	v_add_f32_e64 v3, |s14|, v3
	v_and_b32_e32 v3, 0xff, v3
	s_mov_b32 s12, 0
	v_cmp_ne_u32_e64 s[6:7], 0, v3
.LBB22_457:
	s_andn2_b64 vcc, exec, s[6:7]
	v_mov_b32_e32 v4, s12
	s_cbranch_vccnz .LBB22_459
; %bb.458:
	s_lshr_b32 s6, s14, 24
	s_and_b32 s6, s6, 0x80
	v_or_b32_e32 v4, s6, v3
.LBB22_459:
	s_mov_b64 s[6:7], 0
	global_store_byte v[0:1], v4, off
.LBB22_460:
	s_and_b64 vcc, exec, s[6:7]
	s_cbranch_vccz .LBB22_472
; %bb.461:
	v_cvt_f32_i32_e32 v3, s11
	v_readfirstlane_b32 s12, v3
	s_and_b32 s13, s12, 0x7fffffff
	s_cmp_lt_u32 s13, 0x43f00000
	s_cbranch_scc0 .LBB22_464
; %bb.462:
	s_cmp_gt_u32 s13, 0x3c7fffff
	s_cbranch_scc0 .LBB22_465
; %bb.463:
	s_bfe_u32 s6, s12, 0x10014
	s_add_i32 s6, s12, s6
	s_add_i32 s6, s6, 0x407ffff
	s_lshr_b32 s7, s6, 20
	s_and_b32 s6, s6, 0xff00000
	s_cmp_lg_u32 s6, 0x7f00000
	s_cselect_b32 s14, s7, 0x7e
	s_mov_b64 s[6:7], 0
	s_branch .LBB22_466
.LBB22_464:
	s_mov_b64 s[6:7], -1
                                        ; implicit-def: $vgpr4
	s_branch .LBB22_469
.LBB22_465:
	s_mov_b64 s[6:7], -1
                                        ; implicit-def: $sgpr14
.LBB22_466:
	s_andn2_b64 vcc, exec, s[6:7]
	v_mov_b32_e32 v4, s14
	s_cbranch_vccnz .LBB22_468
; %bb.467:
	s_mov_b32 s6, 0x46800000
	v_add_f32_e64 v4, |v3|, s6
.LBB22_468:
	s_mov_b64 s[6:7], 0
.LBB22_469:
	s_andn2_b64 vcc, exec, s[6:7]
	s_cbranch_vccnz .LBB22_471
; %bb.470:
	s_cmp_gt_u32 s13, 0x7f800000
	s_movk_i32 s6, 0x7f
	s_cselect_b32 s6, s6, 0x7e
	v_mov_b32_e32 v4, s6
.LBB22_471:
	s_lshr_b32 s6, s12, 24
	s_and_b32 s6, s6, 0x80
	v_or_b32_e32 v3, s6, v4
	global_store_byte v[0:1], v3, off
.LBB22_472:
	s_mov_b64 s[6:7], 0
.LBB22_473:
	s_andn2_b64 vcc, exec, s[6:7]
	s_cbranch_vccnz .LBB22_485
; %bb.474:
	v_cvt_f32_i32_e32 v3, s11
	v_readfirstlane_b32 s12, v3
	s_and_b32 s13, s12, 0x7fffffff
	s_cmp_lt_u32 s13, 0x47800000
	s_cbranch_scc0 .LBB22_477
; %bb.475:
	s_cmp_gt_u32 s13, 0x387fffff
	s_cbranch_scc0 .LBB22_478
; %bb.476:
	s_bfe_u32 s6, s12, 0x10015
	s_add_i32 s6, s12, s6
	s_add_i32 s6, s6, 0x80fffff
	s_lshr_b32 s14, s6, 21
	s_mov_b64 s[6:7], 0
	s_branch .LBB22_479
.LBB22_477:
	s_mov_b64 s[6:7], -1
                                        ; implicit-def: $vgpr4
	s_branch .LBB22_482
.LBB22_478:
	s_mov_b64 s[6:7], -1
                                        ; implicit-def: $sgpr14
.LBB22_479:
	s_andn2_b64 vcc, exec, s[6:7]
	v_mov_b32_e32 v4, s14
	s_cbranch_vccnz .LBB22_481
; %bb.480:
	s_mov_b32 s6, 0x43000000
	v_add_f32_e64 v4, |v3|, s6
.LBB22_481:
	s_mov_b64 s[6:7], 0
.LBB22_482:
	s_andn2_b64 vcc, exec, s[6:7]
	s_cbranch_vccnz .LBB22_484
; %bb.483:
	s_cmp_gt_u32 s13, 0x7f800000
	s_movk_i32 s6, 0x7f
	s_cselect_b32 s6, s6, 0x7c
	v_mov_b32_e32 v4, s6
.LBB22_484:
	s_lshr_b32 s6, s12, 24
	s_and_b32 s6, s6, 0x80
	v_or_b32_e32 v3, s6, v4
	global_store_byte v[0:1], v3, off
.LBB22_485:
	s_mov_b64 s[6:7], 0
	s_mov_b64 s[12:13], -1
.LBB22_486:
	s_andn2_b64 vcc, exec, s[6:7]
	s_mov_b64 s[6:7], 0
	s_cbranch_vccnz .LBB22_493
; %bb.487:
	v_mov_b32_e32 v3, 14
	v_cmp_gt_i16_sdwa s[6:7], s33, v3 src0_sel:BYTE_0 src1_sel:DWORD
	s_mov_b64 s[14:15], -1
	s_and_b64 vcc, exec, s[6:7]
	s_cbranch_vccz .LBB22_491
; %bb.488:
	v_mov_b32_e32 v3, 15
	v_cmp_eq_u16_sdwa s[6:7], s33, v3 src0_sel:BYTE_0 src1_sel:DWORD
	s_mov_b64 s[4:5], -1
	s_and_b64 vcc, exec, s[6:7]
	s_cbranch_vccz .LBB22_490
; %bb.489:
	v_cvt_f32_i32_e32 v3, s11
	s_mov_b64 s[4:5], 0
	s_mov_b64 s[12:13], -1
	v_bfe_u32 v4, v3, 16, 1
	v_add_u32_e32 v3, v3, v4
	v_add_u32_e32 v3, 0x7fff, v3
	global_store_short_d16_hi v[0:1], v3, off
.LBB22_490:
	s_mov_b64 s[14:15], 0
.LBB22_491:
	s_mov_b64 s[6:7], 0
	s_and_b64 vcc, exec, s[14:15]
	s_cbranch_vccz .LBB22_493
; %bb.492:
	v_mov_b32_e32 v3, 11
	v_cmp_ne_u16_sdwa s[4:5], s33, v3 src0_sel:BYTE_0 src1_sel:DWORD
	s_mov_b64 s[6:7], -1
.LBB22_493:
	s_and_b64 vcc, exec, s[4:5]
	s_mov_b64 s[4:5], s[0:1]
	s_cbranch_vccnz .LBB22_546
; %bb.494:
	s_andn2_b64 vcc, exec, s[6:7]
	s_cbranch_vccnz .LBB22_496
.LBB22_495:
	s_cmp_lg_u32 s11, 0
	s_cselect_b64 s[6:7], -1, 0
	v_cndmask_b32_e64 v3, 0, 1, s[6:7]
	s_mov_b64 s[12:13], -1
	global_store_byte v[0:1], v3, off
.LBB22_496:
	s_branch .LBB22_416
.LBB22_497:
	v_mov_b32_e32 v3, 5
	v_cmp_lt_i16_sdwa s[12:13], s33, v3 src0_sel:BYTE_0 src1_sel:DWORD
	s_mov_b64 s[6:7], -1
	s_and_b64 vcc, exec, s[12:13]
	s_cbranch_vccnz .LBB22_518
; %bb.498:
	v_mov_b32_e32 v3, 8
	v_cmp_lt_i16_sdwa s[12:13], s33, v3 src0_sel:BYTE_0 src1_sel:DWORD
	s_and_b64 vcc, exec, s[12:13]
	s_cbranch_vccnz .LBB22_508
; %bb.499:
	v_mov_b32_e32 v3, 9
	v_cmp_lt_i16_sdwa s[12:13], s33, v3 src0_sel:BYTE_0 src1_sel:DWORD
	s_and_b64 vcc, exec, s[12:13]
	s_cbranch_vccnz .LBB22_505
; %bb.500:
	v_cmp_gt_i16_sdwa s[12:13], s33, v3 src0_sel:BYTE_0 src1_sel:DWORD
	s_and_b64 vcc, exec, s[12:13]
	s_cbranch_vccz .LBB22_502
; %bb.501:
	v_mov_b32_e32 v6, 0
	v_cvt_f64_i32_e32 v[4:5], s11
	v_mov_b32_e32 v7, v6
	global_store_dwordx4 v[0:1], v[4:7], off
	s_mov_b64 s[6:7], 0
.LBB22_502:
	s_andn2_b64 vcc, exec, s[6:7]
	s_cbranch_vccnz .LBB22_504
; %bb.503:
	v_cvt_f32_i32_e32 v4, s11
	v_mov_b32_e32 v5, 0
	global_store_dwordx2 v[0:1], v[4:5], off
.LBB22_504:
	s_mov_b64 s[6:7], 0
.LBB22_505:
	s_andn2_b64 vcc, exec, s[6:7]
	s_cbranch_vccnz .LBB22_507
; %bb.506:
	v_cvt_f32_i32_e32 v3, s11
	v_cvt_f16_f32_e32 v3, v3
	global_store_dword v[0:1], v3, off
.LBB22_507:
	s_mov_b64 s[6:7], 0
.LBB22_508:
	s_andn2_b64 vcc, exec, s[6:7]
	s_cbranch_vccnz .LBB22_517
; %bb.509:
	v_mov_b32_e32 v3, 6
	v_cmp_lt_i16_sdwa s[12:13], s33, v3 src0_sel:BYTE_0 src1_sel:DWORD
	s_mov_b64 s[6:7], -1
	s_and_b64 vcc, exec, s[12:13]
	s_cbranch_vccnz .LBB22_515
; %bb.510:
	v_cmp_gt_i16_sdwa s[12:13], s33, v3 src0_sel:BYTE_0 src1_sel:DWORD
	s_and_b64 vcc, exec, s[12:13]
	s_cbranch_vccz .LBB22_512
; %bb.511:
	v_cvt_f64_i32_e32 v[4:5], s11
	global_store_dwordx2 v[0:1], v[4:5], off
	s_mov_b64 s[6:7], 0
.LBB22_512:
	s_andn2_b64 vcc, exec, s[6:7]
	s_cbranch_vccnz .LBB22_514
; %bb.513:
	v_cvt_f32_i32_e32 v3, s11
	global_store_dword v[0:1], v3, off
.LBB22_514:
	s_mov_b64 s[6:7], 0
.LBB22_515:
	s_andn2_b64 vcc, exec, s[6:7]
	s_cbranch_vccnz .LBB22_517
; %bb.516:
	v_cvt_f32_i32_e32 v3, s11
	v_cvt_f16_f32_e32 v3, v3
	global_store_short v[0:1], v3, off
.LBB22_517:
	s_mov_b64 s[6:7], 0
.LBB22_518:
	s_andn2_b64 vcc, exec, s[6:7]
	s_cbranch_vccnz .LBB22_534
; %bb.519:
	v_mov_b32_e32 v3, 2
	v_cmp_lt_i16_sdwa s[12:13], s33, v3 src0_sel:BYTE_0 src1_sel:DWORD
	s_mov_b64 s[6:7], -1
	s_and_b64 vcc, exec, s[12:13]
	s_cbranch_vccnz .LBB22_529
; %bb.520:
	v_mov_b32_e32 v3, 3
	v_cmp_lt_i16_sdwa s[12:13], s33, v3 src0_sel:BYTE_0 src1_sel:DWORD
	s_and_b64 vcc, exec, s[12:13]
	s_cbranch_vccnz .LBB22_526
; %bb.521:
	v_cmp_gt_i16_sdwa s[12:13], s33, v3 src0_sel:BYTE_0 src1_sel:DWORD
	s_and_b64 vcc, exec, s[12:13]
	s_cbranch_vccz .LBB22_523
; %bb.522:
	s_ashr_i32 s6, s11, 31
	v_mov_b32_e32 v4, s11
	v_mov_b32_e32 v5, s6
	global_store_dwordx2 v[0:1], v[4:5], off
	s_mov_b64 s[6:7], 0
.LBB22_523:
	s_andn2_b64 vcc, exec, s[6:7]
	s_cbranch_vccnz .LBB22_525
; %bb.524:
	v_mov_b32_e32 v3, s11
	global_store_dword v[0:1], v3, off
.LBB22_525:
	s_mov_b64 s[6:7], 0
.LBB22_526:
	s_andn2_b64 vcc, exec, s[6:7]
	s_cbranch_vccnz .LBB22_528
; %bb.527:
	v_mov_b32_e32 v3, s11
	global_store_short v[0:1], v3, off
.LBB22_528:
	s_mov_b64 s[6:7], 0
.LBB22_529:
	s_andn2_b64 vcc, exec, s[6:7]
	s_cbranch_vccnz .LBB22_534
; %bb.530:
	v_mov_b32_e32 v3, 0
	v_cmp_gt_i16_sdwa s[12:13], s33, v3 src0_sel:BYTE_0 src1_sel:DWORD
	s_mov_b64 s[6:7], -1
	s_and_b64 vcc, exec, s[12:13]
	s_cbranch_vccz .LBB22_532
; %bb.531:
	v_mov_b32_e32 v3, s11
	global_store_byte v[0:1], v3, off
	s_mov_b64 s[6:7], 0
.LBB22_532:
	s_andn2_b64 vcc, exec, s[6:7]
	s_cbranch_vccnz .LBB22_534
; %bb.533:
	v_mov_b32_e32 v3, s11
	global_store_byte v[0:1], v3, off
.LBB22_534:
.LBB22_535:
	s_lshl_b32 s10, s10, 7
	v_add_u32_e32 v2, s10, v2
	v_ashrrev_i32_e32 v1, 31, v2
	v_mov_b32_e32 v3, s9
	v_add_co_u32_e32 v0, vcc, s8, v2
	v_addc_co_u32_e32 v1, vcc, v3, v1, vcc
	v_mov_b32_e32 v3, 11
	v_cmp_lt_i16_sdwa s[6:7], s33, v3 src0_sel:BYTE_0 src1_sel:DWORD
	s_and_b64 vcc, exec, s[6:7]
	s_cbranch_vccnz .LBB22_542
; %bb.536:
	v_mov_b32_e32 v3, 25
	v_cmp_gt_i16_sdwa s[6:7], s33, v3 src0_sel:BYTE_0 src1_sel:DWORD
	s_mov_b64 s[16:17], -1
	s_mov_b64 s[12:13], 0
	s_and_b64 vcc, exec, s[6:7]
	s_mov_b64 s[14:15], 0
	s_mov_b64 s[6:7], 0
	s_cbranch_vccz .LBB22_577
; %bb.537:
	v_mov_b32_e32 v3, 28
	v_cmp_gt_i16_sdwa s[6:7], s33, v3 src0_sel:BYTE_0 src1_sel:DWORD
	s_and_b64 vcc, exec, s[6:7]
	s_cbranch_vccz .LBB22_544
; %bb.538:
	v_mov_b32_e32 v3, 43
	v_cmp_gt_i16_sdwa s[6:7], s33, v3 src0_sel:BYTE_0 src1_sel:DWORD
	s_and_b64 vcc, exec, s[6:7]
	;; [unrolled: 5-line block ×3, first 2 shown]
	s_cbranch_vccz .LBB22_547
; %bb.540:
	v_mov_b32_e32 v3, 46
	v_cmp_eq_u16_sdwa s[14:15], s33, v3 src0_sel:BYTE_0 src1_sel:DWORD
	s_mov_b64 s[6:7], -1
	s_mov_b64 s[16:17], 0
	s_and_b64 vcc, exec, s[14:15]
	s_mov_b64 s[14:15], 0
	s_cbranch_vccz .LBB22_548
; %bb.541:
	v_cvt_f32_i32_e32 v3, s11
	s_mov_b64 s[6:7], 0
	s_mov_b64 s[14:15], -1
	v_bfe_u32 v4, v3, 16, 1
	v_add_u32_e32 v3, v3, v4
	v_add_u32_e32 v3, 0x7fff, v3
	v_lshrrev_b32_e32 v3, 16, v3
	global_store_dword v[0:1], v3, off
	s_branch .LBB22_548
.LBB22_542:
	s_mov_b64 s[14:15], 0
	s_cbranch_execnz .LBB22_627
.LBB22_543:
	s_andn2_b64 vcc, exec, s[14:15]
	s_cbranch_vccz .LBB22_665
	s_branch .LBB22_839
.LBB22_544:
	s_mov_b64 s[6:7], 0
	s_branch .LBB22_558
.LBB22_545:
	s_mov_b64 s[6:7], 0
	s_branch .LBB22_554
.LBB22_546:
	s_or_b64 s[4:5], s[0:1], exec
	s_trap 2
	s_cbranch_execz .LBB22_495
	s_branch .LBB22_496
.LBB22_547:
	s_mov_b64 s[6:7], 0
.LBB22_548:
	s_and_b64 vcc, exec, s[16:17]
	s_cbranch_vccz .LBB22_553
; %bb.549:
	v_mov_b32_e32 v3, 44
	v_cmp_eq_u16_sdwa s[16:17], s33, v3 src0_sel:BYTE_0 src1_sel:DWORD
	s_mov_b64 s[6:7], -1
	s_and_b64 vcc, exec, s[16:17]
	s_cbranch_vccz .LBB22_553
; %bb.550:
	v_cvt_f32_i32_e32 v3, s11
	v_mov_b32_e32 v4, 0xff
	v_readfirstlane_b32 s6, v3
	s_bfe_u32 s7, s6, 0x80017
	s_cmpk_eq_i32 s7, 0xff
	s_cbranch_scc1 .LBB22_552
; %bb.551:
	s_bitcmp1_b32 s6, 22
	s_cselect_b64 s[14:15], -1, 0
	s_and_b32 s6, s6, 0x3fffff
	s_or_b32 s6, s7, s6
	s_cmp_lg_u32 s6, 0
	s_cselect_b64 s[6:7], -1, 0
	s_and_b64 s[6:7], s[14:15], s[6:7]
	v_lshrrev_b32_e32 v3, 23, v3
	v_cndmask_b32_e64 v4, 0, 1, s[6:7]
	v_add_u32_e32 v4, v3, v4
.LBB22_552:
	s_mov_b64 s[6:7], 0
	s_mov_b64 s[14:15], -1
	global_store_byte v[0:1], v4, off
.LBB22_553:
	s_mov_b64 s[16:17], 0
.LBB22_554:
	s_and_b64 vcc, exec, s[16:17]
	s_cbranch_vccz .LBB22_557
; %bb.555:
	v_mov_b32_e32 v3, 29
	v_cmp_eq_u16_sdwa s[16:17], s33, v3 src0_sel:BYTE_0 src1_sel:DWORD
	s_mov_b64 s[6:7], -1
	s_and_b64 vcc, exec, s[16:17]
	s_cbranch_vccz .LBB22_557
; %bb.556:
	s_ashr_i32 s6, s11, 31
	v_mov_b32_e32 v4, s11
	v_mov_b32_e32 v5, s6
	global_store_dwordx2 v[0:1], v[4:5], off
	s_mov_b64 s[6:7], 0
	s_mov_b64 s[14:15], -1
.LBB22_557:
	s_mov_b64 s[16:17], 0
.LBB22_558:
	s_and_b64 vcc, exec, s[16:17]
	s_cbranch_vccz .LBB22_576
; %bb.559:
	v_mov_b32_e32 v3, 27
	v_cmp_lt_i16_sdwa s[16:17], s33, v3 src0_sel:BYTE_0 src1_sel:DWORD
	s_mov_b64 s[14:15], -1
	s_and_b64 vcc, exec, s[16:17]
	s_cbranch_vccnz .LBB22_565
; %bb.560:
	v_cmp_gt_i16_sdwa s[16:17], s33, v3 src0_sel:BYTE_0 src1_sel:DWORD
	s_and_b64 vcc, exec, s[16:17]
	s_cbranch_vccz .LBB22_562
; %bb.561:
	v_mov_b32_e32 v3, s11
	s_mov_b64 s[14:15], 0
	global_store_dword v[0:1], v3, off
.LBB22_562:
	s_andn2_b64 vcc, exec, s[14:15]
	s_cbranch_vccnz .LBB22_564
; %bb.563:
	v_mov_b32_e32 v3, s11
	global_store_short v[0:1], v3, off
.LBB22_564:
	s_mov_b64 s[14:15], 0
.LBB22_565:
	s_andn2_b64 vcc, exec, s[14:15]
	s_cbranch_vccnz .LBB22_575
; %bb.566:
	v_cvt_f32_i32_e32 v3, s11
	v_mov_b32_e32 v4, 0x80
	v_readfirstlane_b32 s18, v3
	s_and_b32 s14, s18, 0x7fffffff
	s_cmp_gt_u32 s14, 0x437fffff
	s_cbranch_scc1 .LBB22_574
; %bb.567:
	s_cmp_gt_u32 s14, 0x3bffffff
	s_cbranch_scc0 .LBB22_569
; %bb.568:
	s_bfe_u32 s14, s18, 0x10014
	s_add_i32 s14, s18, s14
	s_add_i32 s14, s14, 0x487ffff
	s_lshr_b32 s19, s14, 20
	s_mov_b64 s[16:17], 0
	s_mov_b64 s[14:15], -1
	s_branch .LBB22_570
.LBB22_569:
	s_mov_b64 s[16:17], -1
	s_mov_b64 s[14:15], 0
                                        ; implicit-def: $sgpr19
.LBB22_570:
	s_andn2_b64 vcc, exec, s[16:17]
	v_mov_b32_e32 v3, s19
                                        ; implicit-def: $sgpr16
	s_cbranch_vccnz .LBB22_572
; %bb.571:
	v_mov_b32_e32 v3, 0x46000000
	v_add_f32_e64 v3, |s18|, v3
	v_and_b32_e32 v3, 0xff, v3
	s_mov_b32 s16, 0
	v_cmp_ne_u32_e64 s[14:15], 0, v3
.LBB22_572:
	s_andn2_b64 vcc, exec, s[14:15]
	v_mov_b32_e32 v4, s16
	s_cbranch_vccnz .LBB22_574
; %bb.573:
	s_lshr_b32 s14, s18, 24
	s_and_b32 s14, s14, 0x80
	v_or_b32_e32 v4, s14, v3
.LBB22_574:
	global_store_byte v[0:1], v4, off
.LBB22_575:
	s_mov_b64 s[14:15], -1
.LBB22_576:
	s_mov_b64 s[16:17], 0
.LBB22_577:
	s_and_b64 vcc, exec, s[16:17]
	s_cbranch_vccz .LBB22_623
; %bb.578:
	v_mov_b32_e32 v3, 22
	v_cmp_gt_i16_sdwa s[16:17], s33, v3 src0_sel:BYTE_0 src1_sel:DWORD
	s_mov_b64 s[12:13], -1
	s_and_b64 vcc, exec, s[16:17]
	s_cbranch_vccz .LBB22_616
; %bb.579:
	v_mov_b32_e32 v3, 24
	v_cmp_lt_i16_sdwa s[14:15], s33, v3 src0_sel:BYTE_0 src1_sel:DWORD
	s_and_b64 vcc, exec, s[14:15]
	s_cbranch_vccnz .LBB22_603
; %bb.580:
	v_cmp_gt_i16_sdwa s[14:15], s33, v3 src0_sel:BYTE_0 src1_sel:DWORD
	s_and_b64 vcc, exec, s[14:15]
	s_cbranch_vccz .LBB22_590
; %bb.581:
	v_cvt_f32_i32_e32 v3, s11
	v_mov_b32_e32 v4, 0x80
	v_readfirstlane_b32 s16, v3
	s_and_b32 s12, s16, 0x7fffffff
	s_cmp_gt_u32 s12, 0x477fffff
	s_cbranch_scc1 .LBB22_589
; %bb.582:
	s_cmp_gt_u32 s12, 0x37ffffff
	s_cbranch_scc0 .LBB22_584
; %bb.583:
	s_bfe_u32 s12, s16, 0x10015
	s_add_i32 s12, s16, s12
	s_add_i32 s12, s12, 0x88fffff
	s_lshr_b32 s17, s12, 21
	s_mov_b64 s[14:15], 0
	s_mov_b64 s[12:13], -1
	s_branch .LBB22_585
.LBB22_584:
	s_mov_b64 s[14:15], -1
	s_mov_b64 s[12:13], 0
                                        ; implicit-def: $sgpr17
.LBB22_585:
	s_andn2_b64 vcc, exec, s[14:15]
	v_mov_b32_e32 v3, s17
                                        ; implicit-def: $sgpr14
	s_cbranch_vccnz .LBB22_587
; %bb.586:
	v_mov_b32_e32 v3, 0x42800000
	v_add_f32_e64 v3, |s16|, v3
	v_and_b32_e32 v3, 0xff, v3
	s_mov_b32 s14, 0
	v_cmp_ne_u32_e64 s[12:13], 0, v3
.LBB22_587:
	s_andn2_b64 vcc, exec, s[12:13]
	v_mov_b32_e32 v4, s14
	s_cbranch_vccnz .LBB22_589
; %bb.588:
	s_lshr_b32 s12, s16, 24
	s_and_b32 s12, s12, 0x80
	v_or_b32_e32 v4, s12, v3
.LBB22_589:
	s_mov_b64 s[12:13], 0
	global_store_byte v[0:1], v4, off
.LBB22_590:
	s_and_b64 vcc, exec, s[12:13]
	s_cbranch_vccz .LBB22_602
; %bb.591:
	v_cvt_f32_i32_e32 v3, s11
	v_readfirstlane_b32 s14, v3
	s_and_b32 s15, s14, 0x7fffffff
	s_cmp_lt_u32 s15, 0x43f00000
	s_cbranch_scc0 .LBB22_594
; %bb.592:
	s_cmp_gt_u32 s15, 0x3c7fffff
	s_cbranch_scc0 .LBB22_595
; %bb.593:
	s_bfe_u32 s12, s14, 0x10014
	s_add_i32 s12, s14, s12
	s_add_i32 s12, s12, 0x407ffff
	s_lshr_b32 s13, s12, 20
	s_and_b32 s12, s12, 0xff00000
	s_cmp_lg_u32 s12, 0x7f00000
	s_cselect_b32 s16, s13, 0x7e
	s_mov_b64 s[12:13], 0
	s_branch .LBB22_596
.LBB22_594:
	s_mov_b64 s[12:13], -1
                                        ; implicit-def: $vgpr4
	s_branch .LBB22_599
.LBB22_595:
	s_mov_b64 s[12:13], -1
                                        ; implicit-def: $sgpr16
.LBB22_596:
	s_andn2_b64 vcc, exec, s[12:13]
	v_mov_b32_e32 v4, s16
	s_cbranch_vccnz .LBB22_598
; %bb.597:
	s_mov_b32 s12, 0x46800000
	v_add_f32_e64 v4, |v3|, s12
.LBB22_598:
	s_mov_b64 s[12:13], 0
.LBB22_599:
	s_andn2_b64 vcc, exec, s[12:13]
	s_cbranch_vccnz .LBB22_601
; %bb.600:
	s_cmp_gt_u32 s15, 0x7f800000
	s_movk_i32 s12, 0x7f
	s_cselect_b32 s12, s12, 0x7e
	v_mov_b32_e32 v4, s12
.LBB22_601:
	s_lshr_b32 s12, s14, 24
	s_and_b32 s12, s12, 0x80
	v_or_b32_e32 v3, s12, v4
	global_store_byte v[0:1], v3, off
.LBB22_602:
	s_mov_b64 s[12:13], 0
.LBB22_603:
	s_andn2_b64 vcc, exec, s[12:13]
	s_cbranch_vccnz .LBB22_615
; %bb.604:
	v_cvt_f32_i32_e32 v3, s11
	v_readfirstlane_b32 s14, v3
	s_and_b32 s15, s14, 0x7fffffff
	s_cmp_lt_u32 s15, 0x47800000
	s_cbranch_scc0 .LBB22_607
; %bb.605:
	s_cmp_gt_u32 s15, 0x387fffff
	s_cbranch_scc0 .LBB22_608
; %bb.606:
	s_bfe_u32 s12, s14, 0x10015
	s_add_i32 s12, s14, s12
	s_add_i32 s12, s12, 0x80fffff
	s_lshr_b32 s16, s12, 21
	s_mov_b64 s[12:13], 0
	s_branch .LBB22_609
.LBB22_607:
	s_mov_b64 s[12:13], -1
                                        ; implicit-def: $vgpr4
	s_branch .LBB22_612
.LBB22_608:
	s_mov_b64 s[12:13], -1
                                        ; implicit-def: $sgpr16
.LBB22_609:
	s_andn2_b64 vcc, exec, s[12:13]
	v_mov_b32_e32 v4, s16
	s_cbranch_vccnz .LBB22_611
; %bb.610:
	s_mov_b32 s12, 0x43000000
	v_add_f32_e64 v4, |v3|, s12
.LBB22_611:
	s_mov_b64 s[12:13], 0
.LBB22_612:
	s_andn2_b64 vcc, exec, s[12:13]
	s_cbranch_vccnz .LBB22_614
; %bb.613:
	s_cmp_gt_u32 s15, 0x7f800000
	s_movk_i32 s12, 0x7f
	s_cselect_b32 s12, s12, 0x7c
	v_mov_b32_e32 v4, s12
.LBB22_614:
	s_lshr_b32 s12, s14, 24
	s_and_b32 s12, s12, 0x80
	v_or_b32_e32 v3, s12, v4
	global_store_byte v[0:1], v3, off
.LBB22_615:
	s_mov_b64 s[12:13], 0
	s_mov_b64 s[14:15], -1
.LBB22_616:
	s_andn2_b64 vcc, exec, s[12:13]
	s_mov_b64 s[12:13], 0
	s_cbranch_vccnz .LBB22_623
; %bb.617:
	v_mov_b32_e32 v3, 14
	v_cmp_gt_i16_sdwa s[12:13], s33, v3 src0_sel:BYTE_0 src1_sel:DWORD
	s_mov_b64 s[16:17], -1
	s_and_b64 vcc, exec, s[12:13]
	s_cbranch_vccz .LBB22_621
; %bb.618:
	v_mov_b32_e32 v3, 15
	v_cmp_eq_u16_sdwa s[12:13], s33, v3 src0_sel:BYTE_0 src1_sel:DWORD
	s_mov_b64 s[6:7], -1
	s_and_b64 vcc, exec, s[12:13]
	s_cbranch_vccz .LBB22_620
; %bb.619:
	v_cvt_f32_i32_e32 v3, s11
	s_mov_b64 s[6:7], 0
	s_mov_b64 s[14:15], -1
	v_bfe_u32 v4, v3, 16, 1
	v_add_u32_e32 v3, v3, v4
	v_add_u32_e32 v3, 0x7fff, v3
	global_store_short_d16_hi v[0:1], v3, off
.LBB22_620:
	s_mov_b64 s[16:17], 0
.LBB22_621:
	s_mov_b64 s[12:13], 0
	s_and_b64 vcc, exec, s[16:17]
	s_cbranch_vccz .LBB22_623
; %bb.622:
	v_mov_b32_e32 v3, 11
	v_cmp_ne_u16_sdwa s[6:7], s33, v3 src0_sel:BYTE_0 src1_sel:DWORD
	s_mov_b64 s[12:13], -1
.LBB22_623:
	s_and_b64 vcc, exec, s[6:7]
	s_cbranch_vccnz .LBB22_706
; %bb.624:
	s_andn2_b64 vcc, exec, s[12:13]
	s_cbranch_vccnz .LBB22_626
.LBB22_625:
	s_cmp_lg_u32 s11, 0
	s_cselect_b64 s[6:7], -1, 0
	v_cndmask_b32_e64 v3, 0, 1, s[6:7]
	s_mov_b64 s[14:15], -1
	global_store_byte v[0:1], v3, off
.LBB22_626:
	s_branch .LBB22_543
.LBB22_627:
	v_mov_b32_e32 v3, 5
	v_cmp_lt_i16_sdwa s[12:13], s33, v3 src0_sel:BYTE_0 src1_sel:DWORD
	s_mov_b64 s[6:7], -1
	s_and_b64 vcc, exec, s[12:13]
	s_cbranch_vccnz .LBB22_648
; %bb.628:
	v_mov_b32_e32 v3, 8
	v_cmp_lt_i16_sdwa s[12:13], s33, v3 src0_sel:BYTE_0 src1_sel:DWORD
	s_and_b64 vcc, exec, s[12:13]
	s_cbranch_vccnz .LBB22_638
; %bb.629:
	v_mov_b32_e32 v3, 9
	v_cmp_lt_i16_sdwa s[12:13], s33, v3 src0_sel:BYTE_0 src1_sel:DWORD
	s_and_b64 vcc, exec, s[12:13]
	s_cbranch_vccnz .LBB22_635
; %bb.630:
	v_cmp_gt_i16_sdwa s[12:13], s33, v3 src0_sel:BYTE_0 src1_sel:DWORD
	s_and_b64 vcc, exec, s[12:13]
	s_cbranch_vccz .LBB22_632
; %bb.631:
	v_mov_b32_e32 v6, 0
	v_cvt_f64_i32_e32 v[4:5], s11
	v_mov_b32_e32 v7, v6
	global_store_dwordx4 v[0:1], v[4:7], off
	s_mov_b64 s[6:7], 0
.LBB22_632:
	s_andn2_b64 vcc, exec, s[6:7]
	s_cbranch_vccnz .LBB22_634
; %bb.633:
	v_cvt_f32_i32_e32 v4, s11
	v_mov_b32_e32 v5, 0
	global_store_dwordx2 v[0:1], v[4:5], off
.LBB22_634:
	s_mov_b64 s[6:7], 0
.LBB22_635:
	s_andn2_b64 vcc, exec, s[6:7]
	s_cbranch_vccnz .LBB22_637
; %bb.636:
	v_cvt_f32_i32_e32 v3, s11
	v_cvt_f16_f32_e32 v3, v3
	global_store_dword v[0:1], v3, off
.LBB22_637:
	s_mov_b64 s[6:7], 0
.LBB22_638:
	s_andn2_b64 vcc, exec, s[6:7]
	s_cbranch_vccnz .LBB22_647
; %bb.639:
	v_mov_b32_e32 v3, 6
	v_cmp_lt_i16_sdwa s[12:13], s33, v3 src0_sel:BYTE_0 src1_sel:DWORD
	s_mov_b64 s[6:7], -1
	s_and_b64 vcc, exec, s[12:13]
	s_cbranch_vccnz .LBB22_645
; %bb.640:
	v_cmp_gt_i16_sdwa s[12:13], s33, v3 src0_sel:BYTE_0 src1_sel:DWORD
	s_and_b64 vcc, exec, s[12:13]
	s_cbranch_vccz .LBB22_642
; %bb.641:
	v_cvt_f64_i32_e32 v[4:5], s11
	global_store_dwordx2 v[0:1], v[4:5], off
	s_mov_b64 s[6:7], 0
.LBB22_642:
	s_andn2_b64 vcc, exec, s[6:7]
	s_cbranch_vccnz .LBB22_644
; %bb.643:
	v_cvt_f32_i32_e32 v3, s11
	global_store_dword v[0:1], v3, off
.LBB22_644:
	s_mov_b64 s[6:7], 0
.LBB22_645:
	s_andn2_b64 vcc, exec, s[6:7]
	s_cbranch_vccnz .LBB22_647
; %bb.646:
	v_cvt_f32_i32_e32 v3, s11
	v_cvt_f16_f32_e32 v3, v3
	global_store_short v[0:1], v3, off
.LBB22_647:
	s_mov_b64 s[6:7], 0
.LBB22_648:
	s_andn2_b64 vcc, exec, s[6:7]
	s_cbranch_vccnz .LBB22_664
; %bb.649:
	v_mov_b32_e32 v3, 2
	v_cmp_lt_i16_sdwa s[12:13], s33, v3 src0_sel:BYTE_0 src1_sel:DWORD
	s_mov_b64 s[6:7], -1
	s_and_b64 vcc, exec, s[12:13]
	s_cbranch_vccnz .LBB22_659
; %bb.650:
	v_mov_b32_e32 v3, 3
	v_cmp_lt_i16_sdwa s[12:13], s33, v3 src0_sel:BYTE_0 src1_sel:DWORD
	s_and_b64 vcc, exec, s[12:13]
	s_cbranch_vccnz .LBB22_656
; %bb.651:
	v_cmp_gt_i16_sdwa s[12:13], s33, v3 src0_sel:BYTE_0 src1_sel:DWORD
	s_and_b64 vcc, exec, s[12:13]
	s_cbranch_vccz .LBB22_653
; %bb.652:
	s_ashr_i32 s6, s11, 31
	v_mov_b32_e32 v4, s11
	v_mov_b32_e32 v5, s6
	global_store_dwordx2 v[0:1], v[4:5], off
	s_mov_b64 s[6:7], 0
.LBB22_653:
	s_andn2_b64 vcc, exec, s[6:7]
	s_cbranch_vccnz .LBB22_655
; %bb.654:
	v_mov_b32_e32 v3, s11
	global_store_dword v[0:1], v3, off
.LBB22_655:
	s_mov_b64 s[6:7], 0
.LBB22_656:
	s_andn2_b64 vcc, exec, s[6:7]
	s_cbranch_vccnz .LBB22_658
; %bb.657:
	v_mov_b32_e32 v3, s11
	global_store_short v[0:1], v3, off
.LBB22_658:
	s_mov_b64 s[6:7], 0
.LBB22_659:
	s_andn2_b64 vcc, exec, s[6:7]
	s_cbranch_vccnz .LBB22_664
; %bb.660:
	v_mov_b32_e32 v3, 0
	v_cmp_gt_i16_sdwa s[12:13], s33, v3 src0_sel:BYTE_0 src1_sel:DWORD
	s_mov_b64 s[6:7], -1
	s_and_b64 vcc, exec, s[12:13]
	s_cbranch_vccz .LBB22_662
; %bb.661:
	v_mov_b32_e32 v3, s11
	global_store_byte v[0:1], v3, off
	s_mov_b64 s[6:7], 0
.LBB22_662:
	s_andn2_b64 vcc, exec, s[6:7]
	s_cbranch_vccnz .LBB22_664
; %bb.663:
	v_mov_b32_e32 v3, s11
	global_store_byte v[0:1], v3, off
.LBB22_664:
.LBB22_665:
	v_add_u32_e32 v2, s10, v2
	v_ashrrev_i32_e32 v1, 31, v2
	v_mov_b32_e32 v3, s9
	v_add_co_u32_e32 v0, vcc, s8, v2
	v_addc_co_u32_e32 v1, vcc, v3, v1, vcc
	v_mov_b32_e32 v3, 11
	v_cmp_lt_i16_sdwa s[6:7], s33, v3 src0_sel:BYTE_0 src1_sel:DWORD
	s_and_b64 vcc, exec, s[6:7]
	s_cbranch_vccnz .LBB22_672
; %bb.666:
	v_mov_b32_e32 v3, 25
	v_cmp_gt_i16_sdwa s[6:7], s33, v3 src0_sel:BYTE_0 src1_sel:DWORD
	s_mov_b64 s[16:17], -1
	s_mov_b64 s[12:13], 0
	s_and_b64 vcc, exec, s[6:7]
	s_mov_b64 s[14:15], 0
	s_mov_b64 s[6:7], 0
	s_cbranch_vccz .LBB22_737
; %bb.667:
	v_mov_b32_e32 v3, 28
	v_cmp_gt_i16_sdwa s[6:7], s33, v3 src0_sel:BYTE_0 src1_sel:DWORD
	s_and_b64 vcc, exec, s[6:7]
	s_cbranch_vccz .LBB22_704
; %bb.668:
	v_mov_b32_e32 v3, 43
	v_cmp_gt_i16_sdwa s[6:7], s33, v3 src0_sel:BYTE_0 src1_sel:DWORD
	s_and_b64 vcc, exec, s[6:7]
	;; [unrolled: 5-line block ×3, first 2 shown]
	s_cbranch_vccz .LBB22_707
; %bb.670:
	v_mov_b32_e32 v3, 46
	v_cmp_eq_u16_sdwa s[14:15], s33, v3 src0_sel:BYTE_0 src1_sel:DWORD
	s_mov_b64 s[6:7], -1
	s_mov_b64 s[16:17], 0
	s_and_b64 vcc, exec, s[14:15]
	s_mov_b64 s[14:15], 0
	s_cbranch_vccz .LBB22_708
; %bb.671:
	v_cvt_f32_i32_e32 v3, s11
	s_mov_b64 s[6:7], 0
	s_mov_b64 s[14:15], -1
	v_bfe_u32 v4, v3, 16, 1
	v_add_u32_e32 v3, v3, v4
	v_add_u32_e32 v3, 0x7fff, v3
	v_lshrrev_b32_e32 v3, 16, v3
	global_store_dword v[0:1], v3, off
	s_branch .LBB22_708
.LBB22_672:
	s_mov_b64 s[14:15], 0
	s_cbranch_execnz .LBB22_801
.LBB22_673:
	s_andn2_b64 vcc, exec, s[14:15]
	s_cbranch_vccnz .LBB22_839
.LBB22_674:
	v_add_u32_e32 v0, s10, v2
	v_ashrrev_i32_e32 v1, 31, v0
	v_mov_b32_e32 v2, s9
	v_add_co_u32_e32 v0, vcc, s8, v0
	v_addc_co_u32_e32 v1, vcc, v2, v1, vcc
	v_mov_b32_e32 v2, 0xff
	v_and_b32_e32 v2, s33, v2
	v_cmp_gt_i16_e32 vcc, 11, v2
	s_cbranch_vccnz .LBB22_703
; %bb.675:
	v_cmp_lt_i16_e32 vcc, 25, v2
	s_mov_b64 s[12:13], -1
	s_mov_b64 s[8:9], 0
	s_mov_b64 s[6:7], 0
	s_cbranch_vccz .LBB22_751
; %bb.676:
	v_cmp_lt_i16_e32 vcc, 28, v2
	s_cbranch_vccz .LBB22_692
; %bb.677:
	v_cmp_lt_i16_e32 vcc, 43, v2
	;; [unrolled: 3-line block ×3, first 2 shown]
	s_cbranch_vccz .LBB22_682
; %bb.679:
	v_cmp_eq_u16_e32 vcc, 46, v2
	s_mov_b64 s[6:7], -1
	s_cbranch_vccz .LBB22_681
; %bb.680:
	v_cvt_f32_i32_e32 v3, s11
	s_mov_b64 s[6:7], 0
	v_bfe_u32 v4, v3, 16, 1
	v_add_u32_e32 v3, v3, v4
	v_add_u32_e32 v3, 0x7fff, v3
	v_lshrrev_b32_e32 v3, 16, v3
	global_store_dword v[0:1], v3, off
.LBB22_681:
	s_mov_b64 s[12:13], 0
.LBB22_682:
	s_and_b64 vcc, exec, s[12:13]
	s_cbranch_vccz .LBB22_687
; %bb.683:
	v_cmp_eq_u16_e32 vcc, 44, v2
	s_mov_b64 s[6:7], -1
	s_cbranch_vccz .LBB22_687
; %bb.684:
	v_cvt_f32_i32_e32 v3, s11
	v_mov_b32_e32 v4, 0xff
	v_readfirstlane_b32 s6, v3
	s_bfe_u32 s7, s6, 0x80017
	s_cmpk_eq_i32 s7, 0xff
	s_cbranch_scc1 .LBB22_686
; %bb.685:
	s_bitcmp1_b32 s6, 22
	s_cselect_b64 s[12:13], -1, 0
	s_and_b32 s6, s6, 0x3fffff
	s_or_b32 s6, s7, s6
	s_cmp_lg_u32 s6, 0
	s_cselect_b64 s[6:7], -1, 0
	s_and_b64 s[6:7], s[12:13], s[6:7]
	v_lshrrev_b32_e32 v3, 23, v3
	v_cndmask_b32_e64 v4, 0, 1, s[6:7]
	v_add_u32_e32 v4, v3, v4
.LBB22_686:
	s_mov_b64 s[6:7], 0
	global_store_byte v[0:1], v4, off
.LBB22_687:
	s_mov_b64 s[12:13], 0
.LBB22_688:
	s_and_b64 vcc, exec, s[12:13]
	s_cbranch_vccz .LBB22_691
; %bb.689:
	v_cmp_eq_u16_e32 vcc, 29, v2
	s_mov_b64 s[6:7], -1
	s_cbranch_vccz .LBB22_691
; %bb.690:
	s_ashr_i32 s6, s11, 31
	v_mov_b32_e32 v4, s11
	v_mov_b32_e32 v5, s6
	global_store_dwordx2 v[0:1], v[4:5], off
	s_mov_b64 s[6:7], 0
.LBB22_691:
	s_mov_b64 s[12:13], 0
.LBB22_692:
	s_and_b64 vcc, exec, s[12:13]
	s_cbranch_vccz .LBB22_750
; %bb.693:
	v_cmp_gt_i16_e32 vcc, 27, v2
	s_mov_b64 s[12:13], -1
	s_cbranch_vccnz .LBB22_699
; %bb.694:
	v_cmp_lt_i16_e32 vcc, 27, v2
	s_cbranch_vccz .LBB22_696
; %bb.695:
	v_mov_b32_e32 v3, s11
	global_store_dword v[0:1], v3, off
	s_mov_b64 s[12:13], 0
.LBB22_696:
	s_andn2_b64 vcc, exec, s[12:13]
	s_cbranch_vccnz .LBB22_698
; %bb.697:
	v_mov_b32_e32 v3, s11
	global_store_short v[0:1], v3, off
.LBB22_698:
	s_mov_b64 s[12:13], 0
.LBB22_699:
	s_andn2_b64 vcc, exec, s[12:13]
	s_cbranch_vccnz .LBB22_750
; %bb.700:
	v_cvt_f32_i32_e32 v3, s11
	v_mov_b32_e32 v4, 0x80
	v_readfirstlane_b32 s10, v3
	s_and_b32 s12, s10, 0x7fffffff
	s_cmp_gt_u32 s12, 0x437fffff
	s_cbranch_scc1 .LBB22_749
; %bb.701:
	s_cmp_gt_u32 s12, 0x3bffffff
	s_cbranch_scc0 .LBB22_744
; %bb.702:
	s_bfe_u32 s12, s10, 0x10014
	s_add_i32 s12, s10, s12
	s_add_i32 s12, s12, 0x487ffff
	s_lshr_b32 s16, s12, 20
	s_mov_b64 s[14:15], 0
	s_mov_b64 s[12:13], -1
	s_branch .LBB22_745
.LBB22_703:
	s_mov_b64 s[8:9], 0
	s_mov_b64 s[6:7], -1
	s_branch .LBB22_840
.LBB22_704:
	s_mov_b64 s[6:7], 0
	s_branch .LBB22_718
.LBB22_705:
	s_mov_b64 s[6:7], 0
	s_branch .LBB22_714
.LBB22_706:
	s_trap 2
	s_or_b64 s[4:5], s[4:5], exec
	s_cbranch_execz .LBB22_625
	s_branch .LBB22_626
.LBB22_707:
	s_mov_b64 s[6:7], 0
.LBB22_708:
	s_and_b64 vcc, exec, s[16:17]
	s_cbranch_vccz .LBB22_713
; %bb.709:
	v_mov_b32_e32 v3, 44
	v_cmp_eq_u16_sdwa s[16:17], s33, v3 src0_sel:BYTE_0 src1_sel:DWORD
	s_mov_b64 s[6:7], -1
	s_and_b64 vcc, exec, s[16:17]
	s_cbranch_vccz .LBB22_713
; %bb.710:
	v_cvt_f32_i32_e32 v3, s11
	v_mov_b32_e32 v4, 0xff
	v_readfirstlane_b32 s6, v3
	s_bfe_u32 s7, s6, 0x80017
	s_cmpk_eq_i32 s7, 0xff
	s_cbranch_scc1 .LBB22_712
; %bb.711:
	s_bitcmp1_b32 s6, 22
	s_cselect_b64 s[14:15], -1, 0
	s_and_b32 s6, s6, 0x3fffff
	s_or_b32 s6, s7, s6
	s_cmp_lg_u32 s6, 0
	s_cselect_b64 s[6:7], -1, 0
	s_and_b64 s[6:7], s[14:15], s[6:7]
	v_lshrrev_b32_e32 v3, 23, v3
	v_cndmask_b32_e64 v4, 0, 1, s[6:7]
	v_add_u32_e32 v4, v3, v4
.LBB22_712:
	s_mov_b64 s[6:7], 0
	s_mov_b64 s[14:15], -1
	global_store_byte v[0:1], v4, off
.LBB22_713:
	s_mov_b64 s[16:17], 0
.LBB22_714:
	s_and_b64 vcc, exec, s[16:17]
	s_cbranch_vccz .LBB22_717
; %bb.715:
	v_mov_b32_e32 v3, 29
	v_cmp_eq_u16_sdwa s[16:17], s33, v3 src0_sel:BYTE_0 src1_sel:DWORD
	s_mov_b64 s[6:7], -1
	s_and_b64 vcc, exec, s[16:17]
	s_cbranch_vccz .LBB22_717
; %bb.716:
	s_ashr_i32 s6, s11, 31
	v_mov_b32_e32 v4, s11
	v_mov_b32_e32 v5, s6
	global_store_dwordx2 v[0:1], v[4:5], off
	s_mov_b64 s[6:7], 0
	s_mov_b64 s[14:15], -1
.LBB22_717:
	s_mov_b64 s[16:17], 0
.LBB22_718:
	s_and_b64 vcc, exec, s[16:17]
	s_cbranch_vccz .LBB22_736
; %bb.719:
	v_mov_b32_e32 v3, 27
	v_cmp_lt_i16_sdwa s[16:17], s33, v3 src0_sel:BYTE_0 src1_sel:DWORD
	s_mov_b64 s[14:15], -1
	s_and_b64 vcc, exec, s[16:17]
	s_cbranch_vccnz .LBB22_725
; %bb.720:
	v_cmp_gt_i16_sdwa s[16:17], s33, v3 src0_sel:BYTE_0 src1_sel:DWORD
	s_and_b64 vcc, exec, s[16:17]
	s_cbranch_vccz .LBB22_722
; %bb.721:
	v_mov_b32_e32 v3, s11
	s_mov_b64 s[14:15], 0
	global_store_dword v[0:1], v3, off
.LBB22_722:
	s_andn2_b64 vcc, exec, s[14:15]
	s_cbranch_vccnz .LBB22_724
; %bb.723:
	v_mov_b32_e32 v3, s11
	global_store_short v[0:1], v3, off
.LBB22_724:
	s_mov_b64 s[14:15], 0
.LBB22_725:
	s_andn2_b64 vcc, exec, s[14:15]
	s_cbranch_vccnz .LBB22_735
; %bb.726:
	v_cvt_f32_i32_e32 v3, s11
	v_mov_b32_e32 v4, 0x80
	v_readfirstlane_b32 s18, v3
	s_and_b32 s14, s18, 0x7fffffff
	s_cmp_gt_u32 s14, 0x437fffff
	s_cbranch_scc1 .LBB22_734
; %bb.727:
	s_cmp_gt_u32 s14, 0x3bffffff
	s_cbranch_scc0 .LBB22_729
; %bb.728:
	s_bfe_u32 s14, s18, 0x10014
	s_add_i32 s14, s18, s14
	s_add_i32 s14, s14, 0x487ffff
	s_lshr_b32 s19, s14, 20
	s_mov_b64 s[16:17], 0
	s_mov_b64 s[14:15], -1
	s_branch .LBB22_730
.LBB22_729:
	s_mov_b64 s[16:17], -1
	s_mov_b64 s[14:15], 0
                                        ; implicit-def: $sgpr19
.LBB22_730:
	s_andn2_b64 vcc, exec, s[16:17]
	v_mov_b32_e32 v3, s19
                                        ; implicit-def: $sgpr16
	s_cbranch_vccnz .LBB22_732
; %bb.731:
	v_mov_b32_e32 v3, 0x46000000
	v_add_f32_e64 v3, |s18|, v3
	v_and_b32_e32 v3, 0xff, v3
	s_mov_b32 s16, 0
	v_cmp_ne_u32_e64 s[14:15], 0, v3
.LBB22_732:
	s_andn2_b64 vcc, exec, s[14:15]
	v_mov_b32_e32 v4, s16
	s_cbranch_vccnz .LBB22_734
; %bb.733:
	s_lshr_b32 s14, s18, 24
	s_and_b32 s14, s14, 0x80
	v_or_b32_e32 v4, s14, v3
.LBB22_734:
	global_store_byte v[0:1], v4, off
.LBB22_735:
	s_mov_b64 s[14:15], -1
.LBB22_736:
	s_mov_b64 s[16:17], 0
.LBB22_737:
	s_and_b64 vcc, exec, s[16:17]
	s_cbranch_vccz .LBB22_797
; %bb.738:
	v_mov_b32_e32 v3, 22
	v_cmp_gt_i16_sdwa s[16:17], s33, v3 src0_sel:BYTE_0 src1_sel:DWORD
	s_mov_b64 s[12:13], -1
	s_and_b64 vcc, exec, s[16:17]
	s_cbranch_vccz .LBB22_790
; %bb.739:
	v_mov_b32_e32 v3, 24
	v_cmp_lt_i16_sdwa s[14:15], s33, v3 src0_sel:BYTE_0 src1_sel:DWORD
	s_and_b64 vcc, exec, s[14:15]
	s_cbranch_vccnz .LBB22_777
; %bb.740:
	v_cmp_gt_i16_sdwa s[14:15], s33, v3 src0_sel:BYTE_0 src1_sel:DWORD
	s_and_b64 vcc, exec, s[14:15]
	s_cbranch_vccz .LBB22_764
; %bb.741:
	v_cvt_f32_i32_e32 v3, s11
	v_mov_b32_e32 v4, 0x80
	v_readfirstlane_b32 s16, v3
	s_and_b32 s12, s16, 0x7fffffff
	s_cmp_gt_u32 s12, 0x477fffff
	s_cbranch_scc1 .LBB22_763
; %bb.742:
	s_cmp_gt_u32 s12, 0x37ffffff
	s_cbranch_scc0 .LBB22_758
; %bb.743:
	s_bfe_u32 s12, s16, 0x10015
	s_add_i32 s12, s16, s12
	s_add_i32 s12, s12, 0x88fffff
	s_lshr_b32 s17, s12, 21
	s_mov_b64 s[14:15], 0
	s_mov_b64 s[12:13], -1
	s_branch .LBB22_759
.LBB22_744:
	s_mov_b64 s[14:15], -1
	s_mov_b64 s[12:13], 0
                                        ; implicit-def: $sgpr16
.LBB22_745:
	s_andn2_b64 vcc, exec, s[14:15]
	v_mov_b32_e32 v3, s16
                                        ; implicit-def: $sgpr14
	s_cbranch_vccnz .LBB22_747
; %bb.746:
	v_mov_b32_e32 v3, 0x46000000
	v_add_f32_e64 v3, |s10|, v3
	v_and_b32_e32 v3, 0xff, v3
	s_mov_b32 s14, 0
	v_cmp_ne_u32_e64 s[12:13], 0, v3
.LBB22_747:
	s_andn2_b64 vcc, exec, s[12:13]
	v_mov_b32_e32 v4, s14
	s_cbranch_vccnz .LBB22_749
; %bb.748:
	s_lshr_b32 s10, s10, 24
	s_and_b32 s10, s10, 0x80
	v_or_b32_e32 v4, s10, v3
.LBB22_749:
	global_store_byte v[0:1], v4, off
.LBB22_750:
	s_mov_b64 s[12:13], 0
.LBB22_751:
	s_and_b64 vcc, exec, s[12:13]
	s_cbranch_vccz .LBB22_921
; %bb.752:
	v_cmp_lt_i16_e32 vcc, 22, v2
	s_mov_b64 s[8:9], -1
	s_cbranch_vccz .LBB22_914
; %bb.753:
	v_cmp_gt_i16_e32 vcc, 24, v2
	s_cbranch_vccnz .LBB22_901
; %bb.754:
	v_cmp_lt_i16_e32 vcc, 24, v2
	s_cbranch_vccz .LBB22_888
; %bb.755:
	v_cvt_f32_i32_e32 v3, s11
	v_mov_b32_e32 v4, 0x80
	v_readfirstlane_b32 s10, v3
	s_and_b32 s8, s10, 0x7fffffff
	s_cmp_gt_u32 s8, 0x477fffff
	s_cbranch_scc1 .LBB22_887
; %bb.756:
	s_cmp_gt_u32 s8, 0x37ffffff
	s_cbranch_scc0 .LBB22_882
; %bb.757:
	s_bfe_u32 s8, s10, 0x10015
	s_add_i32 s8, s10, s8
	s_add_i32 s8, s8, 0x88fffff
	s_lshr_b32 s14, s8, 21
	s_mov_b64 s[12:13], 0
	s_mov_b64 s[8:9], -1
	s_branch .LBB22_883
.LBB22_758:
	s_mov_b64 s[14:15], -1
	s_mov_b64 s[12:13], 0
                                        ; implicit-def: $sgpr17
.LBB22_759:
	s_andn2_b64 vcc, exec, s[14:15]
	v_mov_b32_e32 v3, s17
                                        ; implicit-def: $sgpr14
	s_cbranch_vccnz .LBB22_761
; %bb.760:
	v_mov_b32_e32 v3, 0x42800000
	v_add_f32_e64 v3, |s16|, v3
	v_and_b32_e32 v3, 0xff, v3
	s_mov_b32 s14, 0
	v_cmp_ne_u32_e64 s[12:13], 0, v3
.LBB22_761:
	s_andn2_b64 vcc, exec, s[12:13]
	v_mov_b32_e32 v4, s14
	s_cbranch_vccnz .LBB22_763
; %bb.762:
	s_lshr_b32 s12, s16, 24
	s_and_b32 s12, s12, 0x80
	v_or_b32_e32 v4, s12, v3
.LBB22_763:
	s_mov_b64 s[12:13], 0
	global_store_byte v[0:1], v4, off
.LBB22_764:
	s_and_b64 vcc, exec, s[12:13]
	s_cbranch_vccz .LBB22_776
; %bb.765:
	v_cvt_f32_i32_e32 v3, s11
	v_readfirstlane_b32 s14, v3
	s_and_b32 s15, s14, 0x7fffffff
	s_cmp_lt_u32 s15, 0x43f00000
	s_cbranch_scc0 .LBB22_768
; %bb.766:
	s_cmp_gt_u32 s15, 0x3c7fffff
	s_cbranch_scc0 .LBB22_769
; %bb.767:
	s_bfe_u32 s12, s14, 0x10014
	s_add_i32 s12, s14, s12
	s_add_i32 s12, s12, 0x407ffff
	s_lshr_b32 s13, s12, 20
	s_and_b32 s12, s12, 0xff00000
	s_cmp_lg_u32 s12, 0x7f00000
	s_cselect_b32 s16, s13, 0x7e
	s_mov_b64 s[12:13], 0
	s_branch .LBB22_770
.LBB22_768:
	s_mov_b64 s[12:13], -1
                                        ; implicit-def: $vgpr4
	s_branch .LBB22_773
.LBB22_769:
	s_mov_b64 s[12:13], -1
                                        ; implicit-def: $sgpr16
.LBB22_770:
	s_andn2_b64 vcc, exec, s[12:13]
	v_mov_b32_e32 v4, s16
	s_cbranch_vccnz .LBB22_772
; %bb.771:
	s_mov_b32 s12, 0x46800000
	v_add_f32_e64 v4, |v3|, s12
.LBB22_772:
	s_mov_b64 s[12:13], 0
.LBB22_773:
	s_andn2_b64 vcc, exec, s[12:13]
	s_cbranch_vccnz .LBB22_775
; %bb.774:
	s_cmp_gt_u32 s15, 0x7f800000
	s_movk_i32 s12, 0x7f
	s_cselect_b32 s12, s12, 0x7e
	v_mov_b32_e32 v4, s12
.LBB22_775:
	s_lshr_b32 s12, s14, 24
	s_and_b32 s12, s12, 0x80
	v_or_b32_e32 v3, s12, v4
	global_store_byte v[0:1], v3, off
.LBB22_776:
	s_mov_b64 s[12:13], 0
.LBB22_777:
	s_andn2_b64 vcc, exec, s[12:13]
	s_cbranch_vccnz .LBB22_789
; %bb.778:
	v_cvt_f32_i32_e32 v3, s11
	v_readfirstlane_b32 s14, v3
	s_and_b32 s15, s14, 0x7fffffff
	s_cmp_lt_u32 s15, 0x47800000
	s_cbranch_scc0 .LBB22_781
; %bb.779:
	s_cmp_gt_u32 s15, 0x387fffff
	s_cbranch_scc0 .LBB22_782
; %bb.780:
	s_bfe_u32 s12, s14, 0x10015
	s_add_i32 s12, s14, s12
	s_add_i32 s12, s12, 0x80fffff
	s_lshr_b32 s16, s12, 21
	s_mov_b64 s[12:13], 0
	s_branch .LBB22_783
.LBB22_781:
	s_mov_b64 s[12:13], -1
                                        ; implicit-def: $vgpr4
	s_branch .LBB22_786
.LBB22_782:
	s_mov_b64 s[12:13], -1
                                        ; implicit-def: $sgpr16
.LBB22_783:
	s_andn2_b64 vcc, exec, s[12:13]
	v_mov_b32_e32 v4, s16
	s_cbranch_vccnz .LBB22_785
; %bb.784:
	s_mov_b32 s12, 0x43000000
	v_add_f32_e64 v4, |v3|, s12
.LBB22_785:
	s_mov_b64 s[12:13], 0
.LBB22_786:
	s_andn2_b64 vcc, exec, s[12:13]
	s_cbranch_vccnz .LBB22_788
; %bb.787:
	s_cmp_gt_u32 s15, 0x7f800000
	s_movk_i32 s12, 0x7f
	s_cselect_b32 s12, s12, 0x7c
	v_mov_b32_e32 v4, s12
.LBB22_788:
	s_lshr_b32 s12, s14, 24
	s_and_b32 s12, s12, 0x80
	v_or_b32_e32 v3, s12, v4
	global_store_byte v[0:1], v3, off
.LBB22_789:
	s_mov_b64 s[12:13], 0
	s_mov_b64 s[14:15], -1
.LBB22_790:
	s_andn2_b64 vcc, exec, s[12:13]
	s_mov_b64 s[12:13], 0
	s_cbranch_vccnz .LBB22_797
; %bb.791:
	v_mov_b32_e32 v3, 14
	v_cmp_gt_i16_sdwa s[12:13], s33, v3 src0_sel:BYTE_0 src1_sel:DWORD
	s_mov_b64 s[16:17], -1
	s_and_b64 vcc, exec, s[12:13]
	s_cbranch_vccz .LBB22_795
; %bb.792:
	v_mov_b32_e32 v3, 15
	v_cmp_eq_u16_sdwa s[12:13], s33, v3 src0_sel:BYTE_0 src1_sel:DWORD
	s_mov_b64 s[6:7], -1
	s_and_b64 vcc, exec, s[12:13]
	s_cbranch_vccz .LBB22_794
; %bb.793:
	v_cvt_f32_i32_e32 v3, s11
	s_mov_b64 s[6:7], 0
	s_mov_b64 s[14:15], -1
	v_bfe_u32 v4, v3, 16, 1
	v_add_u32_e32 v3, v3, v4
	v_add_u32_e32 v3, 0x7fff, v3
	global_store_short_d16_hi v[0:1], v3, off
.LBB22_794:
	s_mov_b64 s[16:17], 0
.LBB22_795:
	s_mov_b64 s[12:13], 0
	s_and_b64 vcc, exec, s[16:17]
	s_cbranch_vccz .LBB22_797
; %bb.796:
	v_mov_b32_e32 v3, 11
	v_cmp_ne_u16_sdwa s[6:7], s33, v3 src0_sel:BYTE_0 src1_sel:DWORD
	s_mov_b64 s[12:13], -1
.LBB22_797:
	s_and_b64 vcc, exec, s[6:7]
	s_cbranch_vccnz .LBB22_881
; %bb.798:
	s_andn2_b64 vcc, exec, s[12:13]
	s_cbranch_vccnz .LBB22_800
.LBB22_799:
	s_cmp_lg_u32 s11, 0
	s_cselect_b64 s[6:7], -1, 0
	v_cndmask_b32_e64 v3, 0, 1, s[6:7]
	s_mov_b64 s[14:15], -1
	global_store_byte v[0:1], v3, off
.LBB22_800:
	s_branch .LBB22_673
.LBB22_801:
	v_mov_b32_e32 v3, 5
	v_cmp_lt_i16_sdwa s[12:13], s33, v3 src0_sel:BYTE_0 src1_sel:DWORD
	s_mov_b64 s[6:7], -1
	s_and_b64 vcc, exec, s[12:13]
	s_cbranch_vccnz .LBB22_822
; %bb.802:
	v_mov_b32_e32 v3, 8
	v_cmp_lt_i16_sdwa s[12:13], s33, v3 src0_sel:BYTE_0 src1_sel:DWORD
	s_and_b64 vcc, exec, s[12:13]
	s_cbranch_vccnz .LBB22_812
; %bb.803:
	v_mov_b32_e32 v3, 9
	v_cmp_lt_i16_sdwa s[12:13], s33, v3 src0_sel:BYTE_0 src1_sel:DWORD
	s_and_b64 vcc, exec, s[12:13]
	s_cbranch_vccnz .LBB22_809
; %bb.804:
	v_cmp_gt_i16_sdwa s[12:13], s33, v3 src0_sel:BYTE_0 src1_sel:DWORD
	s_and_b64 vcc, exec, s[12:13]
	s_cbranch_vccz .LBB22_806
; %bb.805:
	v_mov_b32_e32 v6, 0
	v_cvt_f64_i32_e32 v[4:5], s11
	v_mov_b32_e32 v7, v6
	global_store_dwordx4 v[0:1], v[4:7], off
	s_mov_b64 s[6:7], 0
.LBB22_806:
	s_andn2_b64 vcc, exec, s[6:7]
	s_cbranch_vccnz .LBB22_808
; %bb.807:
	v_cvt_f32_i32_e32 v4, s11
	v_mov_b32_e32 v5, 0
	global_store_dwordx2 v[0:1], v[4:5], off
.LBB22_808:
	s_mov_b64 s[6:7], 0
.LBB22_809:
	s_andn2_b64 vcc, exec, s[6:7]
	s_cbranch_vccnz .LBB22_811
; %bb.810:
	v_cvt_f32_i32_e32 v3, s11
	v_cvt_f16_f32_e32 v3, v3
	global_store_dword v[0:1], v3, off
.LBB22_811:
	s_mov_b64 s[6:7], 0
.LBB22_812:
	s_andn2_b64 vcc, exec, s[6:7]
	s_cbranch_vccnz .LBB22_821
; %bb.813:
	v_mov_b32_e32 v3, 6
	v_cmp_lt_i16_sdwa s[12:13], s33, v3 src0_sel:BYTE_0 src1_sel:DWORD
	s_mov_b64 s[6:7], -1
	s_and_b64 vcc, exec, s[12:13]
	s_cbranch_vccnz .LBB22_819
; %bb.814:
	v_cmp_gt_i16_sdwa s[12:13], s33, v3 src0_sel:BYTE_0 src1_sel:DWORD
	s_and_b64 vcc, exec, s[12:13]
	s_cbranch_vccz .LBB22_816
; %bb.815:
	v_cvt_f64_i32_e32 v[4:5], s11
	global_store_dwordx2 v[0:1], v[4:5], off
	s_mov_b64 s[6:7], 0
.LBB22_816:
	s_andn2_b64 vcc, exec, s[6:7]
	s_cbranch_vccnz .LBB22_818
; %bb.817:
	v_cvt_f32_i32_e32 v3, s11
	global_store_dword v[0:1], v3, off
.LBB22_818:
	s_mov_b64 s[6:7], 0
.LBB22_819:
	s_andn2_b64 vcc, exec, s[6:7]
	s_cbranch_vccnz .LBB22_821
; %bb.820:
	v_cvt_f32_i32_e32 v3, s11
	v_cvt_f16_f32_e32 v3, v3
	global_store_short v[0:1], v3, off
.LBB22_821:
	s_mov_b64 s[6:7], 0
.LBB22_822:
	s_andn2_b64 vcc, exec, s[6:7]
	s_cbranch_vccnz .LBB22_838
; %bb.823:
	v_mov_b32_e32 v3, 2
	v_cmp_lt_i16_sdwa s[12:13], s33, v3 src0_sel:BYTE_0 src1_sel:DWORD
	s_mov_b64 s[6:7], -1
	s_and_b64 vcc, exec, s[12:13]
	s_cbranch_vccnz .LBB22_833
; %bb.824:
	v_mov_b32_e32 v3, 3
	v_cmp_lt_i16_sdwa s[12:13], s33, v3 src0_sel:BYTE_0 src1_sel:DWORD
	s_and_b64 vcc, exec, s[12:13]
	s_cbranch_vccnz .LBB22_830
; %bb.825:
	v_cmp_gt_i16_sdwa s[12:13], s33, v3 src0_sel:BYTE_0 src1_sel:DWORD
	s_and_b64 vcc, exec, s[12:13]
	s_cbranch_vccz .LBB22_827
; %bb.826:
	s_ashr_i32 s6, s11, 31
	v_mov_b32_e32 v4, s11
	v_mov_b32_e32 v5, s6
	global_store_dwordx2 v[0:1], v[4:5], off
	s_mov_b64 s[6:7], 0
.LBB22_827:
	s_andn2_b64 vcc, exec, s[6:7]
	s_cbranch_vccnz .LBB22_829
; %bb.828:
	v_mov_b32_e32 v3, s11
	global_store_dword v[0:1], v3, off
.LBB22_829:
	s_mov_b64 s[6:7], 0
.LBB22_830:
	s_andn2_b64 vcc, exec, s[6:7]
	s_cbranch_vccnz .LBB22_832
; %bb.831:
	v_mov_b32_e32 v3, s11
	global_store_short v[0:1], v3, off
.LBB22_832:
	s_mov_b64 s[6:7], 0
.LBB22_833:
	s_andn2_b64 vcc, exec, s[6:7]
	s_cbranch_vccnz .LBB22_838
; %bb.834:
	v_mov_b32_e32 v3, 0
	v_cmp_gt_i16_sdwa s[12:13], s33, v3 src0_sel:BYTE_0 src1_sel:DWORD
	s_mov_b64 s[6:7], -1
	s_and_b64 vcc, exec, s[12:13]
	s_cbranch_vccz .LBB22_836
; %bb.835:
	v_mov_b32_e32 v3, s11
	global_store_byte v[0:1], v3, off
	s_mov_b64 s[6:7], 0
.LBB22_836:
	s_andn2_b64 vcc, exec, s[6:7]
	s_cbranch_vccnz .LBB22_838
; %bb.837:
	v_mov_b32_e32 v3, s11
	global_store_byte v[0:1], v3, off
.LBB22_838:
	s_branch .LBB22_674
.LBB22_839:
	s_mov_b64 s[6:7], 0
	s_mov_b64 s[8:9], 0
                                        ; implicit-def: $vgpr2
                                        ; implicit-def: $vgpr0_vgpr1
.LBB22_840:
	s_andn2_b64 s[0:1], s[0:1], exec
	s_and_b64 s[4:5], s[4:5], exec
	s_and_b64 s[12:13], s[6:7], exec
	s_and_b64 s[6:7], s[8:9], exec
	s_or_b64 s[0:1], s[0:1], s[4:5]
	s_or_b64 exec, exec, s[2:3]
	s_and_saveexec_b64 s[2:3], s[0:1]
	s_cbranch_execnz .LBB22_413
.LBB22_841:
	s_or_b64 exec, exec, s[2:3]
	s_and_saveexec_b64 s[0:1], s[6:7]
	s_xor_b64 s[0:1], exec, s[0:1]
	s_cbranch_execz .LBB22_414
.LBB22_842:
	s_cmp_lg_u32 s11, 0
	s_cselect_b64 s[2:3], -1, 0
	v_cndmask_b32_e64 v3, 0, 1, s[2:3]
	global_store_byte v[0:1], v3, off
	s_or_b64 exec, exec, s[0:1]
	s_and_saveexec_b64 s[0:1], s[12:13]
	s_cbranch_execz .LBB22_880
.LBB22_843:
	v_cmp_gt_i16_e32 vcc, 5, v2
	s_mov_b64 s[0:1], -1
	s_cbranch_vccnz .LBB22_864
; %bb.844:
	v_cmp_gt_i16_e32 vcc, 8, v2
	s_cbranch_vccnz .LBB22_854
; %bb.845:
	v_cmp_gt_i16_e32 vcc, 9, v2
	s_cbranch_vccnz .LBB22_851
; %bb.846:
	v_cmp_lt_i16_e32 vcc, 9, v2
	s_cbranch_vccz .LBB22_848
; %bb.847:
	v_mov_b32_e32 v6, 0
	v_cvt_f64_i32_e32 v[4:5], s11
	v_mov_b32_e32 v7, v6
	global_store_dwordx4 v[0:1], v[4:7], off
	s_mov_b64 s[0:1], 0
.LBB22_848:
	s_andn2_b64 vcc, exec, s[0:1]
	s_cbranch_vccnz .LBB22_850
; %bb.849:
	v_cvt_f32_i32_e32 v4, s11
	v_mov_b32_e32 v5, 0
	global_store_dwordx2 v[0:1], v[4:5], off
.LBB22_850:
	s_mov_b64 s[0:1], 0
.LBB22_851:
	s_andn2_b64 vcc, exec, s[0:1]
	s_cbranch_vccnz .LBB22_853
; %bb.852:
	v_cvt_f32_i32_e32 v3, s11
	v_cvt_f16_f32_e32 v3, v3
	global_store_dword v[0:1], v3, off
.LBB22_853:
	s_mov_b64 s[0:1], 0
.LBB22_854:
	s_andn2_b64 vcc, exec, s[0:1]
	s_cbranch_vccnz .LBB22_863
; %bb.855:
	v_cmp_gt_i16_e32 vcc, 6, v2
	s_mov_b64 s[0:1], -1
	s_cbranch_vccnz .LBB22_861
; %bb.856:
	v_cmp_lt_i16_e32 vcc, 6, v2
	s_cbranch_vccz .LBB22_858
; %bb.857:
	v_cvt_f64_i32_e32 v[4:5], s11
	global_store_dwordx2 v[0:1], v[4:5], off
	s_mov_b64 s[0:1], 0
.LBB22_858:
	s_andn2_b64 vcc, exec, s[0:1]
	s_cbranch_vccnz .LBB22_860
; %bb.859:
	v_cvt_f32_i32_e32 v3, s11
	global_store_dword v[0:1], v3, off
.LBB22_860:
	s_mov_b64 s[0:1], 0
.LBB22_861:
	s_andn2_b64 vcc, exec, s[0:1]
	s_cbranch_vccnz .LBB22_863
; %bb.862:
	v_cvt_f32_i32_e32 v3, s11
	v_cvt_f16_f32_e32 v3, v3
	global_store_short v[0:1], v3, off
.LBB22_863:
	s_mov_b64 s[0:1], 0
.LBB22_864:
	s_andn2_b64 vcc, exec, s[0:1]
	s_cbranch_vccnz .LBB22_880
; %bb.865:
	v_cmp_gt_i16_e32 vcc, 2, v2
	s_mov_b64 s[0:1], -1
	s_cbranch_vccnz .LBB22_875
; %bb.866:
	v_cmp_gt_i16_e32 vcc, 3, v2
	s_cbranch_vccnz .LBB22_872
; %bb.867:
	v_cmp_lt_i16_e32 vcc, 3, v2
	s_cbranch_vccz .LBB22_869
; %bb.868:
	s_ashr_i32 s0, s11, 31
	v_mov_b32_e32 v4, s11
	v_mov_b32_e32 v5, s0
	global_store_dwordx2 v[0:1], v[4:5], off
	s_mov_b64 s[0:1], 0
.LBB22_869:
	s_andn2_b64 vcc, exec, s[0:1]
	s_cbranch_vccnz .LBB22_871
; %bb.870:
	v_mov_b32_e32 v3, s11
	global_store_dword v[0:1], v3, off
.LBB22_871:
	s_mov_b64 s[0:1], 0
.LBB22_872:
	s_andn2_b64 vcc, exec, s[0:1]
	s_cbranch_vccnz .LBB22_874
; %bb.873:
	v_mov_b32_e32 v3, s11
	global_store_short v[0:1], v3, off
.LBB22_874:
	s_mov_b64 s[0:1], 0
.LBB22_875:
	s_andn2_b64 vcc, exec, s[0:1]
	s_cbranch_vccnz .LBB22_880
; %bb.876:
	v_cmp_lt_i16_e32 vcc, 0, v2
	s_mov_b64 s[0:1], -1
	s_cbranch_vccz .LBB22_878
; %bb.877:
	v_mov_b32_e32 v2, s11
	global_store_byte v[0:1], v2, off
	s_mov_b64 s[0:1], 0
.LBB22_878:
	s_andn2_b64 vcc, exec, s[0:1]
	s_cbranch_vccnz .LBB22_880
; %bb.879:
	v_mov_b32_e32 v2, s11
	global_store_byte v[0:1], v2, off
	s_endpgm
.LBB22_880:
	s_endpgm
.LBB22_881:
	s_trap 2
	s_or_b64 s[4:5], s[4:5], exec
	s_cbranch_execz .LBB22_799
	s_branch .LBB22_800
.LBB22_882:
	s_mov_b64 s[12:13], -1
	s_mov_b64 s[8:9], 0
                                        ; implicit-def: $sgpr14
.LBB22_883:
	s_andn2_b64 vcc, exec, s[12:13]
	v_mov_b32_e32 v3, s14
                                        ; implicit-def: $sgpr12
	s_cbranch_vccnz .LBB22_885
; %bb.884:
	v_mov_b32_e32 v3, 0x42800000
	v_add_f32_e64 v3, |s10|, v3
	v_and_b32_e32 v3, 0xff, v3
	s_mov_b32 s12, 0
	v_cmp_ne_u32_e64 s[8:9], 0, v3
.LBB22_885:
	s_andn2_b64 vcc, exec, s[8:9]
	v_mov_b32_e32 v4, s12
	s_cbranch_vccnz .LBB22_887
; %bb.886:
	s_lshr_b32 s8, s10, 24
	s_and_b32 s8, s8, 0x80
	v_or_b32_e32 v4, s8, v3
.LBB22_887:
	s_mov_b64 s[8:9], 0
	global_store_byte v[0:1], v4, off
.LBB22_888:
	s_and_b64 vcc, exec, s[8:9]
	s_cbranch_vccz .LBB22_900
; %bb.889:
	v_cvt_f32_i32_e32 v3, s11
	v_readfirstlane_b32 s10, v3
	s_and_b32 s12, s10, 0x7fffffff
	s_cmp_lt_u32 s12, 0x43f00000
	s_cbranch_scc0 .LBB22_892
; %bb.890:
	s_cmp_gt_u32 s12, 0x3c7fffff
	s_cbranch_scc0 .LBB22_893
; %bb.891:
	s_bfe_u32 s8, s10, 0x10014
	s_add_i32 s8, s10, s8
	s_add_i32 s8, s8, 0x407ffff
	s_lshr_b32 s9, s8, 20
	s_and_b32 s8, s8, 0xff00000
	s_cmp_lg_u32 s8, 0x7f00000
	s_cselect_b32 s13, s9, 0x7e
	s_mov_b64 s[8:9], 0
	s_branch .LBB22_894
.LBB22_892:
	s_mov_b64 s[8:9], -1
                                        ; implicit-def: $vgpr4
	s_branch .LBB22_897
.LBB22_893:
	s_mov_b64 s[8:9], -1
                                        ; implicit-def: $sgpr13
.LBB22_894:
	s_andn2_b64 vcc, exec, s[8:9]
	v_mov_b32_e32 v4, s13
	s_cbranch_vccnz .LBB22_896
; %bb.895:
	s_mov_b32 s8, 0x46800000
	v_add_f32_e64 v4, |v3|, s8
.LBB22_896:
	s_mov_b64 s[8:9], 0
.LBB22_897:
	s_andn2_b64 vcc, exec, s[8:9]
	s_cbranch_vccnz .LBB22_899
; %bb.898:
	s_cmp_gt_u32 s12, 0x7f800000
	s_movk_i32 s8, 0x7f
	s_cselect_b32 s8, s8, 0x7e
	v_mov_b32_e32 v4, s8
.LBB22_899:
	s_lshr_b32 s8, s10, 24
	s_and_b32 s8, s8, 0x80
	v_or_b32_e32 v3, s8, v4
	global_store_byte v[0:1], v3, off
.LBB22_900:
	s_mov_b64 s[8:9], 0
.LBB22_901:
	s_andn2_b64 vcc, exec, s[8:9]
	s_cbranch_vccnz .LBB22_913
; %bb.902:
	v_cvt_f32_i32_e32 v3, s11
	v_readfirstlane_b32 s10, v3
	s_and_b32 s12, s10, 0x7fffffff
	s_cmp_lt_u32 s12, 0x47800000
	s_cbranch_scc0 .LBB22_905
; %bb.903:
	s_cmp_gt_u32 s12, 0x387fffff
	s_cbranch_scc0 .LBB22_906
; %bb.904:
	s_bfe_u32 s8, s10, 0x10015
	s_add_i32 s8, s10, s8
	s_add_i32 s8, s8, 0x80fffff
	s_lshr_b32 s13, s8, 21
	s_mov_b64 s[8:9], 0
	s_branch .LBB22_907
.LBB22_905:
	s_mov_b64 s[8:9], -1
                                        ; implicit-def: $vgpr4
	s_branch .LBB22_910
.LBB22_906:
	s_mov_b64 s[8:9], -1
                                        ; implicit-def: $sgpr13
.LBB22_907:
	s_andn2_b64 vcc, exec, s[8:9]
	v_mov_b32_e32 v4, s13
	s_cbranch_vccnz .LBB22_909
; %bb.908:
	s_mov_b32 s8, 0x43000000
	v_add_f32_e64 v4, |v3|, s8
.LBB22_909:
	s_mov_b64 s[8:9], 0
.LBB22_910:
	s_andn2_b64 vcc, exec, s[8:9]
	s_cbranch_vccnz .LBB22_912
; %bb.911:
	s_cmp_gt_u32 s12, 0x7f800000
	s_movk_i32 s8, 0x7f
	s_cselect_b32 s8, s8, 0x7c
	v_mov_b32_e32 v4, s8
.LBB22_912:
	s_lshr_b32 s8, s10, 24
	s_and_b32 s8, s8, 0x80
	v_or_b32_e32 v3, s8, v4
	global_store_byte v[0:1], v3, off
.LBB22_913:
	s_mov_b64 s[8:9], 0
.LBB22_914:
	s_andn2_b64 vcc, exec, s[8:9]
	s_mov_b64 s[8:9], 0
	s_cbranch_vccnz .LBB22_921
; %bb.915:
	v_cmp_lt_i16_e32 vcc, 14, v2
	s_mov_b64 s[12:13], -1
	s_cbranch_vccz .LBB22_919
; %bb.916:
	v_cmp_eq_u16_e32 vcc, 15, v2
	s_mov_b64 s[6:7], -1
	s_cbranch_vccz .LBB22_918
; %bb.917:
	v_cvt_f32_i32_e32 v3, s11
	s_mov_b64 s[6:7], 0
	v_bfe_u32 v4, v3, 16, 1
	v_add_u32_e32 v3, v3, v4
	v_add_u32_e32 v3, 0x7fff, v3
	global_store_short_d16_hi v[0:1], v3, off
.LBB22_918:
	s_mov_b64 s[12:13], 0
.LBB22_919:
	s_and_b64 vcc, exec, s[12:13]
	s_cbranch_vccz .LBB22_921
; %bb.920:
	v_cmp_ne_u16_e64 s[6:7], 11, v2
	s_mov_b64 s[8:9], -1
.LBB22_921:
	s_and_b64 vcc, exec, s[6:7]
	s_cbranch_vccnz .LBB22_923
.LBB22_922:
	s_mov_b64 s[6:7], 0
	s_branch .LBB22_840
.LBB22_923:
	s_mov_b64 s[8:9], 0
	s_or_b64 s[4:5], s[4:5], exec
	s_trap 2
	s_branch .LBB22_922
	.section	.rodata,"a",@progbits
	.p2align	6, 0x0
	.amdhsa_kernel _ZN2at6native32elementwise_kernel_manual_unrollILi128ELi4EZNS0_15gpu_kernel_implINS0_11FillFunctorIiEEEEvRNS_18TensorIteratorBaseERKT_EUlibE_EEviT1_
		.amdhsa_group_segment_fixed_size 0
		.amdhsa_private_segment_fixed_size 0
		.amdhsa_kernarg_size 32
		.amdhsa_user_sgpr_count 6
		.amdhsa_user_sgpr_private_segment_buffer 1
		.amdhsa_user_sgpr_dispatch_ptr 0
		.amdhsa_user_sgpr_queue_ptr 0
		.amdhsa_user_sgpr_kernarg_segment_ptr 1
		.amdhsa_user_sgpr_dispatch_id 0
		.amdhsa_user_sgpr_flat_scratch_init 0
		.amdhsa_user_sgpr_kernarg_preload_length 0
		.amdhsa_user_sgpr_kernarg_preload_offset 0
		.amdhsa_user_sgpr_private_segment_size 0
		.amdhsa_uses_dynamic_stack 0
		.amdhsa_system_sgpr_private_segment_wavefront_offset 0
		.amdhsa_system_sgpr_workgroup_id_x 1
		.amdhsa_system_sgpr_workgroup_id_y 0
		.amdhsa_system_sgpr_workgroup_id_z 0
		.amdhsa_system_sgpr_workgroup_info 0
		.amdhsa_system_vgpr_workitem_id 0
		.amdhsa_next_free_vgpr 17
		.amdhsa_next_free_sgpr 62
		.amdhsa_accum_offset 20
		.amdhsa_reserve_vcc 1
		.amdhsa_reserve_flat_scratch 0
		.amdhsa_float_round_mode_32 0
		.amdhsa_float_round_mode_16_64 0
		.amdhsa_float_denorm_mode_32 3
		.amdhsa_float_denorm_mode_16_64 3
		.amdhsa_dx10_clamp 1
		.amdhsa_ieee_mode 1
		.amdhsa_fp16_overflow 0
		.amdhsa_tg_split 0
		.amdhsa_exception_fp_ieee_invalid_op 0
		.amdhsa_exception_fp_denorm_src 0
		.amdhsa_exception_fp_ieee_div_zero 0
		.amdhsa_exception_fp_ieee_overflow 0
		.amdhsa_exception_fp_ieee_underflow 0
		.amdhsa_exception_fp_ieee_inexact 0
		.amdhsa_exception_int_div_zero 0
	.end_amdhsa_kernel
	.section	.text._ZN2at6native32elementwise_kernel_manual_unrollILi128ELi4EZNS0_15gpu_kernel_implINS0_11FillFunctorIiEEEEvRNS_18TensorIteratorBaseERKT_EUlibE_EEviT1_,"axG",@progbits,_ZN2at6native32elementwise_kernel_manual_unrollILi128ELi4EZNS0_15gpu_kernel_implINS0_11FillFunctorIiEEEEvRNS_18TensorIteratorBaseERKT_EUlibE_EEviT1_,comdat
.Lfunc_end22:
	.size	_ZN2at6native32elementwise_kernel_manual_unrollILi128ELi4EZNS0_15gpu_kernel_implINS0_11FillFunctorIiEEEEvRNS_18TensorIteratorBaseERKT_EUlibE_EEviT1_, .Lfunc_end22-_ZN2at6native32elementwise_kernel_manual_unrollILi128ELi4EZNS0_15gpu_kernel_implINS0_11FillFunctorIiEEEEvRNS_18TensorIteratorBaseERKT_EUlibE_EEviT1_
                                        ; -- End function
	.section	.AMDGPU.csdata,"",@progbits
; Kernel info:
; codeLenInByte = 13968
; NumSgprs: 66
; NumVgprs: 17
; NumAgprs: 0
; TotalNumVgprs: 17
; ScratchSize: 0
; MemoryBound: 0
; FloatMode: 240
; IeeeMode: 1
; LDSByteSize: 0 bytes/workgroup (compile time only)
; SGPRBlocks: 8
; VGPRBlocks: 2
; NumSGPRsForWavesPerEU: 66
; NumVGPRsForWavesPerEU: 17
; AccumOffset: 20
; Occupancy: 8
; WaveLimiterHint : 0
; COMPUTE_PGM_RSRC2:SCRATCH_EN: 0
; COMPUTE_PGM_RSRC2:USER_SGPR: 6
; COMPUTE_PGM_RSRC2:TRAP_HANDLER: 0
; COMPUTE_PGM_RSRC2:TGID_X_EN: 1
; COMPUTE_PGM_RSRC2:TGID_Y_EN: 0
; COMPUTE_PGM_RSRC2:TGID_Z_EN: 0
; COMPUTE_PGM_RSRC2:TIDIG_COMP_CNT: 0
; COMPUTE_PGM_RSRC3_GFX90A:ACCUM_OFFSET: 4
; COMPUTE_PGM_RSRC3_GFX90A:TG_SPLIT: 0
	.section	.text._ZN2at6native32elementwise_kernel_manual_unrollILi128ELi4EZNS0_15gpu_kernel_implINS0_11FillFunctorIiEEEEvRNS_18TensorIteratorBaseERKT_EUlibE0_EEviT1_,"axG",@progbits,_ZN2at6native32elementwise_kernel_manual_unrollILi128ELi4EZNS0_15gpu_kernel_implINS0_11FillFunctorIiEEEEvRNS_18TensorIteratorBaseERKT_EUlibE0_EEviT1_,comdat
	.protected	_ZN2at6native32elementwise_kernel_manual_unrollILi128ELi4EZNS0_15gpu_kernel_implINS0_11FillFunctorIiEEEEvRNS_18TensorIteratorBaseERKT_EUlibE0_EEviT1_ ; -- Begin function _ZN2at6native32elementwise_kernel_manual_unrollILi128ELi4EZNS0_15gpu_kernel_implINS0_11FillFunctorIiEEEEvRNS_18TensorIteratorBaseERKT_EUlibE0_EEviT1_
	.globl	_ZN2at6native32elementwise_kernel_manual_unrollILi128ELi4EZNS0_15gpu_kernel_implINS0_11FillFunctorIiEEEEvRNS_18TensorIteratorBaseERKT_EUlibE0_EEviT1_
	.p2align	8
	.type	_ZN2at6native32elementwise_kernel_manual_unrollILi128ELi4EZNS0_15gpu_kernel_implINS0_11FillFunctorIiEEEEvRNS_18TensorIteratorBaseERKT_EUlibE0_EEviT1_,@function
_ZN2at6native32elementwise_kernel_manual_unrollILi128ELi4EZNS0_15gpu_kernel_implINS0_11FillFunctorIiEEEEvRNS_18TensorIteratorBaseERKT_EUlibE0_EEviT1_: ; @_ZN2at6native32elementwise_kernel_manual_unrollILi128ELi4EZNS0_15gpu_kernel_implINS0_11FillFunctorIiEEEEvRNS_18TensorIteratorBaseERKT_EUlibE0_EEviT1_
; %bb.0:
	s_load_dword s91, s[4:5], 0x0
	s_load_dword s33, s[4:5], 0x8
	s_or_b32 s4, s4, 8
	v_lshl_or_b32 v9, s6, 9, v0
	v_or_b32_e32 v8, 0x180, v9
	s_waitcnt lgkmcnt(0)
	v_cmp_le_i32_e32 vcc, s91, v8
	s_add_i32 s82, s33, -1
	s_cmp_gt_u32 s82, 1
	s_cselect_b64 s[36:37], -1, 0
	s_mov_b64 s[34:35], 0
	s_mov_b64 s[6:7], 0
	s_and_saveexec_b64 s[0:1], vcc
	s_xor_b64 s[38:39], exec, s[0:1]
	s_cbranch_execz .LBB23_462
; %bb.1:
	s_load_dwordx2 s[58:59], s[4:5], 0xc4
	s_load_dwordx4 s[16:19], s[4:5], 0x108
	s_load_dwordx4 s[20:23], s[4:5], 0x4
	s_load_dwordx2 s[60:61], s[4:5], 0x14
	s_cmp_lg_u32 s33, 0
	s_cselect_b64 s[66:67], -1, 0
	s_waitcnt lgkmcnt(0)
	v_cvt_f32_i32_e32 v4, s18
	s_add_u32 s64, s4, 0xc4
	s_addc_u32 s65, s5, 0
	s_min_u32 s92, s82, 15
	v_and_b32_e32 v2, 0x400000, v4
	s_cmp_gt_u32 s33, 1
	v_bfe_u32 v1, v4, 23, 8
	s_movk_i32 s0, 0xff
	v_cmp_ne_u32_e32 vcc, 0, v2
	v_and_b32_e32 v2, 0x3fffff, v4
	s_cselect_b64 s[62:63], -1, 0
	s_ashr_i32 s41, s18, 31
	s_mov_b32 s40, s18
	v_cmp_eq_u32_e64 s[6:7], s0, v1
	v_or_b32_e32 v1, v1, v2
	s_cmp_lg_u64 s[40:41], 0
	v_cmp_ne_u32_e64 s[0:1], 0, v1
	v_readfirstlane_b32 s10, v4
	s_cselect_b64 s[8:9], -1, 0
	s_and_b64 s[0:1], vcc, s[0:1]
	s_and_b32 s11, s10, 0x7fffffff
	s_cmp_lt_u32 s11, 0x43800000
	s_cselect_b64 s[54:55], -1, 0
	s_cmp_gt_u32 s11, 0x3bffffff
	v_cndmask_b32_e64 v1, 0, 1, s[0:1]
	s_cselect_b64 s[2:3], -1, 0
	s_bfe_u32 s0, s10, 0x10014
	s_add_i32 s12, s10, s0
	s_add_i32 s0, s12, 0x487ffff
	s_lshr_b32 s90, s0, 20
	s_mov_b32 s0, 0x46000000
	v_add_f32_e64 v14, |v4|, s0
	v_readfirstlane_b32 s0, v14
	s_and_b32 s0, s0, 0xff
	s_cmp_lg_u32 s0, 0
	s_cselect_b64 s[56:57], -1, 0
	s_cmp_gt_u32 s11, 0x477fffff
	s_cselect_b64 s[42:43], -1, 0
	s_cmp_lt_u32 s11, 0x47800000
	s_movk_i32 s0, 0x80
	s_cselect_b64 s[50:51], -1, 0
	s_cmp_gt_u32 s11, 0x37ffffff
	v_and_b32_sdwa v11, v4, s0 dst_sel:DWORD dst_unused:UNUSED_PAD src0_sel:BYTE_3 src1_sel:DWORD
	s_cselect_b64 s[0:1], -1, 0
	s_bfe_u32 s13, s10, 0x10015
	s_add_i32 s10, s10, s13
	s_add_i32 s13, s10, 0x88fffff
	s_lshr_b32 s88, s13, 21
	s_mov_b32 s13, 0x42800000
	v_add_f32_e64 v13, |v4|, s13
	v_readfirstlane_b32 s13, v13
	s_and_b32 s13, s13, 0xff
	s_cmp_lg_u32 s13, 0
	s_cselect_b64 s[52:53], -1, 0
	s_cmp_gt_u32 s11, 0x43efffff
	s_cselect_b64 s[46:47], -1, 0
	s_cmp_lt_u32 s11, 0x3c800000
	s_cselect_b64 s[48:49], -1, 0
	s_add_i32 s12, s12, 0x407ffff
	s_lshr_b32 s13, s12, 20
	s_and_b32 s12, s12, 0xff00000
	s_cmp_lg_u32 s12, 0x7f00000
	s_cselect_b32 s86, s13, 0x7e
	s_cmp_lt_u32 s11, 0x38800000
	s_cselect_b64 s[44:45], -1, 0
	s_add_i32 s10, s10, 0x80fffff
	s_lshr_b32 s83, s10, 21
	v_lshrrev_b32_e32 v0, 23, v4
	s_mov_b32 s12, 0x46800000
	s_cmp_gt_u32 s11, 0x7f800000
	s_movk_i32 s10, 0x7f
	v_add_u32_e32 v15, v0, v1
	v_add_f32_e64 v0, |v4|, s12
	s_cselect_b32 s89, s10, 0x7e
	s_mov_b32 s10, 0x43000000
	v_readfirstlane_b32 s87, v0
	v_add_f32_e64 v0, |v4|, s10
	v_readfirstlane_b32 s84, v0
	v_bfe_u32 v0, v4, 16, 1
	v_cvt_f16_f32_e32 v8, v4
	v_add_u32_e32 v0, v4, v0
	s_movk_i32 s10, 0x7c
	v_add_u32_e32 v0, 0x7fff, v0
	s_mov_b64 s[74:75], 0
	s_cselect_b32 s85, 0x7f, s10
	v_lshrrev_b32_e32 v12, 16, v0
	v_cndmask_b32_e64 v10, 0, 1, s[8:9]
	v_cvt_f64_i32_e32 v[0:1], s18
	v_cmp_gt_i32_e32 vcc, s91, v9
	s_mov_b64 s[10:11], -1
	s_mov_b64 s[68:69], 0
	s_and_saveexec_b64 s[70:71], vcc
	s_cbranch_execz .LBB23_114
; %bb.2:
	s_andn2_b64 vcc, exec, s[36:37]
	s_cbranch_vccnz .LBB23_7
; %bb.3:
	s_andn2_b64 vcc, exec, s[66:67]
	s_cbranch_vccnz .LBB23_8
; %bb.4:
	s_add_i32 s77, s92, 1
	s_mov_b32 s76, 0
	s_cmp_eq_u32 s82, 2
	v_mov_b32_e32 v2, 0
	s_cbranch_scc1 .LBB23_9
; %bb.5:
	s_and_b32 s76, s77, 28
	s_mov_b32 s78, 0
	v_mov_b32_e32 v2, 0
	s_mov_b64 s[68:69], s[4:5]
	s_mov_b64 s[72:73], s[64:65]
	v_mov_b32_e32 v5, v9
.LBB23_6:                               ; =>This Inner Loop Header: Depth=1
	s_load_dwordx8 s[8:15], s[68:69], 0x4
	s_load_dwordx4 s[24:27], s[68:69], 0x24
	s_load_dwordx4 s[28:31], s[72:73], 0x0
	s_add_u32 s68, s68, 48
	s_addc_u32 s69, s69, 0
	s_waitcnt lgkmcnt(0)
	v_mul_hi_u32 v3, s9, v5
	v_add_u32_e32 v3, v5, v3
	v_lshrrev_b32_e32 v3, s10, v3
	v_mul_lo_u32 v6, v3, s8
	v_mul_hi_u32 v7, s12, v3
	v_sub_u32_e32 v5, v5, v6
	v_add_u32_e32 v6, v3, v7
	v_lshrrev_b32_e32 v6, s13, v6
	v_mul_lo_u32 v7, v6, s11
	v_mul_hi_u32 v16, s15, v6
	v_sub_u32_e32 v3, v3, v7
	v_add_u32_e32 v7, v6, v16
	v_mul_lo_u32 v5, v5, s28
	v_mul_lo_u32 v3, v3, s29
	v_lshrrev_b32_e32 v7, s24, v7
	v_add3_u32 v2, v5, v2, v3
	v_mul_hi_u32 v5, s26, v7
	v_add_u32_e32 v5, v7, v5
	v_mul_lo_u32 v3, v7, s14
	v_lshrrev_b32_e32 v5, s27, v5
	s_add_i32 s78, s78, 4
	v_sub_u32_e32 v3, v6, v3
	v_mul_lo_u32 v6, v5, s25
	s_add_u32 s72, s72, 16
	v_sub_u32_e32 v6, v7, v6
	s_addc_u32 s73, s73, 0
	v_mul_lo_u32 v3, v3, s30
	v_mul_lo_u32 v6, v6, s31
	s_cmp_lg_u32 s76, s78
	v_add3_u32 v2, v3, v2, v6
	s_cbranch_scc1 .LBB23_6
	s_branch .LBB23_10
.LBB23_7:
                                        ; implicit-def: $vgpr2
	s_branch .LBB23_14
.LBB23_8:
	v_mov_b32_e32 v2, 0
	s_branch .LBB23_13
.LBB23_9:
	v_mov_b32_e32 v5, v9
.LBB23_10:
	s_and_b32 s12, s77, 3
	s_cmp_eq_u32 s12, 0
	s_cbranch_scc1 .LBB23_13
; %bb.11:
	s_lshl_b32 s8, s76, 2
	s_add_u32 s8, s8, s4
	s_addc_u32 s9, s5, 0
	s_add_u32 s8, s8, 0xc4
	s_addc_u32 s9, s9, 0
	s_mul_i32 s10, s76, 12
	s_add_u32 s10, s4, s10
	s_addc_u32 s11, s5, 0
.LBB23_12:                              ; =>This Inner Loop Header: Depth=1
	s_load_dwordx2 s[14:15], s[10:11], 0x4
	s_load_dword s13, s[10:11], 0xc
	s_load_dword s24, s[8:9], 0x0
	s_add_u32 s10, s10, 12
	s_addc_u32 s11, s11, 0
	s_waitcnt lgkmcnt(0)
	v_mul_hi_u32 v3, s15, v5
	v_add_u32_e32 v3, v5, v3
	v_lshrrev_b32_e32 v3, s13, v3
	s_add_u32 s8, s8, 4
	v_mul_lo_u32 v6, v3, s14
	s_addc_u32 s9, s9, 0
	s_add_i32 s12, s12, -1
	v_sub_u32_e32 v6, v5, v6
	s_cmp_lg_u32 s12, 0
	v_mov_b32_e32 v5, v3
	v_mad_u64_u32 v[2:3], s[14:15], v6, s24, v[2:3]
	s_cbranch_scc1 .LBB23_12
.LBB23_13:
	s_cbranch_execnz .LBB23_16
.LBB23_14:
	v_mul_hi_u32 v2, s21, v9
	v_add_u32_e32 v2, v9, v2
	v_lshrrev_b32_e32 v3, s22, v2
	v_mul_lo_u32 v2, v3, s20
	v_sub_u32_e32 v2, v9, v2
	s_andn2_b64 vcc, exec, s[62:63]
	v_mul_lo_u32 v2, v2, s58
	s_cbranch_vccnz .LBB23_16
; %bb.15:
	v_mul_hi_u32 v5, s60, v3
	v_add_u32_e32 v5, v3, v5
	v_lshrrev_b32_e32 v5, s61, v5
	v_mul_lo_u32 v5, v5, s23
	v_sub_u32_e32 v3, v3, v5
	v_mad_u64_u32 v[2:3], s[8:9], v3, s59, v[2:3]
.LBB23_16:
	v_mov_b32_e32 v3, s17
	v_add_co_u32_e32 v6, vcc, s16, v2
	v_mov_b32_e32 v2, 11
	v_addc_co_u32_e32 v7, vcc, 0, v3, vcc
	v_cmp_lt_i16_sdwa s[8:9], s19, v2 src0_sel:BYTE_0 src1_sel:DWORD
	s_and_b64 vcc, exec, s[8:9]
	s_cbranch_vccnz .LBB23_23
; %bb.17:
	v_mov_b32_e32 v2, 25
	v_cmp_gt_i16_sdwa s[8:9], s19, v2 src0_sel:BYTE_0 src1_sel:DWORD
	s_and_b64 vcc, exec, s[8:9]
	s_cbranch_vccz .LBB23_26
; %bb.18:
	v_mov_b32_e32 v2, 28
	v_cmp_gt_i16_sdwa s[8:9], s19, v2 src0_sel:BYTE_0 src1_sel:DWORD
	s_and_b64 vcc, exec, s[8:9]
	s_cbranch_vccz .LBB23_27
	;; [unrolled: 5-line block ×4, first 2 shown]
; %bb.21:
	v_mov_b32_e32 v2, 46
	v_cmp_eq_u16_sdwa s[10:11], s19, v2 src0_sel:BYTE_0 src1_sel:DWORD
	s_mov_b64 s[12:13], 0
	s_mov_b64 s[8:9], -1
	s_and_b64 vcc, exec, s[10:11]
	s_mov_b64 s[10:11], 0
	s_cbranch_vccz .LBB23_30
; %bb.22:
	global_store_dword v[6:7], v12, off
	s_mov_b64 s[10:11], -1
	s_mov_b64 s[8:9], 0
	s_branch .LBB23_30
.LBB23_23:
	s_mov_b64 s[8:9], 0
	s_mov_b64 s[10:11], 0
	s_cbranch_execnz .LBB23_74
.LBB23_24:
	s_andn2_b64 vcc, exec, s[10:11]
	s_cbranch_vccnz .LBB23_112
.LBB23_25:
	v_add_u32_e32 v9, 0x80, v9
	s_mov_b64 s[10:11], -1
	s_branch .LBB23_113
.LBB23_26:
	s_mov_b64 s[8:9], 0
	s_mov_b64 s[10:11], 0
	s_cbranch_execnz .LBB23_52
	s_branch .LBB23_73
.LBB23_27:
	s_mov_b64 s[12:13], -1
	s_mov_b64 s[8:9], 0
	s_mov_b64 s[10:11], 0
	s_branch .LBB23_38
.LBB23_28:
	s_mov_b64 s[12:13], -1
	s_mov_b64 s[8:9], 0
	s_mov_b64 s[10:11], 0
	s_branch .LBB23_34
.LBB23_29:
	s_mov_b64 s[12:13], -1
	s_mov_b64 s[8:9], 0
	s_mov_b64 s[10:11], 0
.LBB23_30:
	s_and_b64 vcc, exec, s[12:13]
	s_cbranch_vccz .LBB23_33
; %bb.31:
	v_mov_b32_e32 v2, 44
	v_cmp_eq_u16_sdwa s[12:13], s19, v2 src0_sel:BYTE_0 src1_sel:DWORD
	s_mov_b64 s[8:9], -1
	s_and_b64 vcc, exec, s[12:13]
	s_cbranch_vccz .LBB23_33
; %bb.32:
	v_mov_b32_e32 v2, 0xff
	v_cndmask_b32_e64 v2, v15, v2, s[6:7]
	global_store_byte v[6:7], v2, off
	s_mov_b64 s[10:11], -1
	s_mov_b64 s[8:9], 0
.LBB23_33:
	s_mov_b64 s[12:13], 0
.LBB23_34:
	s_and_b64 vcc, exec, s[12:13]
	s_cbranch_vccz .LBB23_37
; %bb.35:
	v_mov_b32_e32 v2, 29
	v_cmp_eq_u16_sdwa s[12:13], s19, v2 src0_sel:BYTE_0 src1_sel:DWORD
	s_mov_b64 s[8:9], -1
	s_and_b64 vcc, exec, s[12:13]
	s_cbranch_vccz .LBB23_37
; %bb.36:
	v_pk_mov_b32 v[2:3], s[40:41], s[40:41] op_sel:[0,1]
	global_store_dwordx2 v[6:7], v[2:3], off
	s_mov_b64 s[10:11], -1
	s_mov_b64 s[8:9], 0
.LBB23_37:
	s_mov_b64 s[12:13], 0
.LBB23_38:
	s_and_b64 vcc, exec, s[12:13]
	s_cbranch_vccz .LBB23_51
; %bb.39:
	v_mov_b32_e32 v2, 27
	v_cmp_lt_i16_sdwa s[12:13], s19, v2 src0_sel:BYTE_0 src1_sel:DWORD
	s_mov_b64 s[10:11], -1
	s_and_b64 vcc, exec, s[12:13]
	s_cbranch_vccnz .LBB23_45
; %bb.40:
	v_cmp_gt_i16_sdwa s[12:13], s19, v2 src0_sel:BYTE_0 src1_sel:DWORD
	s_and_b64 vcc, exec, s[12:13]
	s_cbranch_vccz .LBB23_42
; %bb.41:
	v_mov_b32_e32 v2, s18
	s_mov_b64 s[10:11], 0
	global_store_dword v[6:7], v2, off
.LBB23_42:
	s_andn2_b64 vcc, exec, s[10:11]
	s_cbranch_vccnz .LBB23_44
; %bb.43:
	v_mov_b32_e32 v2, s18
	global_store_short v[6:7], v2, off
.LBB23_44:
	s_mov_b64 s[10:11], 0
.LBB23_45:
	s_andn2_b64 vcc, exec, s[10:11]
	s_cbranch_vccnz .LBB23_50
; %bb.46:
	s_andn2_b64 vcc, exec, s[54:55]
	v_mov_b32_e32 v2, 0x80
	s_cbranch_vccnz .LBB23_49
; %bb.47:
	s_or_b64 s[10:11], s[2:3], s[56:57]
	s_andn2_b64 vcc, exec, s[10:11]
	v_mov_b32_e32 v2, 0
	s_cbranch_vccnz .LBB23_49
; %bb.48:
	v_mov_b32_e32 v2, s90
	v_cndmask_b32_e64 v2, v14, v2, s[2:3]
	v_or_b32_e32 v2, v2, v11
.LBB23_49:
	global_store_byte v[6:7], v2, off
.LBB23_50:
	s_mov_b64 s[10:11], -1
.LBB23_51:
	s_branch .LBB23_73
.LBB23_52:
	v_mov_b32_e32 v2, 22
	v_cmp_gt_i16_sdwa s[14:15], s19, v2 src0_sel:BYTE_0 src1_sel:DWORD
	s_mov_b64 s[12:13], -1
	s_and_b64 vcc, exec, s[14:15]
	s_cbranch_vccz .LBB23_65
; %bb.53:
	v_mov_b32_e32 v2, 24
	v_cmp_lt_i16_sdwa s[12:13], s19, v2 src0_sel:BYTE_0 src1_sel:DWORD
	s_mov_b64 s[10:11], -1
	s_and_b64 vcc, exec, s[12:13]
	s_cbranch_vccnz .LBB23_62
; %bb.54:
	v_cmp_gt_i16_sdwa s[12:13], s19, v2 src0_sel:BYTE_0 src1_sel:DWORD
	s_and_b64 vcc, exec, s[12:13]
	s_cbranch_vccz .LBB23_59
; %bb.55:
	s_andn2_b64 vcc, exec, s[50:51]
	v_mov_b32_e32 v2, 0x80
	s_cbranch_vccnz .LBB23_58
; %bb.56:
	s_or_b64 s[10:11], s[0:1], s[52:53]
	s_andn2_b64 vcc, exec, s[10:11]
	v_mov_b32_e32 v2, 0
	s_cbranch_vccnz .LBB23_58
; %bb.57:
	v_mov_b32_e32 v2, s88
	v_cndmask_b32_e64 v2, v13, v2, s[0:1]
	v_or_b32_e32 v2, v2, v11
.LBB23_58:
	s_mov_b64 s[10:11], 0
	global_store_byte v[6:7], v2, off
.LBB23_59:
	s_and_b64 vcc, exec, s[10:11]
	s_cbranch_vccz .LBB23_61
; %bb.60:
	s_and_b64 s[10:11], s[48:49], exec
	s_cselect_b32 s12, s87, s86
	s_and_b64 s[10:11], s[46:47], exec
	s_cselect_b32 s10, s89, s12
	v_or_b32_e32 v2, s10, v11
	global_store_byte v[6:7], v2, off
.LBB23_61:
	s_mov_b64 s[10:11], 0
.LBB23_62:
	s_andn2_b64 vcc, exec, s[10:11]
	s_cbranch_vccnz .LBB23_64
; %bb.63:
	s_and_b64 s[10:11], s[44:45], exec
	s_cselect_b32 s12, s84, s83
	s_and_b64 s[10:11], s[42:43], exec
	s_cselect_b32 s10, s85, s12
	v_or_b32_e32 v2, s10, v11
	global_store_byte v[6:7], v2, off
.LBB23_64:
	s_mov_b64 s[12:13], 0
	s_mov_b64 s[10:11], -1
.LBB23_65:
	s_andn2_b64 vcc, exec, s[12:13]
	s_cbranch_vccnz .LBB23_73
; %bb.66:
	v_mov_b32_e32 v2, 14
	v_cmp_gt_i16_sdwa s[14:15], s19, v2 src0_sel:BYTE_0 src1_sel:DWORD
	s_mov_b64 s[12:13], -1
	s_and_b64 vcc, exec, s[14:15]
	s_cbranch_vccz .LBB23_70
; %bb.67:
	v_mov_b32_e32 v2, 15
	v_cmp_eq_u16_sdwa s[12:13], s19, v2 src0_sel:BYTE_0 src1_sel:DWORD
	s_mov_b64 s[8:9], -1
	s_and_b64 vcc, exec, s[12:13]
	s_cbranch_vccz .LBB23_69
; %bb.68:
	global_store_short v[6:7], v12, off
	s_mov_b64 s[10:11], -1
	s_mov_b64 s[8:9], 0
.LBB23_69:
	s_mov_b64 s[12:13], 0
.LBB23_70:
	s_and_b64 vcc, exec, s[12:13]
	s_cbranch_vccz .LBB23_73
; %bb.71:
	v_mov_b32_e32 v2, 11
	v_cmp_eq_u16_sdwa s[12:13], s19, v2 src0_sel:BYTE_0 src1_sel:DWORD
	s_mov_b64 s[8:9], -1
	s_and_b64 vcc, exec, s[12:13]
	s_cbranch_vccz .LBB23_73
; %bb.72:
	s_mov_b64 s[10:11], -1
	s_mov_b64 s[8:9], 0
	global_store_byte v[6:7], v10, off
.LBB23_73:
	s_branch .LBB23_24
.LBB23_74:
	v_mov_b32_e32 v2, 5
	v_cmp_lt_i16_sdwa s[12:13], s19, v2 src0_sel:BYTE_0 src1_sel:DWORD
	s_mov_b64 s[10:11], -1
	s_and_b64 vcc, exec, s[12:13]
	s_cbranch_vccnz .LBB23_95
; %bb.75:
	v_mov_b32_e32 v2, 8
	v_cmp_lt_i16_sdwa s[12:13], s19, v2 src0_sel:BYTE_0 src1_sel:DWORD
	s_and_b64 vcc, exec, s[12:13]
	s_cbranch_vccnz .LBB23_85
; %bb.76:
	v_mov_b32_e32 v2, 9
	v_cmp_lt_i16_sdwa s[12:13], s19, v2 src0_sel:BYTE_0 src1_sel:DWORD
	s_and_b64 vcc, exec, s[12:13]
	s_cbranch_vccnz .LBB23_82
; %bb.77:
	v_cmp_gt_i16_sdwa s[12:13], s19, v2 src0_sel:BYTE_0 src1_sel:DWORD
	s_and_b64 vcc, exec, s[12:13]
	s_cbranch_vccz .LBB23_79
; %bb.78:
	v_mov_b32_e32 v2, 0
	v_mov_b32_e32 v3, v2
	global_store_dwordx4 v[6:7], v[0:3], off
	s_mov_b64 s[10:11], 0
.LBB23_79:
	s_andn2_b64 vcc, exec, s[10:11]
	s_cbranch_vccnz .LBB23_81
; %bb.80:
	v_mov_b32_e32 v5, 0
	global_store_dwordx2 v[6:7], v[4:5], off
.LBB23_81:
	s_mov_b64 s[10:11], 0
.LBB23_82:
	s_andn2_b64 vcc, exec, s[10:11]
	s_cbranch_vccnz .LBB23_84
; %bb.83:
	global_store_dword v[6:7], v8, off
.LBB23_84:
	s_mov_b64 s[10:11], 0
.LBB23_85:
	s_andn2_b64 vcc, exec, s[10:11]
	s_cbranch_vccnz .LBB23_94
; %bb.86:
	v_mov_b32_e32 v2, 6
	v_cmp_lt_i16_sdwa s[12:13], s19, v2 src0_sel:BYTE_0 src1_sel:DWORD
	s_mov_b64 s[10:11], -1
	s_and_b64 vcc, exec, s[12:13]
	s_cbranch_vccnz .LBB23_92
; %bb.87:
	v_cmp_gt_i16_sdwa s[12:13], s19, v2 src0_sel:BYTE_0 src1_sel:DWORD
	s_and_b64 vcc, exec, s[12:13]
	s_cbranch_vccz .LBB23_89
; %bb.88:
	global_store_dwordx2 v[6:7], v[0:1], off
	s_mov_b64 s[10:11], 0
.LBB23_89:
	s_andn2_b64 vcc, exec, s[10:11]
	s_cbranch_vccnz .LBB23_91
; %bb.90:
	global_store_dword v[6:7], v4, off
.LBB23_91:
	s_mov_b64 s[10:11], 0
.LBB23_92:
	s_andn2_b64 vcc, exec, s[10:11]
	s_cbranch_vccnz .LBB23_94
; %bb.93:
	global_store_short v[6:7], v8, off
.LBB23_94:
	s_mov_b64 s[10:11], 0
.LBB23_95:
	s_andn2_b64 vcc, exec, s[10:11]
	s_cbranch_vccnz .LBB23_111
; %bb.96:
	v_mov_b32_e32 v2, 2
	v_cmp_lt_i16_sdwa s[12:13], s19, v2 src0_sel:BYTE_0 src1_sel:DWORD
	s_mov_b64 s[10:11], -1
	s_and_b64 vcc, exec, s[12:13]
	s_cbranch_vccnz .LBB23_106
; %bb.97:
	v_mov_b32_e32 v2, 3
	v_cmp_lt_i16_sdwa s[12:13], s19, v2 src0_sel:BYTE_0 src1_sel:DWORD
	s_and_b64 vcc, exec, s[12:13]
	s_cbranch_vccnz .LBB23_103
; %bb.98:
	v_cmp_gt_i16_sdwa s[12:13], s19, v2 src0_sel:BYTE_0 src1_sel:DWORD
	s_and_b64 vcc, exec, s[12:13]
	s_cbranch_vccz .LBB23_100
; %bb.99:
	v_pk_mov_b32 v[2:3], s[40:41], s[40:41] op_sel:[0,1]
	global_store_dwordx2 v[6:7], v[2:3], off
	s_mov_b64 s[10:11], 0
.LBB23_100:
	s_andn2_b64 vcc, exec, s[10:11]
	s_cbranch_vccnz .LBB23_102
; %bb.101:
	v_mov_b32_e32 v2, s18
	global_store_dword v[6:7], v2, off
.LBB23_102:
	s_mov_b64 s[10:11], 0
.LBB23_103:
	s_andn2_b64 vcc, exec, s[10:11]
	s_cbranch_vccnz .LBB23_105
; %bb.104:
	v_mov_b32_e32 v2, s18
	global_store_short v[6:7], v2, off
.LBB23_105:
	s_mov_b64 s[10:11], 0
.LBB23_106:
	s_andn2_b64 vcc, exec, s[10:11]
	s_cbranch_vccnz .LBB23_111
; %bb.107:
	v_mov_b32_e32 v2, 0
	v_cmp_gt_i16_sdwa s[12:13], s19, v2 src0_sel:BYTE_0 src1_sel:DWORD
	s_mov_b64 s[10:11], -1
	s_and_b64 vcc, exec, s[12:13]
	s_cbranch_vccz .LBB23_109
; %bb.108:
	v_mov_b32_e32 v2, s18
	global_store_byte v[6:7], v2, off
	s_mov_b64 s[10:11], 0
.LBB23_109:
	s_andn2_b64 vcc, exec, s[10:11]
	s_cbranch_vccnz .LBB23_111
; %bb.110:
	v_mov_b32_e32 v2, s18
	global_store_byte v[6:7], v2, off
.LBB23_111:
	s_branch .LBB23_25
.LBB23_112:
	s_mov_b64 s[10:11], 0
                                        ; implicit-def: $vgpr9
.LBB23_113:
	s_and_b64 s[68:69], s[8:9], exec
	s_orn2_b64 s[10:11], s[10:11], exec
.LBB23_114:
	s_or_b64 exec, exec, s[70:71]
	s_mov_b64 s[8:9], 0
                                        ; implicit-def: $vgpr16
                                        ; implicit-def: $vgpr6_vgpr7
	s_and_saveexec_b64 s[70:71], s[10:11]
	s_cbranch_execz .LBB23_121
; %bb.115:
	v_cmp_gt_i32_e32 vcc, s91, v9
	s_mov_b64 s[8:9], -1
	s_mov_b64 s[72:73], s[68:69]
	s_and_saveexec_b64 s[74:75], vcc
	s_cbranch_execz .LBB23_232
; %bb.116:
	s_andn2_b64 vcc, exec, s[36:37]
	s_cbranch_vccnz .LBB23_124
; %bb.117:
	s_andn2_b64 vcc, exec, s[66:67]
	s_cbranch_vccnz .LBB23_125
; %bb.118:
	s_add_i32 s79, s92, 1
	s_mov_b32 s78, 0
	s_cmp_eq_u32 s82, 2
	v_mov_b32_e32 v2, 0
	s_cbranch_scc1 .LBB23_126
; %bb.119:
	s_and_b32 s78, s79, 28
	s_mov_b32 s80, 0
	v_mov_b32_e32 v2, 0
	s_mov_b64 s[72:73], s[4:5]
	s_mov_b64 s[76:77], s[64:65]
	v_mov_b32_e32 v5, v9
.LBB23_120:                             ; =>This Inner Loop Header: Depth=1
	s_load_dwordx8 s[8:15], s[72:73], 0x4
	s_load_dwordx4 s[24:27], s[72:73], 0x24
	s_load_dwordx4 s[28:31], s[76:77], 0x0
	s_add_u32 s72, s72, 48
	s_addc_u32 s73, s73, 0
	s_waitcnt lgkmcnt(0)
	v_mul_hi_u32 v3, s9, v5
	v_add_u32_e32 v3, v5, v3
	v_lshrrev_b32_e32 v3, s10, v3
	v_mul_lo_u32 v6, v3, s8
	v_mul_hi_u32 v7, s12, v3
	v_sub_u32_e32 v5, v5, v6
	v_add_u32_e32 v6, v3, v7
	v_lshrrev_b32_e32 v6, s13, v6
	v_mul_lo_u32 v7, v6, s11
	v_mul_hi_u32 v16, s15, v6
	v_sub_u32_e32 v3, v3, v7
	v_add_u32_e32 v7, v6, v16
	v_mul_lo_u32 v5, v5, s28
	v_mul_lo_u32 v3, v3, s29
	v_lshrrev_b32_e32 v7, s24, v7
	v_add3_u32 v2, v5, v2, v3
	v_mul_hi_u32 v5, s26, v7
	v_add_u32_e32 v5, v7, v5
	v_mul_lo_u32 v3, v7, s14
	v_lshrrev_b32_e32 v5, s27, v5
	s_add_i32 s80, s80, 4
	v_sub_u32_e32 v3, v6, v3
	v_mul_lo_u32 v6, v5, s25
	s_add_u32 s76, s76, 16
	v_sub_u32_e32 v6, v7, v6
	s_addc_u32 s77, s77, 0
	v_mul_lo_u32 v3, v3, s30
	v_mul_lo_u32 v6, v6, s31
	s_cmp_eq_u32 s78, s80
	v_add3_u32 v2, v3, v2, v6
	s_cbranch_scc0 .LBB23_120
	s_branch .LBB23_127
.LBB23_121:
	s_or_b64 exec, exec, s[70:71]
	s_mov_b64 s[0:1], 0
	s_and_saveexec_b64 s[2:3], s[68:69]
	s_cbranch_execnz .LBB23_422
.LBB23_122:
	s_or_b64 exec, exec, s[2:3]
	s_and_saveexec_b64 s[2:3], s[74:75]
	s_xor_b64 s[2:3], exec, s[2:3]
	s_cbranch_execz .LBB23_423
.LBB23_123:
	global_store_byte v[6:7], v10, off
	s_or_b64 exec, exec, s[2:3]
	s_and_saveexec_b64 s[2:3], s[8:9]
	s_xor_b64 s[2:3], exec, s[2:3]
	s_cbranch_execz .LBB23_461
	s_branch .LBB23_424
.LBB23_124:
                                        ; implicit-def: $vgpr2
	s_andn2_b64 vcc, exec, s[8:9]
	s_cbranch_vccz .LBB23_131
	s_branch .LBB23_133
.LBB23_125:
	v_mov_b32_e32 v2, 0
	s_branch .LBB23_130
.LBB23_126:
	v_mov_b32_e32 v5, v9
.LBB23_127:
	s_and_b32 s12, s79, 3
	s_cmp_eq_u32 s12, 0
	s_cbranch_scc1 .LBB23_130
; %bb.128:
	s_lshl_b32 s8, s78, 2
	s_add_u32 s8, s8, s4
	s_addc_u32 s9, s5, 0
	s_add_u32 s8, s8, 0xc4
	s_addc_u32 s9, s9, 0
	s_mul_i32 s10, s78, 12
	s_add_u32 s10, s4, s10
	s_addc_u32 s11, s5, 0
.LBB23_129:                             ; =>This Inner Loop Header: Depth=1
	s_load_dwordx2 s[14:15], s[10:11], 0x4
	s_load_dword s13, s[10:11], 0xc
	s_load_dword s24, s[8:9], 0x0
	s_add_u32 s10, s10, 12
	s_addc_u32 s11, s11, 0
	s_waitcnt lgkmcnt(0)
	v_mul_hi_u32 v3, s15, v5
	v_add_u32_e32 v3, v5, v3
	v_lshrrev_b32_e32 v3, s13, v3
	s_add_u32 s8, s8, 4
	v_mul_lo_u32 v6, v3, s14
	s_addc_u32 s9, s9, 0
	s_add_i32 s12, s12, -1
	v_sub_u32_e32 v6, v5, v6
	s_cmp_lg_u32 s12, 0
	v_mov_b32_e32 v5, v3
	v_mad_u64_u32 v[2:3], s[14:15], v6, s24, v[2:3]
	s_cbranch_scc1 .LBB23_129
.LBB23_130:
	s_cbranch_execnz .LBB23_133
.LBB23_131:
	v_mul_hi_u32 v2, s21, v9
	v_add_u32_e32 v2, v9, v2
	v_lshrrev_b32_e32 v3, s22, v2
	v_mul_lo_u32 v2, v3, s20
	v_sub_u32_e32 v2, v9, v2
	s_andn2_b64 vcc, exec, s[62:63]
	v_mul_lo_u32 v2, v2, s58
	s_cbranch_vccnz .LBB23_133
; %bb.132:
	v_mul_hi_u32 v5, s60, v3
	v_add_u32_e32 v5, v3, v5
	v_lshrrev_b32_e32 v5, s61, v5
	v_mul_lo_u32 v5, v5, s23
	v_sub_u32_e32 v3, v3, v5
	v_mad_u64_u32 v[2:3], s[8:9], v3, s59, v[2:3]
.LBB23_133:
	v_mov_b32_e32 v3, s17
	v_add_co_u32_e32 v6, vcc, s16, v2
	v_mov_b32_e32 v2, 11
	v_addc_co_u32_e32 v7, vcc, 0, v3, vcc
	v_cmp_lt_i16_sdwa s[8:9], s19, v2 src0_sel:BYTE_0 src1_sel:DWORD
	s_and_b64 vcc, exec, s[8:9]
	s_cbranch_vccnz .LBB23_140
; %bb.134:
	v_mov_b32_e32 v2, 25
	v_cmp_gt_i16_sdwa s[8:9], s19, v2 src0_sel:BYTE_0 src1_sel:DWORD
	s_and_b64 vcc, exec, s[8:9]
	s_cbranch_vccz .LBB23_143
; %bb.135:
	v_mov_b32_e32 v2, 28
	v_cmp_gt_i16_sdwa s[8:9], s19, v2 src0_sel:BYTE_0 src1_sel:DWORD
	s_and_b64 vcc, exec, s[8:9]
	s_cbranch_vccz .LBB23_144
	;; [unrolled: 5-line block ×4, first 2 shown]
; %bb.138:
	v_mov_b32_e32 v2, 46
	v_cmp_eq_u16_sdwa s[10:11], s19, v2 src0_sel:BYTE_0 src1_sel:DWORD
	s_mov_b64 s[12:13], 0
	s_mov_b64 s[8:9], -1
	s_and_b64 vcc, exec, s[10:11]
	s_mov_b64 s[10:11], 0
	s_cbranch_vccz .LBB23_147
; %bb.139:
	global_store_dword v[6:7], v12, off
	s_mov_b64 s[10:11], -1
	s_mov_b64 s[8:9], 0
	s_branch .LBB23_147
.LBB23_140:
	s_mov_b64 s[10:11], 0
	s_mov_b64 s[8:9], s[68:69]
	s_cbranch_execnz .LBB23_192
.LBB23_141:
	s_andn2_b64 vcc, exec, s[10:11]
	s_cbranch_vccnz .LBB23_230
.LBB23_142:
	v_add_u32_e32 v9, 0x80, v9
	s_mov_b64 s[10:11], -1
	s_branch .LBB23_231
.LBB23_143:
	s_mov_b64 s[12:13], -1
	s_mov_b64 s[10:11], 0
	s_mov_b64 s[8:9], s[68:69]
	s_branch .LBB23_169
.LBB23_144:
	s_mov_b64 s[12:13], -1
	s_mov_b64 s[10:11], 0
	s_mov_b64 s[8:9], s[68:69]
	s_branch .LBB23_155
.LBB23_145:
	s_mov_b64 s[12:13], -1
	s_mov_b64 s[10:11], 0
	s_mov_b64 s[8:9], s[68:69]
	s_branch .LBB23_151
.LBB23_146:
	s_mov_b64 s[12:13], -1
	s_mov_b64 s[10:11], 0
	s_mov_b64 s[8:9], s[68:69]
.LBB23_147:
	s_and_b64 vcc, exec, s[12:13]
	s_cbranch_vccz .LBB23_150
; %bb.148:
	v_mov_b32_e32 v2, 44
	v_cmp_eq_u16_sdwa s[12:13], s19, v2 src0_sel:BYTE_0 src1_sel:DWORD
	s_mov_b64 s[8:9], -1
	s_and_b64 vcc, exec, s[12:13]
	s_cbranch_vccz .LBB23_150
; %bb.149:
	v_mov_b32_e32 v2, 0xff
	v_cndmask_b32_e64 v2, v15, v2, s[6:7]
	s_mov_b64 s[10:11], -1
	s_mov_b64 s[8:9], 0
	global_store_byte v[6:7], v2, off
.LBB23_150:
	s_mov_b64 s[12:13], 0
.LBB23_151:
	s_and_b64 vcc, exec, s[12:13]
	s_cbranch_vccz .LBB23_154
; %bb.152:
	v_mov_b32_e32 v2, 29
	v_cmp_eq_u16_sdwa s[12:13], s19, v2 src0_sel:BYTE_0 src1_sel:DWORD
	s_mov_b64 s[8:9], -1
	s_and_b64 vcc, exec, s[12:13]
	s_cbranch_vccz .LBB23_154
; %bb.153:
	v_pk_mov_b32 v[2:3], s[40:41], s[40:41] op_sel:[0,1]
	global_store_dwordx2 v[6:7], v[2:3], off
	s_mov_b64 s[10:11], -1
	s_mov_b64 s[8:9], 0
.LBB23_154:
	s_mov_b64 s[12:13], 0
.LBB23_155:
	s_and_b64 vcc, exec, s[12:13]
	s_cbranch_vccz .LBB23_168
; %bb.156:
	v_mov_b32_e32 v2, 27
	v_cmp_lt_i16_sdwa s[12:13], s19, v2 src0_sel:BYTE_0 src1_sel:DWORD
	s_mov_b64 s[10:11], -1
	s_and_b64 vcc, exec, s[12:13]
	s_cbranch_vccnz .LBB23_162
; %bb.157:
	v_cmp_gt_i16_sdwa s[12:13], s19, v2 src0_sel:BYTE_0 src1_sel:DWORD
	s_and_b64 vcc, exec, s[12:13]
	s_cbranch_vccz .LBB23_159
; %bb.158:
	v_mov_b32_e32 v2, s18
	s_mov_b64 s[10:11], 0
	global_store_dword v[6:7], v2, off
.LBB23_159:
	s_andn2_b64 vcc, exec, s[10:11]
	s_cbranch_vccnz .LBB23_161
; %bb.160:
	v_mov_b32_e32 v2, s18
	global_store_short v[6:7], v2, off
.LBB23_161:
	s_mov_b64 s[10:11], 0
.LBB23_162:
	s_andn2_b64 vcc, exec, s[10:11]
	s_cbranch_vccnz .LBB23_167
; %bb.163:
	s_andn2_b64 vcc, exec, s[54:55]
	v_mov_b32_e32 v2, 0x80
	s_cbranch_vccnz .LBB23_166
; %bb.164:
	s_or_b64 s[10:11], s[2:3], s[56:57]
	s_andn2_b64 vcc, exec, s[10:11]
	v_mov_b32_e32 v2, 0
	s_cbranch_vccnz .LBB23_166
; %bb.165:
	v_mov_b32_e32 v2, s90
	v_cndmask_b32_e64 v2, v14, v2, s[2:3]
	v_or_b32_e32 v2, v2, v11
.LBB23_166:
	global_store_byte v[6:7], v2, off
.LBB23_167:
	s_mov_b64 s[10:11], -1
.LBB23_168:
	s_mov_b64 s[12:13], 0
.LBB23_169:
	s_and_b64 vcc, exec, s[12:13]
	s_cbranch_vccz .LBB23_191
; %bb.170:
	v_mov_b32_e32 v2, 22
	v_cmp_gt_i16_sdwa s[14:15], s19, v2 src0_sel:BYTE_0 src1_sel:DWORD
	s_mov_b64 s[12:13], -1
	s_and_b64 vcc, exec, s[14:15]
	s_cbranch_vccz .LBB23_183
; %bb.171:
	v_mov_b32_e32 v2, 24
	v_cmp_lt_i16_sdwa s[12:13], s19, v2 src0_sel:BYTE_0 src1_sel:DWORD
	s_mov_b64 s[10:11], -1
	s_and_b64 vcc, exec, s[12:13]
	s_cbranch_vccnz .LBB23_180
; %bb.172:
	v_cmp_gt_i16_sdwa s[12:13], s19, v2 src0_sel:BYTE_0 src1_sel:DWORD
	s_and_b64 vcc, exec, s[12:13]
	s_cbranch_vccz .LBB23_177
; %bb.173:
	s_andn2_b64 vcc, exec, s[50:51]
	v_mov_b32_e32 v2, 0x80
	s_cbranch_vccnz .LBB23_176
; %bb.174:
	s_or_b64 s[10:11], s[0:1], s[52:53]
	s_andn2_b64 vcc, exec, s[10:11]
	v_mov_b32_e32 v2, 0
	s_cbranch_vccnz .LBB23_176
; %bb.175:
	v_mov_b32_e32 v2, s88
	v_cndmask_b32_e64 v2, v13, v2, s[0:1]
	v_or_b32_e32 v2, v2, v11
.LBB23_176:
	s_mov_b64 s[10:11], 0
	global_store_byte v[6:7], v2, off
.LBB23_177:
	s_and_b64 vcc, exec, s[10:11]
	s_cbranch_vccz .LBB23_179
; %bb.178:
	s_and_b64 s[10:11], s[48:49], exec
	s_cselect_b32 s12, s87, s86
	s_and_b64 s[10:11], s[46:47], exec
	s_cselect_b32 s10, s89, s12
	v_or_b32_e32 v2, s10, v11
	global_store_byte v[6:7], v2, off
.LBB23_179:
	s_mov_b64 s[10:11], 0
.LBB23_180:
	s_andn2_b64 vcc, exec, s[10:11]
	s_cbranch_vccnz .LBB23_182
; %bb.181:
	s_and_b64 s[10:11], s[44:45], exec
	s_cselect_b32 s12, s84, s83
	s_and_b64 s[10:11], s[42:43], exec
	s_cselect_b32 s10, s85, s12
	v_or_b32_e32 v2, s10, v11
	global_store_byte v[6:7], v2, off
.LBB23_182:
	s_mov_b64 s[12:13], 0
	s_mov_b64 s[10:11], -1
.LBB23_183:
	s_andn2_b64 vcc, exec, s[12:13]
	s_cbranch_vccnz .LBB23_191
; %bb.184:
	v_mov_b32_e32 v2, 14
	v_cmp_gt_i16_sdwa s[14:15], s19, v2 src0_sel:BYTE_0 src1_sel:DWORD
	s_mov_b64 s[12:13], -1
	s_and_b64 vcc, exec, s[14:15]
	s_cbranch_vccz .LBB23_188
; %bb.185:
	v_mov_b32_e32 v2, 15
	v_cmp_eq_u16_sdwa s[12:13], s19, v2 src0_sel:BYTE_0 src1_sel:DWORD
	s_mov_b64 s[8:9], -1
	s_and_b64 vcc, exec, s[12:13]
	s_cbranch_vccz .LBB23_187
; %bb.186:
	global_store_short v[6:7], v12, off
	s_mov_b64 s[10:11], -1
	s_mov_b64 s[8:9], 0
.LBB23_187:
	s_mov_b64 s[12:13], 0
.LBB23_188:
	s_and_b64 vcc, exec, s[12:13]
	s_cbranch_vccz .LBB23_191
; %bb.189:
	v_mov_b32_e32 v2, 11
	v_cmp_eq_u16_sdwa s[12:13], s19, v2 src0_sel:BYTE_0 src1_sel:DWORD
	s_mov_b64 s[8:9], -1
	s_and_b64 vcc, exec, s[12:13]
	s_cbranch_vccz .LBB23_191
; %bb.190:
	s_mov_b64 s[10:11], -1
	s_mov_b64 s[8:9], 0
	global_store_byte v[6:7], v10, off
.LBB23_191:
	s_branch .LBB23_141
.LBB23_192:
	v_mov_b32_e32 v2, 5
	v_cmp_lt_i16_sdwa s[12:13], s19, v2 src0_sel:BYTE_0 src1_sel:DWORD
	s_mov_b64 s[10:11], -1
	s_and_b64 vcc, exec, s[12:13]
	s_cbranch_vccnz .LBB23_213
; %bb.193:
	v_mov_b32_e32 v2, 8
	v_cmp_lt_i16_sdwa s[12:13], s19, v2 src0_sel:BYTE_0 src1_sel:DWORD
	s_and_b64 vcc, exec, s[12:13]
	s_cbranch_vccnz .LBB23_203
; %bb.194:
	v_mov_b32_e32 v2, 9
	v_cmp_lt_i16_sdwa s[12:13], s19, v2 src0_sel:BYTE_0 src1_sel:DWORD
	s_and_b64 vcc, exec, s[12:13]
	s_cbranch_vccnz .LBB23_200
; %bb.195:
	v_cmp_gt_i16_sdwa s[12:13], s19, v2 src0_sel:BYTE_0 src1_sel:DWORD
	s_and_b64 vcc, exec, s[12:13]
	s_cbranch_vccz .LBB23_197
; %bb.196:
	v_mov_b32_e32 v2, 0
	v_mov_b32_e32 v3, v2
	s_mov_b64 s[10:11], 0
	global_store_dwordx4 v[6:7], v[0:3], off
.LBB23_197:
	s_andn2_b64 vcc, exec, s[10:11]
	s_cbranch_vccnz .LBB23_199
; %bb.198:
	v_mov_b32_e32 v5, 0
	global_store_dwordx2 v[6:7], v[4:5], off
.LBB23_199:
	s_mov_b64 s[10:11], 0
.LBB23_200:
	s_andn2_b64 vcc, exec, s[10:11]
	s_cbranch_vccnz .LBB23_202
; %bb.201:
	global_store_dword v[6:7], v8, off
.LBB23_202:
	s_mov_b64 s[10:11], 0
.LBB23_203:
	s_andn2_b64 vcc, exec, s[10:11]
	s_cbranch_vccnz .LBB23_212
; %bb.204:
	v_mov_b32_e32 v2, 6
	v_cmp_lt_i16_sdwa s[12:13], s19, v2 src0_sel:BYTE_0 src1_sel:DWORD
	s_mov_b64 s[10:11], -1
	s_and_b64 vcc, exec, s[12:13]
	s_cbranch_vccnz .LBB23_210
; %bb.205:
	v_cmp_gt_i16_sdwa s[12:13], s19, v2 src0_sel:BYTE_0 src1_sel:DWORD
	s_and_b64 vcc, exec, s[12:13]
	s_cbranch_vccz .LBB23_207
; %bb.206:
	s_mov_b64 s[10:11], 0
	global_store_dwordx2 v[6:7], v[0:1], off
.LBB23_207:
	s_andn2_b64 vcc, exec, s[10:11]
	s_cbranch_vccnz .LBB23_209
; %bb.208:
	global_store_dword v[6:7], v4, off
.LBB23_209:
	s_mov_b64 s[10:11], 0
.LBB23_210:
	s_andn2_b64 vcc, exec, s[10:11]
	s_cbranch_vccnz .LBB23_212
; %bb.211:
	global_store_short v[6:7], v8, off
.LBB23_212:
	s_mov_b64 s[10:11], 0
.LBB23_213:
	s_andn2_b64 vcc, exec, s[10:11]
	s_cbranch_vccnz .LBB23_229
; %bb.214:
	v_mov_b32_e32 v2, 2
	v_cmp_lt_i16_sdwa s[12:13], s19, v2 src0_sel:BYTE_0 src1_sel:DWORD
	s_mov_b64 s[10:11], -1
	s_and_b64 vcc, exec, s[12:13]
	s_cbranch_vccnz .LBB23_224
; %bb.215:
	v_mov_b32_e32 v2, 3
	v_cmp_lt_i16_sdwa s[12:13], s19, v2 src0_sel:BYTE_0 src1_sel:DWORD
	s_and_b64 vcc, exec, s[12:13]
	s_cbranch_vccnz .LBB23_221
; %bb.216:
	v_cmp_gt_i16_sdwa s[12:13], s19, v2 src0_sel:BYTE_0 src1_sel:DWORD
	s_and_b64 vcc, exec, s[12:13]
	s_cbranch_vccz .LBB23_218
; %bb.217:
	v_pk_mov_b32 v[2:3], s[40:41], s[40:41] op_sel:[0,1]
	s_mov_b64 s[10:11], 0
	global_store_dwordx2 v[6:7], v[2:3], off
.LBB23_218:
	s_andn2_b64 vcc, exec, s[10:11]
	s_cbranch_vccnz .LBB23_220
; %bb.219:
	v_mov_b32_e32 v2, s18
	global_store_dword v[6:7], v2, off
.LBB23_220:
	s_mov_b64 s[10:11], 0
.LBB23_221:
	s_andn2_b64 vcc, exec, s[10:11]
	s_cbranch_vccnz .LBB23_223
; %bb.222:
	v_mov_b32_e32 v2, s18
	global_store_short v[6:7], v2, off
.LBB23_223:
	s_mov_b64 s[10:11], 0
.LBB23_224:
	s_andn2_b64 vcc, exec, s[10:11]
	s_cbranch_vccnz .LBB23_229
; %bb.225:
	v_mov_b32_e32 v2, 0
	v_cmp_gt_i16_sdwa s[12:13], s19, v2 src0_sel:BYTE_0 src1_sel:DWORD
	s_mov_b64 s[10:11], -1
	s_and_b64 vcc, exec, s[12:13]
	s_cbranch_vccz .LBB23_227
; %bb.226:
	v_mov_b32_e32 v2, s18
	s_mov_b64 s[10:11], 0
	global_store_byte v[6:7], v2, off
.LBB23_227:
	s_andn2_b64 vcc, exec, s[10:11]
	s_cbranch_vccnz .LBB23_229
; %bb.228:
	v_mov_b32_e32 v2, s18
	global_store_byte v[6:7], v2, off
.LBB23_229:
	s_branch .LBB23_142
.LBB23_230:
	s_mov_b64 s[10:11], 0
                                        ; implicit-def: $vgpr9
.LBB23_231:
	s_andn2_b64 s[12:13], s[68:69], exec
	s_and_b64 s[8:9], s[8:9], exec
	s_or_b64 s[72:73], s[12:13], s[8:9]
	s_orn2_b64 s[8:9], s[10:11], exec
.LBB23_232:
	s_or_b64 exec, exec, s[74:75]
	s_mov_b64 s[10:11], 0
	s_mov_b64 s[12:13], 0
                                        ; implicit-def: $vgpr16
                                        ; implicit-def: $vgpr6_vgpr7
	s_and_saveexec_b64 s[74:75], s[8:9]
	s_cbranch_execz .LBB23_421
; %bb.233:
	v_cmp_gt_i32_e32 vcc, s91, v9
	s_mov_b64 s[10:11], -1
	s_mov_b64 s[78:79], s[72:73]
	s_and_saveexec_b64 s[76:77], vcc
	s_cbranch_execz .LBB23_349
; %bb.234:
	s_andn2_b64 vcc, exec, s[36:37]
	s_cbranch_vccnz .LBB23_239
; %bb.235:
	s_andn2_b64 vcc, exec, s[66:67]
	s_cbranch_vccnz .LBB23_240
; %bb.236:
	s_add_i32 s94, s92, 1
	s_mov_b32 s93, 0
	s_cmp_eq_u32 s82, 2
	v_mov_b32_e32 v2, 0
	s_cbranch_scc1 .LBB23_241
; %bb.237:
	s_and_b32 s93, s94, 28
	s_mov_b32 s95, 0
	v_mov_b32_e32 v2, 0
	s_mov_b64 s[78:79], s[4:5]
	s_mov_b64 s[80:81], s[64:65]
	v_mov_b32_e32 v5, v9
.LBB23_238:                             ; =>This Inner Loop Header: Depth=1
	s_load_dwordx8 s[8:15], s[78:79], 0x4
	s_load_dwordx4 s[24:27], s[78:79], 0x24
	s_load_dwordx4 s[28:31], s[80:81], 0x0
	s_add_u32 s78, s78, 48
	s_addc_u32 s79, s79, 0
	s_waitcnt lgkmcnt(0)
	v_mul_hi_u32 v3, s9, v5
	v_add_u32_e32 v3, v5, v3
	v_lshrrev_b32_e32 v3, s10, v3
	v_mul_lo_u32 v6, v3, s8
	v_mul_hi_u32 v7, s12, v3
	v_sub_u32_e32 v5, v5, v6
	v_add_u32_e32 v6, v3, v7
	v_lshrrev_b32_e32 v6, s13, v6
	v_mul_lo_u32 v7, v6, s11
	v_mul_hi_u32 v16, s15, v6
	v_sub_u32_e32 v3, v3, v7
	v_add_u32_e32 v7, v6, v16
	v_mul_lo_u32 v5, v5, s28
	v_mul_lo_u32 v3, v3, s29
	v_lshrrev_b32_e32 v7, s24, v7
	v_add3_u32 v2, v5, v2, v3
	v_mul_hi_u32 v5, s26, v7
	v_add_u32_e32 v5, v7, v5
	v_mul_lo_u32 v3, v7, s14
	v_lshrrev_b32_e32 v5, s27, v5
	s_add_i32 s95, s95, 4
	v_sub_u32_e32 v3, v6, v3
	v_mul_lo_u32 v6, v5, s25
	s_add_u32 s80, s80, 16
	v_sub_u32_e32 v6, v7, v6
	s_addc_u32 s81, s81, 0
	v_mul_lo_u32 v3, v3, s30
	v_mul_lo_u32 v6, v6, s31
	s_cmp_eq_u32 s93, s95
	v_add3_u32 v2, v3, v2, v6
	s_cbranch_scc0 .LBB23_238
	s_branch .LBB23_242
.LBB23_239:
	s_mov_b64 s[8:9], -1
                                        ; implicit-def: $vgpr2
	s_branch .LBB23_246
.LBB23_240:
	v_mov_b32_e32 v2, 0
	s_branch .LBB23_245
.LBB23_241:
	v_mov_b32_e32 v5, v9
.LBB23_242:
	s_and_b32 s12, s94, 3
	s_cmp_eq_u32 s12, 0
	s_cbranch_scc1 .LBB23_245
; %bb.243:
	s_lshl_b32 s8, s93, 2
	s_add_u32 s8, s8, s4
	s_addc_u32 s9, s5, 0
	s_add_u32 s8, s8, 0xc4
	s_addc_u32 s9, s9, 0
	s_mul_i32 s10, s93, 12
	s_add_u32 s10, s4, s10
	s_addc_u32 s11, s5, 0
.LBB23_244:                             ; =>This Inner Loop Header: Depth=1
	s_load_dwordx2 s[14:15], s[10:11], 0x4
	s_load_dword s13, s[10:11], 0xc
	s_load_dword s24, s[8:9], 0x0
	s_add_u32 s10, s10, 12
	s_addc_u32 s11, s11, 0
	s_waitcnt lgkmcnt(0)
	v_mul_hi_u32 v3, s15, v5
	v_add_u32_e32 v3, v5, v3
	v_lshrrev_b32_e32 v3, s13, v3
	s_add_u32 s8, s8, 4
	v_mul_lo_u32 v6, v3, s14
	s_addc_u32 s9, s9, 0
	s_add_i32 s12, s12, -1
	v_sub_u32_e32 v6, v5, v6
	s_cmp_lg_u32 s12, 0
	v_mov_b32_e32 v5, v3
	v_mad_u64_u32 v[2:3], s[14:15], v6, s24, v[2:3]
	s_cbranch_scc1 .LBB23_244
.LBB23_245:
	s_mov_b64 s[8:9], 0
.LBB23_246:
	s_andn2_b64 vcc, exec, s[8:9]
	s_cbranch_vccnz .LBB23_249
; %bb.247:
	v_mul_hi_u32 v2, s21, v9
	v_add_u32_e32 v2, v9, v2
	v_lshrrev_b32_e32 v3, s22, v2
	v_mul_lo_u32 v2, v3, s20
	v_sub_u32_e32 v2, v9, v2
	s_andn2_b64 vcc, exec, s[62:63]
	v_mul_lo_u32 v2, v2, s58
	s_cbranch_vccnz .LBB23_249
; %bb.248:
	v_mul_hi_u32 v5, s60, v3
	v_add_u32_e32 v5, v3, v5
	v_lshrrev_b32_e32 v5, s61, v5
	v_mul_lo_u32 v5, v5, s23
	v_sub_u32_e32 v3, v3, v5
	v_mad_u64_u32 v[2:3], s[8:9], v3, s59, v[2:3]
.LBB23_249:
	v_mov_b32_e32 v3, s17
	v_add_co_u32_e32 v6, vcc, s16, v2
	v_mov_b32_e32 v2, 11
	v_addc_co_u32_e32 v7, vcc, 0, v3, vcc
	v_cmp_lt_i16_sdwa s[8:9], s19, v2 src0_sel:BYTE_0 src1_sel:DWORD
	s_and_b64 vcc, exec, s[8:9]
	s_cbranch_vccnz .LBB23_256
; %bb.250:
	v_mov_b32_e32 v2, 25
	v_cmp_gt_i16_sdwa s[8:9], s19, v2 src0_sel:BYTE_0 src1_sel:DWORD
	s_and_b64 vcc, exec, s[8:9]
	s_cbranch_vccz .LBB23_257
; %bb.251:
	v_mov_b32_e32 v2, 28
	v_cmp_gt_i16_sdwa s[8:9], s19, v2 src0_sel:BYTE_0 src1_sel:DWORD
	s_and_b64 vcc, exec, s[8:9]
	s_cbranch_vccz .LBB23_258
	;; [unrolled: 5-line block ×4, first 2 shown]
; %bb.254:
	v_mov_b32_e32 v2, 46
	v_cmp_eq_u16_sdwa s[10:11], s19, v2 src0_sel:BYTE_0 src1_sel:DWORD
	s_mov_b64 s[12:13], 0
	s_mov_b64 s[8:9], -1
	s_and_b64 vcc, exec, s[10:11]
	s_mov_b64 s[10:11], 0
	s_cbranch_vccz .LBB23_261
; %bb.255:
	global_store_dword v[6:7], v12, off
	s_mov_b64 s[10:11], -1
	s_mov_b64 s[8:9], 0
	s_branch .LBB23_261
.LBB23_256:
	s_mov_b64 s[12:13], -1
	s_mov_b64 s[10:11], 0
	s_mov_b64 s[8:9], s[72:73]
	s_branch .LBB23_306
.LBB23_257:
	s_mov_b64 s[12:13], -1
	s_mov_b64 s[10:11], 0
	s_mov_b64 s[8:9], s[72:73]
	s_branch .LBB23_283
.LBB23_258:
	s_mov_b64 s[12:13], -1
	s_mov_b64 s[10:11], 0
	s_mov_b64 s[8:9], s[72:73]
	s_branch .LBB23_269
.LBB23_259:
	s_mov_b64 s[12:13], -1
	s_mov_b64 s[10:11], 0
	s_mov_b64 s[8:9], s[72:73]
	s_branch .LBB23_265
.LBB23_260:
	s_mov_b64 s[12:13], -1
	s_mov_b64 s[10:11], 0
	s_mov_b64 s[8:9], s[72:73]
.LBB23_261:
	s_and_b64 vcc, exec, s[12:13]
	s_cbranch_vccz .LBB23_264
; %bb.262:
	v_mov_b32_e32 v2, 44
	v_cmp_eq_u16_sdwa s[12:13], s19, v2 src0_sel:BYTE_0 src1_sel:DWORD
	s_mov_b64 s[8:9], -1
	s_and_b64 vcc, exec, s[12:13]
	s_cbranch_vccz .LBB23_264
; %bb.263:
	v_mov_b32_e32 v2, 0xff
	v_cndmask_b32_e64 v2, v15, v2, s[6:7]
	s_mov_b64 s[10:11], -1
	s_mov_b64 s[8:9], 0
	global_store_byte v[6:7], v2, off
.LBB23_264:
	s_mov_b64 s[12:13], 0
.LBB23_265:
	s_and_b64 vcc, exec, s[12:13]
	s_cbranch_vccz .LBB23_268
; %bb.266:
	v_mov_b32_e32 v2, 29
	v_cmp_eq_u16_sdwa s[12:13], s19, v2 src0_sel:BYTE_0 src1_sel:DWORD
	s_mov_b64 s[8:9], -1
	s_and_b64 vcc, exec, s[12:13]
	s_cbranch_vccz .LBB23_268
; %bb.267:
	v_pk_mov_b32 v[2:3], s[40:41], s[40:41] op_sel:[0,1]
	global_store_dwordx2 v[6:7], v[2:3], off
	s_mov_b64 s[10:11], -1
	s_mov_b64 s[8:9], 0
.LBB23_268:
	s_mov_b64 s[12:13], 0
.LBB23_269:
	s_and_b64 vcc, exec, s[12:13]
	s_cbranch_vccz .LBB23_282
; %bb.270:
	v_mov_b32_e32 v2, 27
	v_cmp_lt_i16_sdwa s[12:13], s19, v2 src0_sel:BYTE_0 src1_sel:DWORD
	s_mov_b64 s[10:11], -1
	s_and_b64 vcc, exec, s[12:13]
	s_cbranch_vccnz .LBB23_276
; %bb.271:
	v_cmp_gt_i16_sdwa s[12:13], s19, v2 src0_sel:BYTE_0 src1_sel:DWORD
	s_and_b64 vcc, exec, s[12:13]
	s_cbranch_vccz .LBB23_273
; %bb.272:
	v_mov_b32_e32 v2, s18
	s_mov_b64 s[10:11], 0
	global_store_dword v[6:7], v2, off
.LBB23_273:
	s_andn2_b64 vcc, exec, s[10:11]
	s_cbranch_vccnz .LBB23_275
; %bb.274:
	v_mov_b32_e32 v2, s18
	global_store_short v[6:7], v2, off
.LBB23_275:
	s_mov_b64 s[10:11], 0
.LBB23_276:
	s_andn2_b64 vcc, exec, s[10:11]
	s_cbranch_vccnz .LBB23_281
; %bb.277:
	s_andn2_b64 vcc, exec, s[54:55]
	v_mov_b32_e32 v2, 0x80
	s_cbranch_vccnz .LBB23_280
; %bb.278:
	s_or_b64 s[10:11], s[2:3], s[56:57]
	s_andn2_b64 vcc, exec, s[10:11]
	v_mov_b32_e32 v2, 0
	s_cbranch_vccnz .LBB23_280
; %bb.279:
	v_mov_b32_e32 v2, s90
	v_cndmask_b32_e64 v2, v14, v2, s[2:3]
	v_or_b32_e32 v2, v2, v11
.LBB23_280:
	global_store_byte v[6:7], v2, off
.LBB23_281:
	s_mov_b64 s[10:11], -1
.LBB23_282:
	s_mov_b64 s[12:13], 0
.LBB23_283:
	s_and_b64 vcc, exec, s[12:13]
	s_cbranch_vccz .LBB23_305
; %bb.284:
	v_mov_b32_e32 v2, 22
	v_cmp_gt_i16_sdwa s[14:15], s19, v2 src0_sel:BYTE_0 src1_sel:DWORD
	s_mov_b64 s[12:13], -1
	s_and_b64 vcc, exec, s[14:15]
	s_cbranch_vccz .LBB23_297
; %bb.285:
	v_mov_b32_e32 v2, 24
	v_cmp_lt_i16_sdwa s[12:13], s19, v2 src0_sel:BYTE_0 src1_sel:DWORD
	s_mov_b64 s[10:11], -1
	s_and_b64 vcc, exec, s[12:13]
	s_cbranch_vccnz .LBB23_294
; %bb.286:
	v_cmp_gt_i16_sdwa s[12:13], s19, v2 src0_sel:BYTE_0 src1_sel:DWORD
	s_and_b64 vcc, exec, s[12:13]
	s_cbranch_vccz .LBB23_291
; %bb.287:
	s_andn2_b64 vcc, exec, s[50:51]
	v_mov_b32_e32 v2, 0x80
	s_cbranch_vccnz .LBB23_290
; %bb.288:
	s_or_b64 s[10:11], s[0:1], s[52:53]
	s_andn2_b64 vcc, exec, s[10:11]
	v_mov_b32_e32 v2, 0
	s_cbranch_vccnz .LBB23_290
; %bb.289:
	v_mov_b32_e32 v2, s88
	v_cndmask_b32_e64 v2, v13, v2, s[0:1]
	v_or_b32_e32 v2, v2, v11
.LBB23_290:
	s_mov_b64 s[10:11], 0
	global_store_byte v[6:7], v2, off
.LBB23_291:
	s_and_b64 vcc, exec, s[10:11]
	s_cbranch_vccz .LBB23_293
; %bb.292:
	s_and_b64 s[10:11], s[48:49], exec
	s_cselect_b32 s12, s87, s86
	s_and_b64 s[10:11], s[46:47], exec
	s_cselect_b32 s10, s89, s12
	v_or_b32_e32 v2, s10, v11
	global_store_byte v[6:7], v2, off
.LBB23_293:
	s_mov_b64 s[10:11], 0
.LBB23_294:
	s_andn2_b64 vcc, exec, s[10:11]
	s_cbranch_vccnz .LBB23_296
; %bb.295:
	s_and_b64 s[10:11], s[44:45], exec
	s_cselect_b32 s12, s84, s83
	s_and_b64 s[10:11], s[42:43], exec
	s_cselect_b32 s10, s85, s12
	v_or_b32_e32 v2, s10, v11
	global_store_byte v[6:7], v2, off
.LBB23_296:
	s_mov_b64 s[12:13], 0
	s_mov_b64 s[10:11], -1
.LBB23_297:
	s_andn2_b64 vcc, exec, s[12:13]
	s_cbranch_vccnz .LBB23_305
; %bb.298:
	v_mov_b32_e32 v2, 14
	v_cmp_gt_i16_sdwa s[14:15], s19, v2 src0_sel:BYTE_0 src1_sel:DWORD
	s_mov_b64 s[12:13], -1
	s_and_b64 vcc, exec, s[14:15]
	s_cbranch_vccz .LBB23_302
; %bb.299:
	v_mov_b32_e32 v2, 15
	v_cmp_eq_u16_sdwa s[12:13], s19, v2 src0_sel:BYTE_0 src1_sel:DWORD
	s_mov_b64 s[8:9], -1
	s_and_b64 vcc, exec, s[12:13]
	s_cbranch_vccz .LBB23_301
; %bb.300:
	global_store_short v[6:7], v12, off
	s_mov_b64 s[10:11], -1
	s_mov_b64 s[8:9], 0
.LBB23_301:
	s_mov_b64 s[12:13], 0
.LBB23_302:
	s_and_b64 vcc, exec, s[12:13]
	s_cbranch_vccz .LBB23_305
; %bb.303:
	v_mov_b32_e32 v2, 11
	v_cmp_eq_u16_sdwa s[12:13], s19, v2 src0_sel:BYTE_0 src1_sel:DWORD
	s_mov_b64 s[8:9], -1
	s_and_b64 vcc, exec, s[12:13]
	s_cbranch_vccz .LBB23_305
; %bb.304:
	s_mov_b64 s[10:11], -1
	s_mov_b64 s[8:9], 0
	global_store_byte v[6:7], v10, off
.LBB23_305:
	s_mov_b64 s[12:13], 0
.LBB23_306:
	s_and_b64 vcc, exec, s[12:13]
	s_cbranch_vccz .LBB23_345
; %bb.307:
	v_mov_b32_e32 v2, 5
	v_cmp_lt_i16_sdwa s[12:13], s19, v2 src0_sel:BYTE_0 src1_sel:DWORD
	s_mov_b64 s[10:11], -1
	s_and_b64 vcc, exec, s[12:13]
	s_cbranch_vccnz .LBB23_328
; %bb.308:
	v_mov_b32_e32 v2, 8
	v_cmp_lt_i16_sdwa s[12:13], s19, v2 src0_sel:BYTE_0 src1_sel:DWORD
	s_and_b64 vcc, exec, s[12:13]
	s_cbranch_vccnz .LBB23_318
; %bb.309:
	v_mov_b32_e32 v2, 9
	v_cmp_lt_i16_sdwa s[12:13], s19, v2 src0_sel:BYTE_0 src1_sel:DWORD
	s_and_b64 vcc, exec, s[12:13]
	s_cbranch_vccnz .LBB23_315
; %bb.310:
	v_cmp_gt_i16_sdwa s[12:13], s19, v2 src0_sel:BYTE_0 src1_sel:DWORD
	s_and_b64 vcc, exec, s[12:13]
	s_cbranch_vccz .LBB23_312
; %bb.311:
	v_mov_b32_e32 v2, 0
	v_mov_b32_e32 v3, v2
	s_mov_b64 s[10:11], 0
	global_store_dwordx4 v[6:7], v[0:3], off
.LBB23_312:
	s_andn2_b64 vcc, exec, s[10:11]
	s_cbranch_vccnz .LBB23_314
; %bb.313:
	v_mov_b32_e32 v5, 0
	global_store_dwordx2 v[6:7], v[4:5], off
.LBB23_314:
	s_mov_b64 s[10:11], 0
.LBB23_315:
	s_andn2_b64 vcc, exec, s[10:11]
	s_cbranch_vccnz .LBB23_317
; %bb.316:
	global_store_dword v[6:7], v8, off
.LBB23_317:
	s_mov_b64 s[10:11], 0
.LBB23_318:
	s_andn2_b64 vcc, exec, s[10:11]
	s_cbranch_vccnz .LBB23_327
; %bb.319:
	v_mov_b32_e32 v2, 6
	v_cmp_lt_i16_sdwa s[12:13], s19, v2 src0_sel:BYTE_0 src1_sel:DWORD
	s_mov_b64 s[10:11], -1
	s_and_b64 vcc, exec, s[12:13]
	s_cbranch_vccnz .LBB23_325
; %bb.320:
	v_cmp_gt_i16_sdwa s[12:13], s19, v2 src0_sel:BYTE_0 src1_sel:DWORD
	s_and_b64 vcc, exec, s[12:13]
	s_cbranch_vccz .LBB23_322
; %bb.321:
	s_mov_b64 s[10:11], 0
	global_store_dwordx2 v[6:7], v[0:1], off
.LBB23_322:
	s_andn2_b64 vcc, exec, s[10:11]
	s_cbranch_vccnz .LBB23_324
; %bb.323:
	global_store_dword v[6:7], v4, off
.LBB23_324:
	s_mov_b64 s[10:11], 0
.LBB23_325:
	s_andn2_b64 vcc, exec, s[10:11]
	s_cbranch_vccnz .LBB23_327
; %bb.326:
	global_store_short v[6:7], v8, off
.LBB23_327:
	s_mov_b64 s[10:11], 0
.LBB23_328:
	s_andn2_b64 vcc, exec, s[10:11]
	s_cbranch_vccnz .LBB23_344
; %bb.329:
	v_mov_b32_e32 v2, 2
	v_cmp_lt_i16_sdwa s[12:13], s19, v2 src0_sel:BYTE_0 src1_sel:DWORD
	s_mov_b64 s[10:11], -1
	s_and_b64 vcc, exec, s[12:13]
	s_cbranch_vccnz .LBB23_339
; %bb.330:
	v_mov_b32_e32 v2, 3
	v_cmp_lt_i16_sdwa s[12:13], s19, v2 src0_sel:BYTE_0 src1_sel:DWORD
	s_and_b64 vcc, exec, s[12:13]
	s_cbranch_vccnz .LBB23_336
; %bb.331:
	v_cmp_gt_i16_sdwa s[12:13], s19, v2 src0_sel:BYTE_0 src1_sel:DWORD
	s_and_b64 vcc, exec, s[12:13]
	s_cbranch_vccz .LBB23_333
; %bb.332:
	v_pk_mov_b32 v[2:3], s[40:41], s[40:41] op_sel:[0,1]
	s_mov_b64 s[10:11], 0
	global_store_dwordx2 v[6:7], v[2:3], off
.LBB23_333:
	s_andn2_b64 vcc, exec, s[10:11]
	s_cbranch_vccnz .LBB23_335
; %bb.334:
	v_mov_b32_e32 v2, s18
	global_store_dword v[6:7], v2, off
.LBB23_335:
	s_mov_b64 s[10:11], 0
.LBB23_336:
	s_andn2_b64 vcc, exec, s[10:11]
	s_cbranch_vccnz .LBB23_338
; %bb.337:
	v_mov_b32_e32 v2, s18
	global_store_short v[6:7], v2, off
.LBB23_338:
	s_mov_b64 s[10:11], 0
.LBB23_339:
	s_andn2_b64 vcc, exec, s[10:11]
	s_cbranch_vccnz .LBB23_344
; %bb.340:
	v_mov_b32_e32 v2, 0
	v_cmp_gt_i16_sdwa s[12:13], s19, v2 src0_sel:BYTE_0 src1_sel:DWORD
	s_mov_b64 s[10:11], -1
	s_and_b64 vcc, exec, s[12:13]
	s_cbranch_vccz .LBB23_342
; %bb.341:
	v_mov_b32_e32 v2, s18
	s_mov_b64 s[10:11], 0
	global_store_byte v[6:7], v2, off
.LBB23_342:
	s_andn2_b64 vcc, exec, s[10:11]
	s_cbranch_vccnz .LBB23_344
; %bb.343:
	v_mov_b32_e32 v2, s18
	global_store_byte v[6:7], v2, off
.LBB23_344:
	s_mov_b64 s[10:11], -1
.LBB23_345:
	s_andn2_b64 vcc, exec, s[10:11]
	s_cbranch_vccnz .LBB23_347
; %bb.346:
	v_add_u32_e32 v9, 0x80, v9
	s_mov_b64 s[10:11], -1
	s_branch .LBB23_348
.LBB23_347:
	s_mov_b64 s[10:11], 0
                                        ; implicit-def: $vgpr9
.LBB23_348:
	s_andn2_b64 s[12:13], s[72:73], exec
	s_and_b64 s[8:9], s[8:9], exec
	s_or_b64 s[78:79], s[12:13], s[8:9]
	s_orn2_b64 s[10:11], s[10:11], exec
.LBB23_349:
	s_or_b64 exec, exec, s[76:77]
	s_mov_b64 s[8:9], 0
	s_mov_b64 s[14:15], 0
                                        ; implicit-def: $vgpr16
                                        ; implicit-def: $vgpr6_vgpr7
	s_and_saveexec_b64 s[76:77], s[10:11]
	s_cbranch_execz .LBB23_420
; %bb.350:
	v_cmp_gt_i32_e32 vcc, s91, v9
	s_mov_b64 s[10:11], 0
	s_mov_b64 s[12:13], s[78:79]
                                        ; implicit-def: $vgpr16
                                        ; implicit-def: $vgpr6_vgpr7
	s_and_saveexec_b64 s[80:81], vcc
	s_cbranch_execz .LBB23_419
; %bb.351:
	s_andn2_b64 vcc, exec, s[36:37]
	s_cbranch_vccnz .LBB23_356
; %bb.352:
	s_andn2_b64 vcc, exec, s[66:67]
	s_cbranch_vccnz .LBB23_357
; %bb.353:
	s_add_i32 s92, s92, 1
	s_mov_b32 s91, 0
	s_cmp_eq_u32 s82, 2
	v_mov_b32_e32 v2, 0
	s_cbranch_scc1 .LBB23_358
; %bb.354:
	s_and_b32 s91, s92, 28
	s_mov_b32 s93, 0
	v_mov_b32_e32 v2, 0
	s_mov_b64 s[66:67], s[4:5]
	v_mov_b32_e32 v5, v9
.LBB23_355:                             ; =>This Inner Loop Header: Depth=1
	s_load_dwordx8 s[8:15], s[66:67], 0x4
	s_load_dwordx4 s[24:27], s[66:67], 0x24
	s_load_dwordx4 s[28:31], s[64:65], 0x0
	s_add_u32 s66, s66, 48
	s_addc_u32 s67, s67, 0
	s_waitcnt lgkmcnt(0)
	v_mul_hi_u32 v3, s9, v5
	v_add_u32_e32 v3, v5, v3
	v_lshrrev_b32_e32 v3, s10, v3
	v_mul_lo_u32 v6, v3, s8
	v_mul_hi_u32 v7, s12, v3
	v_sub_u32_e32 v5, v5, v6
	v_add_u32_e32 v6, v3, v7
	v_lshrrev_b32_e32 v6, s13, v6
	v_mul_lo_u32 v7, v6, s11
	v_mul_hi_u32 v16, s15, v6
	v_sub_u32_e32 v3, v3, v7
	v_add_u32_e32 v7, v6, v16
	v_mul_lo_u32 v5, v5, s28
	v_mul_lo_u32 v3, v3, s29
	v_lshrrev_b32_e32 v7, s24, v7
	v_add3_u32 v2, v5, v2, v3
	v_mul_hi_u32 v5, s26, v7
	v_add_u32_e32 v5, v7, v5
	v_mul_lo_u32 v3, v7, s14
	v_lshrrev_b32_e32 v5, s27, v5
	s_add_i32 s93, s93, 4
	v_sub_u32_e32 v3, v6, v3
	v_mul_lo_u32 v6, v5, s25
	s_add_u32 s64, s64, 16
	v_sub_u32_e32 v6, v7, v6
	s_addc_u32 s65, s65, 0
	v_mul_lo_u32 v3, v3, s30
	v_mul_lo_u32 v6, v6, s31
	s_cmp_eq_u32 s91, s93
	v_add3_u32 v2, v3, v2, v6
	s_cbranch_scc0 .LBB23_355
	s_branch .LBB23_359
.LBB23_356:
	s_mov_b64 s[8:9], -1
                                        ; implicit-def: $vgpr2
	s_branch .LBB23_363
.LBB23_357:
	v_mov_b32_e32 v2, 0
	s_branch .LBB23_362
.LBB23_358:
	v_mov_b32_e32 v5, v9
.LBB23_359:
	s_and_b32 s12, s92, 3
	s_cmp_eq_u32 s12, 0
	s_cbranch_scc1 .LBB23_362
; %bb.360:
	s_lshl_b32 s8, s91, 2
	s_add_u32 s8, s8, s4
	s_addc_u32 s9, s5, 0
	s_add_u32 s8, s8, 0xc4
	s_addc_u32 s9, s9, 0
	s_mul_i32 s10, s91, 12
	s_add_u32 s10, s4, s10
	s_addc_u32 s11, s5, 0
.LBB23_361:                             ; =>This Inner Loop Header: Depth=1
	s_load_dwordx2 s[14:15], s[10:11], 0x4
	s_load_dword s13, s[10:11], 0xc
	s_load_dword s24, s[8:9], 0x0
	s_add_u32 s10, s10, 12
	s_addc_u32 s11, s11, 0
	s_waitcnt lgkmcnt(0)
	v_mul_hi_u32 v3, s15, v5
	v_add_u32_e32 v3, v5, v3
	v_lshrrev_b32_e32 v3, s13, v3
	s_add_u32 s8, s8, 4
	v_mul_lo_u32 v6, v3, s14
	s_addc_u32 s9, s9, 0
	s_add_i32 s12, s12, -1
	v_sub_u32_e32 v6, v5, v6
	s_cmp_lg_u32 s12, 0
	v_mov_b32_e32 v5, v3
	v_mad_u64_u32 v[2:3], s[14:15], v6, s24, v[2:3]
	s_cbranch_scc1 .LBB23_361
.LBB23_362:
	s_mov_b64 s[8:9], 0
.LBB23_363:
	s_andn2_b64 vcc, exec, s[8:9]
	s_cbranch_vccnz .LBB23_366
; %bb.364:
	v_mul_hi_u32 v2, s21, v9
	v_add_u32_e32 v2, v9, v2
	v_lshrrev_b32_e32 v3, s22, v2
	v_mul_lo_u32 v2, v3, s20
	v_sub_u32_e32 v2, v9, v2
	s_andn2_b64 vcc, exec, s[62:63]
	v_mul_lo_u32 v2, v2, s58
	s_cbranch_vccnz .LBB23_366
; %bb.365:
	v_mul_hi_u32 v5, s60, v3
	v_add_u32_e32 v5, v3, v5
	v_lshrrev_b32_e32 v5, s61, v5
	v_mul_lo_u32 v5, v5, s23
	v_sub_u32_e32 v3, v3, v5
	v_mad_u64_u32 v[2:3], s[8:9], v3, s59, v[2:3]
.LBB23_366:
	v_mov_b32_e32 v3, s17
	v_add_co_u32_e32 v6, vcc, s16, v2
	v_mov_b32_e32 v2, 0xff
	v_addc_co_u32_e32 v7, vcc, 0, v3, vcc
	v_and_b32_e32 v16, s19, v2
	v_cmp_gt_i16_e32 vcc, 11, v16
	s_cbranch_vccnz .LBB23_416
; %bb.367:
	v_cmp_lt_i16_e32 vcc, 25, v16
	s_mov_b64 s[10:11], -1
	s_mov_b64 s[8:9], s[78:79]
	s_cbranch_vccz .LBB23_395
; %bb.368:
	v_cmp_lt_i16_e32 vcc, 28, v16
	s_mov_b64 s[8:9], s[78:79]
	s_cbranch_vccz .LBB23_382
; %bb.369:
	v_cmp_lt_i16_e32 vcc, 43, v16
	;; [unrolled: 4-line block ×3, first 2 shown]
	s_mov_b64 s[8:9], s[78:79]
	s_cbranch_vccz .LBB23_374
; %bb.371:
	v_cmp_eq_u16_e32 vcc, 46, v16
	s_mov_b64 s[8:9], -1
	s_cbranch_vccz .LBB23_373
; %bb.372:
	global_store_dword v[6:7], v12, off
	s_mov_b64 s[8:9], 0
.LBB23_373:
	s_mov_b64 s[10:11], 0
.LBB23_374:
	s_and_b64 vcc, exec, s[10:11]
	s_cbranch_vccz .LBB23_377
; %bb.375:
	v_cmp_eq_u16_e32 vcc, 44, v16
	s_mov_b64 s[8:9], -1
	s_cbranch_vccz .LBB23_377
; %bb.376:
	v_mov_b32_e32 v2, 0xff
	v_cndmask_b32_e64 v2, v15, v2, s[6:7]
	global_store_byte v[6:7], v2, off
	s_mov_b64 s[8:9], 0
.LBB23_377:
	s_mov_b64 s[10:11], 0
.LBB23_378:
	s_and_b64 vcc, exec, s[10:11]
	s_cbranch_vccz .LBB23_381
; %bb.379:
	v_cmp_eq_u16_e32 vcc, 29, v16
	s_mov_b64 s[8:9], -1
	s_cbranch_vccz .LBB23_381
; %bb.380:
	v_pk_mov_b32 v[2:3], s[40:41], s[40:41] op_sel:[0,1]
	global_store_dwordx2 v[6:7], v[2:3], off
	s_mov_b64 s[8:9], 0
.LBB23_381:
	s_mov_b64 s[10:11], 0
.LBB23_382:
	s_and_b64 vcc, exec, s[10:11]
	s_cbranch_vccz .LBB23_394
; %bb.383:
	v_cmp_gt_i16_e32 vcc, 27, v16
	s_mov_b64 s[6:7], -1
	s_cbranch_vccnz .LBB23_389
; %bb.384:
	v_cmp_lt_i16_e32 vcc, 27, v16
	s_cbranch_vccz .LBB23_386
; %bb.385:
	v_mov_b32_e32 v2, s18
	s_mov_b64 s[6:7], 0
	global_store_dword v[6:7], v2, off
.LBB23_386:
	s_andn2_b64 vcc, exec, s[6:7]
	s_cbranch_vccnz .LBB23_388
; %bb.387:
	v_mov_b32_e32 v2, s18
	global_store_short v[6:7], v2, off
.LBB23_388:
	s_mov_b64 s[6:7], 0
.LBB23_389:
	s_andn2_b64 vcc, exec, s[6:7]
	s_cbranch_vccnz .LBB23_394
; %bb.390:
	s_andn2_b64 vcc, exec, s[54:55]
	v_mov_b32_e32 v2, 0x80
	s_cbranch_vccnz .LBB23_393
; %bb.391:
	s_or_b64 s[6:7], s[2:3], s[56:57]
	s_andn2_b64 vcc, exec, s[6:7]
	v_mov_b32_e32 v2, 0
	s_cbranch_vccnz .LBB23_393
; %bb.392:
	v_mov_b32_e32 v2, s90
	v_cndmask_b32_e64 v2, v14, v2, s[2:3]
	v_or_b32_e32 v2, v2, v11
.LBB23_393:
	global_store_byte v[6:7], v2, off
.LBB23_394:
	s_mov_b64 s[10:11], 0
.LBB23_395:
	s_mov_b64 s[2:3], 0
	s_and_b64 vcc, exec, s[10:11]
	s_cbranch_vccz .LBB23_417
; %bb.396:
	v_cmp_lt_i16_e32 vcc, 22, v16
	s_mov_b64 s[6:7], -1
	s_cbranch_vccz .LBB23_409
; %bb.397:
	v_cmp_gt_i16_e32 vcc, 24, v16
	s_cbranch_vccnz .LBB23_406
; %bb.398:
	v_cmp_lt_i16_e32 vcc, 24, v16
	s_cbranch_vccz .LBB23_403
; %bb.399:
	s_andn2_b64 vcc, exec, s[50:51]
	v_mov_b32_e32 v2, 0x80
	s_cbranch_vccnz .LBB23_402
; %bb.400:
	s_or_b64 s[6:7], s[0:1], s[52:53]
	s_andn2_b64 vcc, exec, s[6:7]
	v_mov_b32_e32 v2, 0
	s_cbranch_vccnz .LBB23_402
; %bb.401:
	v_mov_b32_e32 v2, s88
	v_cndmask_b32_e64 v2, v13, v2, s[0:1]
	v_or_b32_e32 v2, v2, v11
.LBB23_402:
	s_mov_b64 s[6:7], 0
	global_store_byte v[6:7], v2, off
.LBB23_403:
	s_and_b64 vcc, exec, s[6:7]
	s_cbranch_vccz .LBB23_405
; %bb.404:
	s_and_b64 s[0:1], s[48:49], exec
	s_cselect_b32 s6, s87, s86
	s_and_b64 s[0:1], s[46:47], exec
	s_cselect_b32 s0, s89, s6
	v_or_b32_e32 v2, s0, v11
	global_store_byte v[6:7], v2, off
.LBB23_405:
	s_mov_b64 s[6:7], 0
.LBB23_406:
	s_andn2_b64 vcc, exec, s[6:7]
	s_cbranch_vccnz .LBB23_408
; %bb.407:
	s_and_b64 s[0:1], s[44:45], exec
	s_cselect_b32 s6, s84, s83
	s_and_b64 s[0:1], s[42:43], exec
	s_cselect_b32 s0, s85, s6
	v_or_b32_e32 v2, s0, v11
	global_store_byte v[6:7], v2, off
.LBB23_408:
	s_mov_b64 s[6:7], 0
.LBB23_409:
	s_andn2_b64 vcc, exec, s[6:7]
	s_mov_b64 s[0:1], 0
	s_cbranch_vccnz .LBB23_418
; %bb.410:
	v_cmp_lt_i16_e32 vcc, 14, v16
	s_mov_b64 s[6:7], -1
	s_cbranch_vccz .LBB23_414
; %bb.411:
	v_cmp_eq_u16_e32 vcc, 15, v16
	s_mov_b64 s[8:9], -1
	s_cbranch_vccz .LBB23_413
; %bb.412:
	global_store_short v[6:7], v12, off
	s_mov_b64 s[8:9], 0
.LBB23_413:
	s_mov_b64 s[6:7], 0
.LBB23_414:
	s_and_b64 vcc, exec, s[6:7]
	s_cbranch_vccz .LBB23_418
; %bb.415:
	v_cmp_ne_u16_e32 vcc, 11, v16
	s_andn2_b64 s[6:7], s[8:9], exec
	s_and_b64 s[8:9], vcc, exec
	s_mov_b64 s[0:1], -1
	s_or_b64 s[8:9], s[6:7], s[8:9]
	s_branch .LBB23_418
.LBB23_416:
	s_mov_b64 s[0:1], 0
	s_mov_b64 s[2:3], -1
	s_mov_b64 s[8:9], s[78:79]
	s_branch .LBB23_418
.LBB23_417:
	s_mov_b64 s[0:1], 0
.LBB23_418:
	s_and_b64 s[14:15], s[2:3], exec
	s_and_b64 s[10:11], s[0:1], exec
	s_andn2_b64 s[0:1], s[78:79], exec
	s_and_b64 s[2:3], s[8:9], exec
	s_or_b64 s[12:13], s[0:1], s[2:3]
.LBB23_419:
	s_or_b64 exec, exec, s[80:81]
	s_andn2_b64 s[0:1], s[78:79], exec
	s_and_b64 s[2:3], s[12:13], exec
	s_and_b64 s[14:15], s[14:15], exec
	;; [unrolled: 1-line block ×3, first 2 shown]
	s_or_b64 s[78:79], s[0:1], s[2:3]
.LBB23_420:
	s_or_b64 exec, exec, s[76:77]
	s_andn2_b64 s[0:1], s[72:73], exec
	s_and_b64 s[2:3], s[78:79], exec
	s_and_b64 s[12:13], s[14:15], exec
	;; [unrolled: 1-line block ×3, first 2 shown]
	s_or_b64 s[72:73], s[0:1], s[2:3]
.LBB23_421:
	s_or_b64 exec, exec, s[74:75]
	s_andn2_b64 s[0:1], s[68:69], exec
	s_and_b64 s[2:3], s[72:73], exec
	s_and_b64 s[8:9], s[12:13], exec
	s_and_b64 s[74:75], s[10:11], exec
	s_or_b64 s[68:69], s[0:1], s[2:3]
	s_or_b64 exec, exec, s[70:71]
	s_mov_b64 s[0:1], 0
	s_and_saveexec_b64 s[2:3], s[68:69]
	s_cbranch_execz .LBB23_122
.LBB23_422:
	s_mov_b64 s[0:1], exec
	s_andn2_b64 s[74:75], s[74:75], exec
	s_trap 2
	s_or_b64 exec, exec, s[2:3]
	s_and_saveexec_b64 s[2:3], s[74:75]
	s_xor_b64 s[2:3], exec, s[2:3]
	s_cbranch_execnz .LBB23_123
.LBB23_423:
	s_or_b64 exec, exec, s[2:3]
	s_and_saveexec_b64 s[2:3], s[8:9]
	s_xor_b64 s[2:3], exec, s[2:3]
	s_cbranch_execz .LBB23_461
.LBB23_424:
	v_cmp_gt_i16_e32 vcc, 5, v16
	s_mov_b64 s[6:7], -1
	s_cbranch_vccnz .LBB23_445
; %bb.425:
	v_cmp_gt_i16_e32 vcc, 8, v16
	s_cbranch_vccnz .LBB23_435
; %bb.426:
	v_cmp_gt_i16_e32 vcc, 9, v16
	s_cbranch_vccnz .LBB23_432
; %bb.427:
	v_cmp_lt_i16_e32 vcc, 9, v16
	s_cbranch_vccz .LBB23_429
; %bb.428:
	v_mov_b32_e32 v2, 0
	v_mov_b32_e32 v3, v2
	s_mov_b64 s[6:7], 0
	global_store_dwordx4 v[6:7], v[0:3], off
.LBB23_429:
	s_andn2_b64 vcc, exec, s[6:7]
	s_cbranch_vccnz .LBB23_431
; %bb.430:
	v_mov_b32_e32 v5, 0
	global_store_dwordx2 v[6:7], v[4:5], off
.LBB23_431:
	s_mov_b64 s[6:7], 0
.LBB23_432:
	s_andn2_b64 vcc, exec, s[6:7]
	s_cbranch_vccnz .LBB23_434
; %bb.433:
	global_store_dword v[6:7], v8, off
.LBB23_434:
	s_mov_b64 s[6:7], 0
.LBB23_435:
	s_andn2_b64 vcc, exec, s[6:7]
	s_cbranch_vccnz .LBB23_444
; %bb.436:
	v_cmp_gt_i16_e32 vcc, 6, v16
	s_mov_b64 s[6:7], -1
	s_cbranch_vccnz .LBB23_442
; %bb.437:
	v_cmp_lt_i16_e32 vcc, 6, v16
	s_cbranch_vccz .LBB23_439
; %bb.438:
	s_mov_b64 s[6:7], 0
	global_store_dwordx2 v[6:7], v[0:1], off
.LBB23_439:
	s_andn2_b64 vcc, exec, s[6:7]
	s_cbranch_vccnz .LBB23_441
; %bb.440:
	global_store_dword v[6:7], v4, off
.LBB23_441:
	s_mov_b64 s[6:7], 0
.LBB23_442:
	s_andn2_b64 vcc, exec, s[6:7]
	s_cbranch_vccnz .LBB23_444
; %bb.443:
	global_store_short v[6:7], v8, off
.LBB23_444:
	s_mov_b64 s[6:7], 0
.LBB23_445:
	s_andn2_b64 vcc, exec, s[6:7]
	s_cbranch_vccnz .LBB23_461
; %bb.446:
	v_cmp_gt_i16_e32 vcc, 2, v16
	s_mov_b64 s[6:7], -1
	s_cbranch_vccnz .LBB23_456
; %bb.447:
	v_cmp_gt_i16_e32 vcc, 3, v16
	s_cbranch_vccnz .LBB23_453
; %bb.448:
	v_cmp_lt_i16_e32 vcc, 3, v16
	s_cbranch_vccz .LBB23_450
; %bb.449:
	v_pk_mov_b32 v[0:1], s[40:41], s[40:41] op_sel:[0,1]
	s_mov_b64 s[6:7], 0
	global_store_dwordx2 v[6:7], v[0:1], off
.LBB23_450:
	s_andn2_b64 vcc, exec, s[6:7]
	s_cbranch_vccnz .LBB23_452
; %bb.451:
	v_mov_b32_e32 v0, s18
	global_store_dword v[6:7], v0, off
.LBB23_452:
	s_mov_b64 s[6:7], 0
.LBB23_453:
	s_andn2_b64 vcc, exec, s[6:7]
	s_cbranch_vccnz .LBB23_455
; %bb.454:
	v_mov_b32_e32 v0, s18
	global_store_short v[6:7], v0, off
.LBB23_455:
	s_mov_b64 s[6:7], 0
.LBB23_456:
	s_andn2_b64 vcc, exec, s[6:7]
	s_cbranch_vccnz .LBB23_461
; %bb.457:
	v_cmp_lt_i16_e32 vcc, 0, v16
	s_mov_b64 s[6:7], -1
	s_cbranch_vccz .LBB23_459
; %bb.458:
	v_mov_b32_e32 v0, s18
	s_mov_b64 s[6:7], 0
	global_store_byte v[6:7], v0, off
.LBB23_459:
	s_andn2_b64 vcc, exec, s[6:7]
	s_cbranch_vccnz .LBB23_461
; %bb.460:
	v_mov_b32_e32 v0, s18
	global_store_byte v[6:7], v0, off
.LBB23_461:
	s_or_b64 exec, exec, s[2:3]
	s_and_b64 s[6:7], s[0:1], exec
                                        ; implicit-def: $vgpr8
                                        ; implicit-def: $vgpr9
.LBB23_462:
	s_or_saveexec_b64 s[24:25], s[38:39]
	s_mov_b64 s[0:1], 0
                                        ; implicit-def: $sgpr3
                                        ; implicit-def: $vgpr0_vgpr1
                                        ; implicit-def: $sgpr2
	s_xor_b64 exec, exec, s[24:25]
	s_cbranch_execz .LBB23_951
; %bb.463:
	v_cndmask_b32_e64 v0, 0, 1, s[36:37]
	v_cmp_ne_u32_e64 s[0:1], 1, v0
	s_andn2_b64 vcc, exec, s[36:37]
	s_cbranch_vccnz .LBB23_469
; %bb.464:
	s_mov_b32 s28, 0
	s_cmp_eq_u32 s33, 0
	v_mov_b32_e32 v6, 0
	s_cbranch_scc1 .LBB23_473
; %bb.465:
	s_min_u32 s29, s82, 15
	s_add_i32 s29, s29, 1
	s_cmp_eq_u32 s82, 2
	v_mov_b32_e32 v6, 0
	s_cbranch_scc1 .LBB23_470
; %bb.466:
	s_add_u32 s2, s4, 0xc4
	s_addc_u32 s3, s5, 0
	s_and_b32 s28, s29, 28
	s_mov_b32 s30, 0
	v_mov_b32_e32 v6, 0
	s_mov_b64 s[26:27], s[4:5]
	v_mov_b32_e32 v0, v9
.LBB23_467:                             ; =>This Inner Loop Header: Depth=1
	s_load_dwordx8 s[8:15], s[26:27], 0x4
	s_load_dwordx4 s[16:19], s[26:27], 0x24
	s_load_dwordx4 s[20:23], s[2:3], 0x0
	s_add_u32 s26, s26, 48
	s_addc_u32 s27, s27, 0
	s_waitcnt lgkmcnt(0)
	v_mul_hi_u32 v1, s9, v0
	v_add_u32_e32 v1, v0, v1
	v_lshrrev_b32_e32 v1, s10, v1
	v_mul_lo_u32 v2, v1, s8
	v_mul_hi_u32 v3, s12, v1
	v_sub_u32_e32 v0, v0, v2
	v_add_u32_e32 v2, v1, v3
	v_lshrrev_b32_e32 v2, s13, v2
	v_mul_lo_u32 v3, v2, s11
	v_mul_hi_u32 v4, s15, v2
	v_sub_u32_e32 v1, v1, v3
	v_add_u32_e32 v3, v2, v4
	v_mul_lo_u32 v0, v0, s20
	v_mul_lo_u32 v1, v1, s21
	v_lshrrev_b32_e32 v3, s16, v3
	v_add3_u32 v1, v0, v6, v1
	v_mul_lo_u32 v0, v3, s14
	v_mul_hi_u32 v4, s18, v3
	v_sub_u32_e32 v0, v2, v0
	v_add_u32_e32 v2, v3, v4
	v_mul_lo_u32 v4, v0, s22
	v_lshrrev_b32_e32 v0, s19, v2
	s_add_i32 s30, s30, 4
	v_mul_lo_u32 v2, v0, s17
	s_add_u32 s2, s2, 16
	v_sub_u32_e32 v2, v3, v2
	s_addc_u32 s3, s3, 0
	v_mul_lo_u32 v2, v2, s23
	s_cmp_lg_u32 s28, s30
	v_add3_u32 v6, v4, v1, v2
	s_cbranch_scc1 .LBB23_467
; %bb.468:
	s_and_b32 s10, s29, 3
	s_cmp_eq_u32 s10, 0
	s_cbranch_scc0 .LBB23_471
	s_branch .LBB23_473
.LBB23_469:
                                        ; implicit-def: $vgpr6
	s_branch .LBB23_474
.LBB23_470:
	v_mov_b32_e32 v0, v9
	s_and_b32 s10, s29, 3
	s_cmp_eq_u32 s10, 0
	s_cbranch_scc1 .LBB23_473
.LBB23_471:
	s_lshl_b32 s2, s28, 2
	s_add_u32 s2, s2, s4
	s_addc_u32 s3, 0, s5
	s_add_u32 s2, s2, 0xc4
	s_addc_u32 s3, s3, 0
	s_mul_i32 s8, s28, 12
	s_add_u32 s8, s4, s8
	s_addc_u32 s9, 0, s5
.LBB23_472:                             ; =>This Inner Loop Header: Depth=1
	s_load_dwordx2 s[12:13], s[8:9], 0x4
	s_load_dword s11, s[8:9], 0xc
	s_load_dword s14, s[2:3], 0x0
	s_add_u32 s8, s8, 12
	s_addc_u32 s9, s9, 0
	s_waitcnt lgkmcnt(0)
	v_mul_hi_u32 v1, s13, v0
	v_add_u32_e32 v1, v0, v1
	v_lshrrev_b32_e32 v1, s11, v1
	s_add_u32 s2, s2, 4
	v_mul_lo_u32 v2, v1, s12
	s_addc_u32 s3, s3, 0
	s_add_i32 s10, s10, -1
	v_sub_u32_e32 v2, v0, v2
	s_cmp_lg_u32 s10, 0
	v_mov_b32_e32 v0, v1
	v_mad_u64_u32 v[6:7], s[12:13], v2, s14, v[6:7]
	s_cbranch_scc1 .LBB23_472
.LBB23_473:
	s_cbranch_execnz .LBB23_476
.LBB23_474:
	s_load_dwordx4 s[8:11], s[4:5], 0x4
	s_load_dword s2, s[4:5], 0xc4
	s_cmp_lt_u32 s33, 2
	s_waitcnt lgkmcnt(0)
	v_mul_hi_u32 v0, s9, v9
	v_add_u32_e32 v0, v9, v0
	v_lshrrev_b32_e32 v0, s10, v0
	v_mul_lo_u32 v1, v0, s8
	v_sub_u32_e32 v1, v9, v1
	v_mul_lo_u32 v6, v1, s2
	s_cbranch_scc1 .LBB23_476
; %bb.475:
	s_load_dwordx4 s[8:11], s[4:5], 0x10
	s_load_dword s2, s[4:5], 0xc8
	s_waitcnt lgkmcnt(0)
	v_mul_hi_u32 v1, s9, v0
	v_add_u32_e32 v1, v0, v1
	v_lshrrev_b32_e32 v1, s10, v1
	v_mul_lo_u32 v1, v1, s8
	v_sub_u32_e32 v0, v0, v1
	v_mad_u64_u32 v[6:7], s[2:3], v0, s2, v[6:7]
.LBB23_476:
	s_and_b64 vcc, exec, s[0:1]
	v_add_u32_e32 v0, 0x80, v9
	s_cbranch_vccnz .LBB23_482
; %bb.477:
	s_mov_b32 s28, 0
	s_cmp_eq_u32 s33, 0
	v_mov_b32_e32 v4, 0
	s_cbranch_scc1 .LBB23_486
; %bb.478:
	s_min_u32 s29, s82, 15
	s_add_i32 s29, s29, 1
	s_cmp_eq_u32 s82, 2
	v_mov_b32_e32 v4, 0
	s_cbranch_scc1 .LBB23_483
; %bb.479:
	s_add_u32 s2, s4, 0xc4
	s_addc_u32 s3, s5, 0
	s_and_b32 s28, s29, 28
	s_mov_b32 s30, 0
	v_mov_b32_e32 v4, 0
	s_mov_b64 s[26:27], s[4:5]
	v_mov_b32_e32 v1, v0
.LBB23_480:                             ; =>This Inner Loop Header: Depth=1
	s_load_dwordx8 s[8:15], s[26:27], 0x4
	s_load_dwordx4 s[16:19], s[26:27], 0x24
	s_load_dwordx4 s[20:23], s[2:3], 0x0
	s_add_u32 s26, s26, 48
	s_addc_u32 s27, s27, 0
	s_waitcnt lgkmcnt(0)
	v_mul_hi_u32 v2, s9, v1
	v_add_u32_e32 v2, v1, v2
	v_lshrrev_b32_e32 v2, s10, v2
	v_mul_lo_u32 v3, v2, s8
	v_mul_hi_u32 v5, s12, v2
	v_sub_u32_e32 v1, v1, v3
	v_add_u32_e32 v3, v2, v5
	v_lshrrev_b32_e32 v3, s13, v3
	v_mul_lo_u32 v5, v3, s11
	v_mul_hi_u32 v7, s15, v3
	v_sub_u32_e32 v2, v2, v5
	v_add_u32_e32 v5, v3, v7
	v_mul_lo_u32 v1, v1, s20
	v_mul_lo_u32 v2, v2, s21
	v_lshrrev_b32_e32 v5, s16, v5
	v_add3_u32 v2, v1, v4, v2
	v_mul_lo_u32 v1, v5, s14
	v_mul_hi_u32 v4, s18, v5
	v_sub_u32_e32 v1, v3, v1
	v_add_u32_e32 v3, v5, v4
	v_mul_lo_u32 v4, v1, s22
	v_lshrrev_b32_e32 v1, s19, v3
	s_add_i32 s30, s30, 4
	v_mul_lo_u32 v3, v1, s17
	s_add_u32 s2, s2, 16
	v_sub_u32_e32 v3, v5, v3
	s_addc_u32 s3, s3, 0
	v_mul_lo_u32 v3, v3, s23
	s_cmp_lg_u32 s28, s30
	v_add3_u32 v4, v4, v2, v3
	s_cbranch_scc1 .LBB23_480
; %bb.481:
	s_and_b32 s10, s29, 3
	s_cmp_eq_u32 s10, 0
	s_cbranch_scc0 .LBB23_484
	s_branch .LBB23_486
.LBB23_482:
                                        ; implicit-def: $vgpr4
	s_branch .LBB23_487
.LBB23_483:
	v_mov_b32_e32 v1, v0
	s_and_b32 s10, s29, 3
	s_cmp_eq_u32 s10, 0
	s_cbranch_scc1 .LBB23_486
.LBB23_484:
	s_lshl_b32 s2, s28, 2
	s_add_u32 s2, s2, s4
	s_addc_u32 s3, 0, s5
	s_add_u32 s2, s2, 0xc4
	s_addc_u32 s3, s3, 0
	s_mul_i32 s8, s28, 12
	s_add_u32 s8, s4, s8
	s_addc_u32 s9, 0, s5
.LBB23_485:                             ; =>This Inner Loop Header: Depth=1
	s_load_dwordx2 s[12:13], s[8:9], 0x4
	s_load_dword s11, s[8:9], 0xc
	s_load_dword s14, s[2:3], 0x0
	s_add_u32 s8, s8, 12
	s_addc_u32 s9, s9, 0
	s_waitcnt lgkmcnt(0)
	v_mul_hi_u32 v2, s13, v1
	v_add_u32_e32 v2, v1, v2
	v_lshrrev_b32_e32 v2, s11, v2
	s_add_u32 s2, s2, 4
	v_mul_lo_u32 v3, v2, s12
	s_addc_u32 s3, s3, 0
	s_add_i32 s10, s10, -1
	v_sub_u32_e32 v3, v1, v3
	s_cmp_lg_u32 s10, 0
	v_mov_b32_e32 v1, v2
	v_mad_u64_u32 v[4:5], s[12:13], v3, s14, v[4:5]
	s_cbranch_scc1 .LBB23_485
.LBB23_486:
	s_cbranch_execnz .LBB23_489
.LBB23_487:
	s_load_dwordx4 s[8:11], s[4:5], 0x4
	s_load_dword s2, s[4:5], 0xc4
	s_cmp_lt_u32 s33, 2
	s_waitcnt lgkmcnt(0)
	v_mul_hi_u32 v1, s9, v0
	v_add_u32_e32 v1, v0, v1
	v_lshrrev_b32_e32 v1, s10, v1
	v_mul_lo_u32 v2, v1, s8
	v_sub_u32_e32 v0, v0, v2
	v_mul_lo_u32 v4, v0, s2
	s_cbranch_scc1 .LBB23_489
; %bb.488:
	s_load_dwordx4 s[8:11], s[4:5], 0x10
	s_load_dword s2, s[4:5], 0xc8
	s_waitcnt lgkmcnt(0)
	v_mul_hi_u32 v0, s9, v1
	v_add_u32_e32 v0, v1, v0
	v_lshrrev_b32_e32 v0, s10, v0
	v_mul_lo_u32 v0, v0, s8
	v_sub_u32_e32 v0, v1, v0
	v_mad_u64_u32 v[4:5], s[2:3], v0, s2, v[4:5]
.LBB23_489:
	s_and_b64 vcc, exec, s[0:1]
	v_add_u32_e32 v0, 0x100, v9
	s_cbranch_vccnz .LBB23_495
; %bb.490:
	s_mov_b32 s28, 0
	s_cmp_eq_u32 s33, 0
	v_mov_b32_e32 v2, 0
	s_cbranch_scc1 .LBB23_499
; %bb.491:
	s_min_u32 s29, s82, 15
	s_add_i32 s29, s29, 1
	s_cmp_eq_u32 s82, 2
	v_mov_b32_e32 v2, 0
	s_cbranch_scc1 .LBB23_496
; %bb.492:
	s_add_u32 s2, s4, 0xc4
	s_addc_u32 s3, s5, 0
	s_and_b32 s28, s29, 28
	s_mov_b32 s30, 0
	v_mov_b32_e32 v2, 0
	s_mov_b64 s[26:27], s[4:5]
	v_mov_b32_e32 v1, v0
.LBB23_493:                             ; =>This Inner Loop Header: Depth=1
	s_load_dwordx8 s[8:15], s[26:27], 0x4
	s_load_dwordx4 s[16:19], s[26:27], 0x24
	s_load_dwordx4 s[20:23], s[2:3], 0x0
	s_add_u32 s26, s26, 48
	s_addc_u32 s27, s27, 0
	s_waitcnt lgkmcnt(0)
	v_mul_hi_u32 v3, s9, v1
	v_add_u32_e32 v3, v1, v3
	v_lshrrev_b32_e32 v3, s10, v3
	v_mul_lo_u32 v5, v3, s8
	v_mul_hi_u32 v7, s12, v3
	v_sub_u32_e32 v1, v1, v5
	v_add_u32_e32 v5, v3, v7
	v_lshrrev_b32_e32 v5, s13, v5
	v_mul_lo_u32 v7, v5, s11
	v_mul_hi_u32 v9, s15, v5
	v_sub_u32_e32 v3, v3, v7
	v_add_u32_e32 v7, v5, v9
	v_mul_lo_u32 v1, v1, s20
	v_mul_lo_u32 v3, v3, s21
	v_lshrrev_b32_e32 v7, s16, v7
	v_add3_u32 v2, v1, v2, v3
	v_mul_lo_u32 v1, v7, s14
	v_mul_hi_u32 v3, s18, v7
	v_sub_u32_e32 v1, v5, v1
	v_add_u32_e32 v3, v7, v3
	v_mul_lo_u32 v5, v1, s22
	v_lshrrev_b32_e32 v1, s19, v3
	s_add_i32 s30, s30, 4
	v_mul_lo_u32 v3, v1, s17
	s_add_u32 s2, s2, 16
	v_sub_u32_e32 v3, v7, v3
	s_addc_u32 s3, s3, 0
	v_mul_lo_u32 v3, v3, s23
	s_cmp_lg_u32 s28, s30
	v_add3_u32 v2, v5, v2, v3
	s_cbranch_scc1 .LBB23_493
; %bb.494:
	s_and_b32 s10, s29, 3
	s_cmp_eq_u32 s10, 0
	s_cbranch_scc0 .LBB23_497
	s_branch .LBB23_499
.LBB23_495:
                                        ; implicit-def: $vgpr2
	s_branch .LBB23_500
.LBB23_496:
	v_mov_b32_e32 v1, v0
	s_and_b32 s10, s29, 3
	s_cmp_eq_u32 s10, 0
	s_cbranch_scc1 .LBB23_499
.LBB23_497:
	s_lshl_b32 s2, s28, 2
	s_add_u32 s2, s2, s4
	s_addc_u32 s3, 0, s5
	s_add_u32 s2, s2, 0xc4
	s_addc_u32 s3, s3, 0
	s_mul_i32 s8, s28, 12
	s_add_u32 s8, s4, s8
	s_addc_u32 s9, 0, s5
.LBB23_498:                             ; =>This Inner Loop Header: Depth=1
	s_load_dwordx2 s[12:13], s[8:9], 0x4
	s_load_dword s11, s[8:9], 0xc
	s_load_dword s14, s[2:3], 0x0
	s_add_u32 s8, s8, 12
	s_addc_u32 s9, s9, 0
	s_waitcnt lgkmcnt(0)
	v_mul_hi_u32 v3, s13, v1
	v_add_u32_e32 v3, v1, v3
	v_lshrrev_b32_e32 v3, s11, v3
	s_add_u32 s2, s2, 4
	v_mul_lo_u32 v5, v3, s12
	s_addc_u32 s3, s3, 0
	s_add_i32 s10, s10, -1
	v_sub_u32_e32 v5, v1, v5
	s_cmp_lg_u32 s10, 0
	v_mov_b32_e32 v1, v3
	v_mad_u64_u32 v[2:3], s[12:13], v5, s14, v[2:3]
	s_cbranch_scc1 .LBB23_498
.LBB23_499:
	s_cbranch_execnz .LBB23_502
.LBB23_500:
	s_load_dwordx4 s[8:11], s[4:5], 0x4
	s_load_dword s2, s[4:5], 0xc4
	s_cmp_lt_u32 s33, 2
	s_waitcnt lgkmcnt(0)
	v_mul_hi_u32 v1, s9, v0
	v_add_u32_e32 v1, v0, v1
	v_lshrrev_b32_e32 v1, s10, v1
	v_mul_lo_u32 v2, v1, s8
	v_sub_u32_e32 v0, v0, v2
	v_mul_lo_u32 v2, v0, s2
	s_cbranch_scc1 .LBB23_502
; %bb.501:
	s_load_dwordx4 s[8:11], s[4:5], 0x10
	s_load_dword s2, s[4:5], 0xc8
	s_waitcnt lgkmcnt(0)
	v_mul_hi_u32 v0, s9, v1
	v_add_u32_e32 v0, v1, v0
	v_lshrrev_b32_e32 v0, s10, v0
	v_mul_lo_u32 v0, v0, s8
	v_sub_u32_e32 v0, v1, v0
	v_mad_u64_u32 v[2:3], s[2:3], v0, s2, v[2:3]
.LBB23_502:
	s_and_b64 vcc, exec, s[0:1]
	s_cbranch_vccnz .LBB23_508
; %bb.503:
	s_mov_b32 s26, 0
	s_cmp_eq_u32 s33, 0
	v_mov_b32_e32 v0, 0
	s_cbranch_scc1 .LBB23_512
; %bb.504:
	s_min_u32 s27, s82, 15
	s_add_i32 s27, s27, 1
	s_cmp_eq_u32 s82, 2
	v_mov_b32_e32 v0, 0
	s_cbranch_scc1 .LBB23_509
; %bb.505:
	s_add_u32 s20, s4, 0xc4
	s_addc_u32 s21, s5, 0
	s_and_b32 s26, s27, 28
	s_mov_b32 s28, 0
	v_mov_b32_e32 v0, 0
	s_mov_b64 s[22:23], s[4:5]
	v_mov_b32_e32 v3, v8
.LBB23_506:                             ; =>This Inner Loop Header: Depth=1
	s_load_dwordx8 s[8:15], s[22:23], 0x4
	s_load_dwordx4 s[0:3], s[22:23], 0x24
	s_load_dwordx4 s[16:19], s[20:21], 0x0
	s_add_u32 s22, s22, 48
	s_addc_u32 s23, s23, 0
	s_waitcnt lgkmcnt(0)
	v_mul_hi_u32 v1, s9, v3
	v_add_u32_e32 v1, v3, v1
	v_lshrrev_b32_e32 v1, s10, v1
	v_mul_lo_u32 v5, v1, s8
	v_mul_hi_u32 v7, s12, v1
	v_sub_u32_e32 v3, v3, v5
	v_add_u32_e32 v5, v1, v7
	v_lshrrev_b32_e32 v5, s13, v5
	v_mul_lo_u32 v7, v5, s11
	v_mul_hi_u32 v9, s15, v5
	v_sub_u32_e32 v1, v1, v7
	v_add_u32_e32 v7, v5, v9
	v_mul_lo_u32 v3, v3, s16
	v_mul_lo_u32 v1, v1, s17
	v_lshrrev_b32_e32 v7, s0, v7
	v_add3_u32 v0, v3, v0, v1
	v_mul_hi_u32 v3, s2, v7
	v_add_u32_e32 v3, v7, v3
	v_mul_lo_u32 v1, v7, s14
	v_lshrrev_b32_e32 v3, s3, v3
	s_add_i32 s28, s28, 4
	v_sub_u32_e32 v1, v5, v1
	v_mul_lo_u32 v5, v3, s1
	s_add_u32 s20, s20, 16
	v_sub_u32_e32 v5, v7, v5
	s_addc_u32 s21, s21, 0
	v_mul_lo_u32 v1, v1, s18
	v_mul_lo_u32 v5, v5, s19
	s_cmp_lg_u32 s26, s28
	v_add3_u32 v0, v1, v0, v5
	s_cbranch_scc1 .LBB23_506
; %bb.507:
	s_and_b32 s8, s27, 3
	s_cmp_eq_u32 s8, 0
	s_cbranch_scc0 .LBB23_510
	s_branch .LBB23_512
.LBB23_508:
                                        ; implicit-def: $vgpr0
	s_branch .LBB23_513
.LBB23_509:
	v_mov_b32_e32 v3, v8
	s_and_b32 s8, s27, 3
	s_cmp_eq_u32 s8, 0
	s_cbranch_scc1 .LBB23_512
.LBB23_510:
	s_lshl_b32 s0, s26, 2
	s_add_u32 s0, s0, s4
	s_addc_u32 s1, 0, s5
	s_add_u32 s0, s0, 0xc4
	s_addc_u32 s1, s1, 0
	s_mul_i32 s2, s26, 12
	s_add_u32 s2, s4, s2
	s_addc_u32 s3, 0, s5
.LBB23_511:                             ; =>This Inner Loop Header: Depth=1
	s_load_dwordx2 s[10:11], s[2:3], 0x4
	s_load_dword s9, s[2:3], 0xc
	s_load_dword s12, s[0:1], 0x0
	s_add_u32 s2, s2, 12
	s_addc_u32 s3, s3, 0
	s_waitcnt lgkmcnt(0)
	v_mul_hi_u32 v1, s11, v3
	v_add_u32_e32 v1, v3, v1
	v_lshrrev_b32_e32 v1, s9, v1
	s_add_u32 s0, s0, 4
	v_mul_lo_u32 v5, v1, s10
	s_addc_u32 s1, s1, 0
	s_add_i32 s8, s8, -1
	v_sub_u32_e32 v5, v3, v5
	s_cmp_lg_u32 s8, 0
	v_mov_b32_e32 v3, v1
	v_mad_u64_u32 v[0:1], s[10:11], v5, s12, v[0:1]
	s_cbranch_scc1 .LBB23_511
.LBB23_512:
	s_cbranch_execnz .LBB23_515
.LBB23_513:
	s_load_dwordx4 s[0:3], s[4:5], 0x4
	s_waitcnt lgkmcnt(0)
	s_load_dword s3, s[4:5], 0xc4
	s_cmp_lt_u32 s33, 2
	v_mul_hi_u32 v0, s1, v8
	v_add_u32_e32 v0, v8, v0
	v_lshrrev_b32_e32 v1, s2, v0
	v_mul_lo_u32 v0, v1, s0
	v_sub_u32_e32 v0, v8, v0
	s_waitcnt lgkmcnt(0)
	v_mul_lo_u32 v0, v0, s3
	s_cbranch_scc1 .LBB23_515
; %bb.514:
	s_load_dwordx4 s[0:3], s[4:5], 0x10
	s_waitcnt lgkmcnt(0)
	s_load_dword s3, s[4:5], 0xc8
	v_mul_hi_u32 v3, s1, v1
	v_add_u32_e32 v3, v1, v3
	v_lshrrev_b32_e32 v3, s2, v3
	v_mul_lo_u32 v3, v3, s0
	v_sub_u32_e32 v1, v1, v3
	s_waitcnt lgkmcnt(0)
	v_mad_u64_u32 v[0:1], s[0:1], v1, s3, v[0:1]
.LBB23_515:
	s_load_dwordx4 s[0:3], s[4:5], 0x108
	s_waitcnt lgkmcnt(0)
	v_mov_b32_e32 v1, s1
	s_and_b32 s3, s3, 0xff
	v_add_co_u32_e32 v6, vcc, s0, v6
	v_addc_co_u32_e32 v7, vcc, 0, v1, vcc
	v_cmp_lt_i16_e64 s[8:9], s3, 11
	s_and_b64 vcc, exec, s[8:9]
	s_cbranch_vccnz .LBB23_522
; %bb.516:
	v_cmp_gt_i16_e64 s[4:5], s3, 25
	s_mov_b64 s[14:15], -1
	s_mov_b64 s[10:11], 0
	s_and_b64 vcc, exec, s[4:5]
	s_mov_b64 s[12:13], 0
	s_mov_b64 s[4:5], 0
	s_cbranch_vccz .LBB23_554
; %bb.517:
	v_cmp_gt_i16_e64 s[4:5], s3, 28
	s_and_b64 vcc, exec, s[4:5]
	s_cbranch_vccz .LBB23_524
; %bb.518:
	v_cmp_gt_i16_e64 s[4:5], s3, 43
	s_and_b64 vcc, exec, s[4:5]
	;; [unrolled: 4-line block ×3, first 2 shown]
	s_cbranch_vccz .LBB23_526
; %bb.520:
	v_cmp_eq_u16_e64 s[12:13], s3, 46
	s_mov_b64 s[4:5], -1
	s_mov_b64 s[14:15], 0
	s_and_b64 vcc, exec, s[12:13]
	s_mov_b64 s[12:13], 0
	s_cbranch_vccz .LBB23_527
; %bb.521:
	v_cvt_f32_i32_e32 v1, s2
	s_mov_b64 s[4:5], 0
	s_mov_b64 s[12:13], -1
	v_bfe_u32 v3, v1, 16, 1
	v_add_u32_e32 v1, v1, v3
	v_add_u32_e32 v1, 0x7fff, v1
	v_lshrrev_b32_e32 v1, 16, v1
	global_store_dword v[6:7], v1, off
	s_branch .LBB23_527
.LBB23_522:
	s_mov_b64 s[12:13], 0
	s_mov_b64 s[4:5], s[6:7]
	s_cbranch_execnz .LBB23_604
.LBB23_523:
	s_andn2_b64 vcc, exec, s[12:13]
	s_cbranch_vccz .LBB23_642
	s_branch .LBB23_949
.LBB23_524:
	s_mov_b64 s[4:5], 0
	s_and_b64 vcc, exec, s[14:15]
	s_cbranch_vccz .LBB23_553
	s_branch .LBB23_536
.LBB23_525:
	s_mov_b64 s[4:5], 0
	s_and_b64 vcc, exec, s[14:15]
	s_cbranch_vccnz .LBB23_533
	s_branch .LBB23_535
.LBB23_526:
	s_mov_b64 s[4:5], 0
.LBB23_527:
	s_and_b64 vcc, exec, s[14:15]
	s_cbranch_vccz .LBB23_532
; %bb.528:
	v_cmp_eq_u16_e64 s[14:15], s3, 44
	s_mov_b64 s[4:5], -1
	s_and_b64 vcc, exec, s[14:15]
	s_cbranch_vccz .LBB23_532
; %bb.529:
	v_cvt_f32_i32_e32 v1, s2
	v_mov_b32_e32 v3, 0xff
	v_readfirstlane_b32 s4, v1
	s_bfe_u32 s5, s4, 0x80017
	s_cmpk_eq_i32 s5, 0xff
	s_cbranch_scc1 .LBB23_531
; %bb.530:
	s_bitcmp1_b32 s4, 22
	s_cselect_b64 s[12:13], -1, 0
	s_and_b32 s4, s4, 0x3fffff
	s_or_b32 s4, s5, s4
	s_cmp_lg_u32 s4, 0
	s_cselect_b64 s[4:5], -1, 0
	s_and_b64 s[4:5], s[12:13], s[4:5]
	v_lshrrev_b32_e32 v1, 23, v1
	v_cndmask_b32_e64 v3, 0, 1, s[4:5]
	v_add_u32_e32 v3, v1, v3
.LBB23_531:
	s_mov_b64 s[4:5], 0
	s_mov_b64 s[12:13], -1
	global_store_byte v[6:7], v3, off
.LBB23_532:
	s_branch .LBB23_535
.LBB23_533:
	v_cmp_eq_u16_e64 s[14:15], s3, 29
	s_mov_b64 s[4:5], -1
	s_and_b64 vcc, exec, s[14:15]
	s_cbranch_vccz .LBB23_535
; %bb.534:
	s_ashr_i32 s4, s2, 31
	v_mov_b32_e32 v8, s2
	v_mov_b32_e32 v9, s4
	global_store_dwordx2 v[6:7], v[8:9], off
	s_mov_b64 s[4:5], 0
	s_mov_b64 s[12:13], -1
.LBB23_535:
	s_branch .LBB23_553
.LBB23_536:
	v_cmp_lt_i16_e64 s[14:15], s3, 27
	s_mov_b64 s[12:13], -1
	s_and_b64 vcc, exec, s[14:15]
	s_cbranch_vccnz .LBB23_542
; %bb.537:
	v_cmp_gt_i16_e64 s[14:15], s3, 27
	s_and_b64 vcc, exec, s[14:15]
	s_cbranch_vccz .LBB23_539
; %bb.538:
	v_mov_b32_e32 v1, s2
	s_mov_b64 s[12:13], 0
	global_store_dword v[6:7], v1, off
.LBB23_539:
	s_andn2_b64 vcc, exec, s[12:13]
	s_cbranch_vccnz .LBB23_541
; %bb.540:
	v_mov_b32_e32 v1, s2
	global_store_short v[6:7], v1, off
.LBB23_541:
	s_mov_b64 s[12:13], 0
.LBB23_542:
	s_andn2_b64 vcc, exec, s[12:13]
	s_cbranch_vccnz .LBB23_552
; %bb.543:
	v_cvt_f32_i32_e32 v1, s2
	v_mov_b32_e32 v3, 0x80
	v_readfirstlane_b32 s16, v1
	s_and_b32 s12, s16, 0x7fffffff
	s_cmp_gt_u32 s12, 0x437fffff
	s_cbranch_scc1 .LBB23_551
; %bb.544:
	s_cmp_gt_u32 s12, 0x3bffffff
	s_cbranch_scc0 .LBB23_546
; %bb.545:
	s_bfe_u32 s12, s16, 0x10014
	s_add_i32 s12, s16, s12
	s_add_i32 s12, s12, 0x487ffff
	s_lshr_b32 s17, s12, 20
	s_mov_b64 s[14:15], 0
	s_mov_b64 s[12:13], -1
	s_branch .LBB23_547
.LBB23_546:
	s_mov_b64 s[14:15], -1
	s_mov_b64 s[12:13], 0
                                        ; implicit-def: $sgpr17
.LBB23_547:
	s_andn2_b64 vcc, exec, s[14:15]
	v_mov_b32_e32 v1, s17
                                        ; implicit-def: $sgpr14
	s_cbranch_vccnz .LBB23_549
; %bb.548:
	v_mov_b32_e32 v1, 0x46000000
	v_add_f32_e64 v1, |s16|, v1
	v_and_b32_e32 v1, 0xff, v1
	s_mov_b32 s14, 0
	v_cmp_ne_u32_e64 s[12:13], 0, v1
.LBB23_549:
	s_andn2_b64 vcc, exec, s[12:13]
	v_mov_b32_e32 v3, s14
	s_cbranch_vccnz .LBB23_551
; %bb.550:
	s_lshr_b32 s12, s16, 24
	s_and_b32 s12, s12, 0x80
	v_or_b32_e32 v3, s12, v1
.LBB23_551:
	global_store_byte v[6:7], v3, off
.LBB23_552:
	s_mov_b64 s[12:13], -1
.LBB23_553:
	s_mov_b64 s[14:15], 0
.LBB23_554:
	s_and_b64 vcc, exec, s[14:15]
	s_cbranch_vccz .LBB23_600
; %bb.555:
	v_cmp_gt_i16_e64 s[14:15], s3, 22
	s_mov_b64 s[10:11], -1
	s_and_b64 vcc, exec, s[14:15]
	s_cbranch_vccz .LBB23_593
; %bb.556:
	v_cmp_lt_i16_e64 s[12:13], s3, 24
	s_and_b64 vcc, exec, s[12:13]
	s_cbranch_vccnz .LBB23_580
; %bb.557:
	v_cmp_gt_i16_e64 s[12:13], s3, 24
	s_and_b64 vcc, exec, s[12:13]
	s_cbranch_vccz .LBB23_567
; %bb.558:
	v_cvt_f32_i32_e32 v1, s2
	v_mov_b32_e32 v3, 0x80
	v_readfirstlane_b32 s14, v1
	s_and_b32 s10, s14, 0x7fffffff
	s_cmp_gt_u32 s10, 0x477fffff
	s_cbranch_scc1 .LBB23_566
; %bb.559:
	s_cmp_gt_u32 s10, 0x37ffffff
	s_cbranch_scc0 .LBB23_561
; %bb.560:
	s_bfe_u32 s10, s14, 0x10015
	s_add_i32 s10, s14, s10
	s_add_i32 s10, s10, 0x88fffff
	s_lshr_b32 s15, s10, 21
	s_mov_b64 s[12:13], 0
	s_mov_b64 s[10:11], -1
	s_branch .LBB23_562
.LBB23_561:
	s_mov_b64 s[12:13], -1
	s_mov_b64 s[10:11], 0
                                        ; implicit-def: $sgpr15
.LBB23_562:
	s_andn2_b64 vcc, exec, s[12:13]
	v_mov_b32_e32 v1, s15
                                        ; implicit-def: $sgpr12
	s_cbranch_vccnz .LBB23_564
; %bb.563:
	v_mov_b32_e32 v1, 0x42800000
	v_add_f32_e64 v1, |s14|, v1
	v_and_b32_e32 v1, 0xff, v1
	s_mov_b32 s12, 0
	v_cmp_ne_u32_e64 s[10:11], 0, v1
.LBB23_564:
	s_andn2_b64 vcc, exec, s[10:11]
	v_mov_b32_e32 v3, s12
	s_cbranch_vccnz .LBB23_566
; %bb.565:
	s_lshr_b32 s10, s14, 24
	s_and_b32 s10, s10, 0x80
	v_or_b32_e32 v3, s10, v1
.LBB23_566:
	s_mov_b64 s[10:11], 0
	global_store_byte v[6:7], v3, off
.LBB23_567:
	s_and_b64 vcc, exec, s[10:11]
	s_cbranch_vccz .LBB23_579
; %bb.568:
	v_cvt_f32_i32_e32 v1, s2
	v_readfirstlane_b32 s12, v1
	s_and_b32 s13, s12, 0x7fffffff
	s_cmp_lt_u32 s13, 0x43f00000
	s_cbranch_scc0 .LBB23_571
; %bb.569:
	s_cmp_gt_u32 s13, 0x3c7fffff
	s_cbranch_scc0 .LBB23_572
; %bb.570:
	s_bfe_u32 s10, s12, 0x10014
	s_add_i32 s10, s12, s10
	s_add_i32 s10, s10, 0x407ffff
	s_lshr_b32 s11, s10, 20
	s_and_b32 s10, s10, 0xff00000
	s_cmp_lg_u32 s10, 0x7f00000
	s_cselect_b32 s14, s11, 0x7e
	s_mov_b64 s[10:11], 0
	s_branch .LBB23_573
.LBB23_571:
	s_mov_b64 s[10:11], -1
                                        ; implicit-def: $vgpr3
	s_branch .LBB23_576
.LBB23_572:
	s_mov_b64 s[10:11], -1
                                        ; implicit-def: $sgpr14
.LBB23_573:
	s_andn2_b64 vcc, exec, s[10:11]
	v_mov_b32_e32 v3, s14
	s_cbranch_vccnz .LBB23_575
; %bb.574:
	s_mov_b32 s10, 0x46800000
	v_add_f32_e64 v3, |v1|, s10
.LBB23_575:
	s_mov_b64 s[10:11], 0
.LBB23_576:
	s_andn2_b64 vcc, exec, s[10:11]
	s_cbranch_vccnz .LBB23_578
; %bb.577:
	s_cmp_gt_u32 s13, 0x7f800000
	s_movk_i32 s10, 0x7f
	s_cselect_b32 s10, s10, 0x7e
	v_mov_b32_e32 v3, s10
.LBB23_578:
	s_lshr_b32 s10, s12, 24
	s_and_b32 s10, s10, 0x80
	v_or_b32_e32 v1, s10, v3
	global_store_byte v[6:7], v1, off
.LBB23_579:
	s_mov_b64 s[10:11], 0
.LBB23_580:
	s_andn2_b64 vcc, exec, s[10:11]
	s_cbranch_vccnz .LBB23_592
; %bb.581:
	v_cvt_f32_i32_e32 v1, s2
	v_readfirstlane_b32 s12, v1
	s_and_b32 s13, s12, 0x7fffffff
	s_cmp_lt_u32 s13, 0x47800000
	s_cbranch_scc0 .LBB23_584
; %bb.582:
	s_cmp_gt_u32 s13, 0x387fffff
	s_cbranch_scc0 .LBB23_585
; %bb.583:
	s_bfe_u32 s10, s12, 0x10015
	s_add_i32 s10, s12, s10
	s_add_i32 s10, s10, 0x80fffff
	s_lshr_b32 s14, s10, 21
	s_mov_b64 s[10:11], 0
	s_branch .LBB23_586
.LBB23_584:
	s_mov_b64 s[10:11], -1
                                        ; implicit-def: $vgpr3
	s_branch .LBB23_589
.LBB23_585:
	s_mov_b64 s[10:11], -1
                                        ; implicit-def: $sgpr14
.LBB23_586:
	s_andn2_b64 vcc, exec, s[10:11]
	v_mov_b32_e32 v3, s14
	s_cbranch_vccnz .LBB23_588
; %bb.587:
	s_mov_b32 s10, 0x43000000
	v_add_f32_e64 v3, |v1|, s10
.LBB23_588:
	s_mov_b64 s[10:11], 0
.LBB23_589:
	s_andn2_b64 vcc, exec, s[10:11]
	s_cbranch_vccnz .LBB23_591
; %bb.590:
	s_cmp_gt_u32 s13, 0x7f800000
	s_movk_i32 s10, 0x7f
	s_cselect_b32 s10, s10, 0x7c
	v_mov_b32_e32 v3, s10
.LBB23_591:
	s_lshr_b32 s10, s12, 24
	s_and_b32 s10, s10, 0x80
	v_or_b32_e32 v1, s10, v3
	global_store_byte v[6:7], v1, off
.LBB23_592:
	s_mov_b64 s[10:11], 0
	s_mov_b64 s[12:13], -1
.LBB23_593:
	s_andn2_b64 vcc, exec, s[10:11]
	s_mov_b64 s[10:11], 0
	s_cbranch_vccnz .LBB23_600
; %bb.594:
	v_cmp_gt_i16_e64 s[10:11], s3, 14
	s_mov_b64 s[14:15], -1
	s_and_b64 vcc, exec, s[10:11]
	s_cbranch_vccz .LBB23_598
; %bb.595:
	v_cmp_eq_u16_e64 s[10:11], s3, 15
	s_mov_b64 s[4:5], -1
	s_and_b64 vcc, exec, s[10:11]
	s_cbranch_vccz .LBB23_597
; %bb.596:
	v_cvt_f32_i32_e32 v1, s2
	s_mov_b64 s[4:5], 0
	s_mov_b64 s[12:13], -1
	v_bfe_u32 v3, v1, 16, 1
	v_add_u32_e32 v1, v1, v3
	v_add_u32_e32 v1, 0x7fff, v1
	global_store_short_d16_hi v[6:7], v1, off
.LBB23_597:
	s_mov_b64 s[14:15], 0
.LBB23_598:
	s_mov_b64 s[10:11], 0
	s_and_b64 vcc, exec, s[14:15]
	s_cbranch_vccz .LBB23_600
; %bb.599:
	v_cmp_ne_u16_e64 s[4:5], s3, 11
	s_mov_b64 s[10:11], -1
.LBB23_600:
	s_and_b64 vcc, exec, s[4:5]
	s_mov_b64 s[4:5], s[6:7]
	s_cbranch_vccnz .LBB23_653
; %bb.601:
	s_andn2_b64 vcc, exec, s[10:11]
	s_cbranch_vccnz .LBB23_603
.LBB23_602:
	s_cmp_lg_u32 s2, 0
	s_cselect_b64 s[10:11], -1, 0
	v_cndmask_b32_e64 v1, 0, 1, s[10:11]
	global_store_byte v[6:7], v1, off
	s_mov_b64 s[12:13], -1
.LBB23_603:
	s_branch .LBB23_523
.LBB23_604:
	v_cmp_lt_i16_e64 s[12:13], s3, 5
	s_mov_b64 s[10:11], -1
	s_and_b64 vcc, exec, s[12:13]
	s_cbranch_vccnz .LBB23_625
; %bb.605:
	v_cmp_lt_i16_e64 s[12:13], s3, 8
	s_and_b64 vcc, exec, s[12:13]
	s_cbranch_vccnz .LBB23_615
; %bb.606:
	v_cmp_lt_i16_e64 s[12:13], s3, 9
	s_and_b64 vcc, exec, s[12:13]
	s_cbranch_vccnz .LBB23_612
; %bb.607:
	v_cmp_gt_i16_e64 s[12:13], s3, 9
	s_and_b64 vcc, exec, s[12:13]
	s_cbranch_vccz .LBB23_609
; %bb.608:
	v_mov_b32_e32 v10, 0
	v_cvt_f64_i32_e32 v[8:9], s2
	v_mov_b32_e32 v11, v10
	global_store_dwordx4 v[6:7], v[8:11], off
	s_mov_b64 s[10:11], 0
.LBB23_609:
	s_andn2_b64 vcc, exec, s[10:11]
	s_cbranch_vccnz .LBB23_611
; %bb.610:
	v_cvt_f32_i32_e32 v8, s2
	v_mov_b32_e32 v9, 0
	global_store_dwordx2 v[6:7], v[8:9], off
.LBB23_611:
	s_mov_b64 s[10:11], 0
.LBB23_612:
	s_andn2_b64 vcc, exec, s[10:11]
	s_cbranch_vccnz .LBB23_614
; %bb.613:
	v_cvt_f32_i32_e32 v1, s2
	v_cvt_f16_f32_e32 v1, v1
	global_store_dword v[6:7], v1, off
.LBB23_614:
	s_mov_b64 s[10:11], 0
.LBB23_615:
	s_andn2_b64 vcc, exec, s[10:11]
	s_cbranch_vccnz .LBB23_624
; %bb.616:
	v_cmp_lt_i16_e64 s[12:13], s3, 6
	s_mov_b64 s[10:11], -1
	s_and_b64 vcc, exec, s[12:13]
	s_cbranch_vccnz .LBB23_622
; %bb.617:
	v_cmp_gt_i16_e64 s[12:13], s3, 6
	s_and_b64 vcc, exec, s[12:13]
	s_cbranch_vccz .LBB23_619
; %bb.618:
	v_cvt_f64_i32_e32 v[8:9], s2
	global_store_dwordx2 v[6:7], v[8:9], off
	s_mov_b64 s[10:11], 0
.LBB23_619:
	s_andn2_b64 vcc, exec, s[10:11]
	s_cbranch_vccnz .LBB23_621
; %bb.620:
	v_cvt_f32_i32_e32 v1, s2
	global_store_dword v[6:7], v1, off
.LBB23_621:
	s_mov_b64 s[10:11], 0
.LBB23_622:
	s_andn2_b64 vcc, exec, s[10:11]
	s_cbranch_vccnz .LBB23_624
; %bb.623:
	v_cvt_f32_i32_e32 v1, s2
	v_cvt_f16_f32_e32 v1, v1
	global_store_short v[6:7], v1, off
.LBB23_624:
	s_mov_b64 s[10:11], 0
.LBB23_625:
	s_andn2_b64 vcc, exec, s[10:11]
	s_cbranch_vccnz .LBB23_641
; %bb.626:
	v_cmp_lt_i16_e64 s[12:13], s3, 2
	s_mov_b64 s[10:11], -1
	s_and_b64 vcc, exec, s[12:13]
	s_cbranch_vccnz .LBB23_636
; %bb.627:
	v_cmp_lt_i16_e64 s[12:13], s3, 3
	s_and_b64 vcc, exec, s[12:13]
	s_cbranch_vccnz .LBB23_633
; %bb.628:
	v_cmp_gt_i16_e64 s[12:13], s3, 3
	s_and_b64 vcc, exec, s[12:13]
	s_cbranch_vccz .LBB23_630
; %bb.629:
	s_ashr_i32 s10, s2, 31
	v_mov_b32_e32 v8, s2
	v_mov_b32_e32 v9, s10
	global_store_dwordx2 v[6:7], v[8:9], off
	s_mov_b64 s[10:11], 0
.LBB23_630:
	s_andn2_b64 vcc, exec, s[10:11]
	s_cbranch_vccnz .LBB23_632
; %bb.631:
	v_mov_b32_e32 v1, s2
	global_store_dword v[6:7], v1, off
.LBB23_632:
	s_mov_b64 s[10:11], 0
.LBB23_633:
	s_andn2_b64 vcc, exec, s[10:11]
	s_cbranch_vccnz .LBB23_635
; %bb.634:
	v_mov_b32_e32 v1, s2
	global_store_short v[6:7], v1, off
.LBB23_635:
	s_mov_b64 s[10:11], 0
.LBB23_636:
	s_andn2_b64 vcc, exec, s[10:11]
	s_cbranch_vccnz .LBB23_641
; %bb.637:
	v_cmp_gt_i16_e64 s[12:13], s3, 0
	s_mov_b64 s[10:11], -1
	s_and_b64 vcc, exec, s[12:13]
	s_cbranch_vccz .LBB23_639
; %bb.638:
	v_mov_b32_e32 v1, s2
	global_store_byte v[6:7], v1, off
	s_mov_b64 s[10:11], 0
.LBB23_639:
	s_andn2_b64 vcc, exec, s[10:11]
	s_cbranch_vccnz .LBB23_641
; %bb.640:
	v_mov_b32_e32 v1, s2
	global_store_byte v[6:7], v1, off
.LBB23_641:
.LBB23_642:
	v_mov_b32_e32 v1, s1
	v_add_co_u32_e32 v4, vcc, s0, v4
	v_addc_co_u32_e32 v5, vcc, 0, v1, vcc
	s_and_b64 vcc, exec, s[8:9]
	s_cbranch_vccnz .LBB23_649
; %bb.643:
	v_cmp_gt_i16_e64 s[10:11], s3, 25
	s_mov_b64 s[16:17], -1
	s_mov_b64 s[12:13], 0
	s_and_b64 vcc, exec, s[10:11]
	s_mov_b64 s[14:15], 0
	s_mov_b64 s[10:11], 0
	s_cbranch_vccz .LBB23_684
; %bb.644:
	v_cmp_gt_i16_e64 s[10:11], s3, 28
	s_and_b64 vcc, exec, s[10:11]
	s_cbranch_vccz .LBB23_651
; %bb.645:
	v_cmp_gt_i16_e64 s[10:11], s3, 43
	s_and_b64 vcc, exec, s[10:11]
	;; [unrolled: 4-line block ×3, first 2 shown]
	s_cbranch_vccz .LBB23_654
; %bb.647:
	v_cmp_eq_u16_e64 s[14:15], s3, 46
	s_mov_b64 s[10:11], -1
	s_mov_b64 s[16:17], 0
	s_and_b64 vcc, exec, s[14:15]
	s_mov_b64 s[14:15], 0
	s_cbranch_vccz .LBB23_655
; %bb.648:
	v_cvt_f32_i32_e32 v1, s2
	s_mov_b64 s[10:11], 0
	s_mov_b64 s[14:15], -1
	v_bfe_u32 v3, v1, 16, 1
	v_add_u32_e32 v1, v1, v3
	v_add_u32_e32 v1, 0x7fff, v1
	v_lshrrev_b32_e32 v1, 16, v1
	global_store_dword v[4:5], v1, off
	s_branch .LBB23_655
.LBB23_649:
	s_mov_b64 s[14:15], 0
	s_cbranch_execnz .LBB23_734
.LBB23_650:
	s_andn2_b64 vcc, exec, s[14:15]
	s_cbranch_vccz .LBB23_772
	s_branch .LBB23_949
.LBB23_651:
	s_mov_b64 s[10:11], 0
	s_branch .LBB23_665
.LBB23_652:
	s_mov_b64 s[10:11], 0
	s_branch .LBB23_661
.LBB23_653:
	s_or_b64 s[4:5], s[6:7], exec
	s_trap 2
	s_cbranch_execz .LBB23_602
	s_branch .LBB23_603
.LBB23_654:
	s_mov_b64 s[10:11], 0
.LBB23_655:
	s_and_b64 vcc, exec, s[16:17]
	s_cbranch_vccz .LBB23_660
; %bb.656:
	v_cmp_eq_u16_e64 s[16:17], s3, 44
	s_mov_b64 s[10:11], -1
	s_and_b64 vcc, exec, s[16:17]
	s_cbranch_vccz .LBB23_660
; %bb.657:
	v_cvt_f32_i32_e32 v1, s2
	v_mov_b32_e32 v3, 0xff
	v_readfirstlane_b32 s10, v1
	s_bfe_u32 s11, s10, 0x80017
	s_cmpk_eq_i32 s11, 0xff
	s_cbranch_scc1 .LBB23_659
; %bb.658:
	s_bitcmp1_b32 s10, 22
	s_cselect_b64 s[14:15], -1, 0
	s_and_b32 s10, s10, 0x3fffff
	s_or_b32 s10, s11, s10
	s_cmp_lg_u32 s10, 0
	s_cselect_b64 s[10:11], -1, 0
	s_and_b64 s[10:11], s[14:15], s[10:11]
	v_lshrrev_b32_e32 v1, 23, v1
	v_cndmask_b32_e64 v3, 0, 1, s[10:11]
	v_add_u32_e32 v3, v1, v3
.LBB23_659:
	s_mov_b64 s[10:11], 0
	s_mov_b64 s[14:15], -1
	global_store_byte v[4:5], v3, off
.LBB23_660:
	s_mov_b64 s[16:17], 0
.LBB23_661:
	s_and_b64 vcc, exec, s[16:17]
	s_cbranch_vccz .LBB23_664
; %bb.662:
	v_cmp_eq_u16_e64 s[16:17], s3, 29
	s_mov_b64 s[10:11], -1
	s_and_b64 vcc, exec, s[16:17]
	s_cbranch_vccz .LBB23_664
; %bb.663:
	s_ashr_i32 s10, s2, 31
	v_mov_b32_e32 v6, s2
	v_mov_b32_e32 v7, s10
	global_store_dwordx2 v[4:5], v[6:7], off
	s_mov_b64 s[10:11], 0
	s_mov_b64 s[14:15], -1
.LBB23_664:
	s_mov_b64 s[16:17], 0
.LBB23_665:
	s_and_b64 vcc, exec, s[16:17]
	s_cbranch_vccz .LBB23_683
; %bb.666:
	v_cmp_lt_i16_e64 s[16:17], s3, 27
	s_mov_b64 s[14:15], -1
	s_and_b64 vcc, exec, s[16:17]
	s_cbranch_vccnz .LBB23_672
; %bb.667:
	v_cmp_gt_i16_e64 s[16:17], s3, 27
	s_and_b64 vcc, exec, s[16:17]
	s_cbranch_vccz .LBB23_669
; %bb.668:
	v_mov_b32_e32 v1, s2
	s_mov_b64 s[14:15], 0
	global_store_dword v[4:5], v1, off
.LBB23_669:
	s_andn2_b64 vcc, exec, s[14:15]
	s_cbranch_vccnz .LBB23_671
; %bb.670:
	v_mov_b32_e32 v1, s2
	global_store_short v[4:5], v1, off
.LBB23_671:
	s_mov_b64 s[14:15], 0
.LBB23_672:
	s_andn2_b64 vcc, exec, s[14:15]
	s_cbranch_vccnz .LBB23_682
; %bb.673:
	v_cvt_f32_i32_e32 v1, s2
	v_mov_b32_e32 v3, 0x80
	v_readfirstlane_b32 s18, v1
	s_and_b32 s14, s18, 0x7fffffff
	s_cmp_gt_u32 s14, 0x437fffff
	s_cbranch_scc1 .LBB23_681
; %bb.674:
	s_cmp_gt_u32 s14, 0x3bffffff
	s_cbranch_scc0 .LBB23_676
; %bb.675:
	s_bfe_u32 s14, s18, 0x10014
	s_add_i32 s14, s18, s14
	s_add_i32 s14, s14, 0x487ffff
	s_lshr_b32 s19, s14, 20
	s_mov_b64 s[16:17], 0
	s_mov_b64 s[14:15], -1
	s_branch .LBB23_677
.LBB23_676:
	s_mov_b64 s[16:17], -1
	s_mov_b64 s[14:15], 0
                                        ; implicit-def: $sgpr19
.LBB23_677:
	s_andn2_b64 vcc, exec, s[16:17]
	v_mov_b32_e32 v1, s19
                                        ; implicit-def: $sgpr16
	s_cbranch_vccnz .LBB23_679
; %bb.678:
	v_mov_b32_e32 v1, 0x46000000
	v_add_f32_e64 v1, |s18|, v1
	v_and_b32_e32 v1, 0xff, v1
	s_mov_b32 s16, 0
	v_cmp_ne_u32_e64 s[14:15], 0, v1
.LBB23_679:
	s_andn2_b64 vcc, exec, s[14:15]
	v_mov_b32_e32 v3, s16
	s_cbranch_vccnz .LBB23_681
; %bb.680:
	s_lshr_b32 s14, s18, 24
	s_and_b32 s14, s14, 0x80
	v_or_b32_e32 v3, s14, v1
.LBB23_681:
	global_store_byte v[4:5], v3, off
.LBB23_682:
	s_mov_b64 s[14:15], -1
.LBB23_683:
	s_mov_b64 s[16:17], 0
.LBB23_684:
	s_and_b64 vcc, exec, s[16:17]
	s_cbranch_vccz .LBB23_730
; %bb.685:
	v_cmp_gt_i16_e64 s[16:17], s3, 22
	s_mov_b64 s[12:13], -1
	s_and_b64 vcc, exec, s[16:17]
	s_cbranch_vccz .LBB23_723
; %bb.686:
	v_cmp_lt_i16_e64 s[14:15], s3, 24
	s_and_b64 vcc, exec, s[14:15]
	s_cbranch_vccnz .LBB23_710
; %bb.687:
	v_cmp_gt_i16_e64 s[14:15], s3, 24
	s_and_b64 vcc, exec, s[14:15]
	s_cbranch_vccz .LBB23_697
; %bb.688:
	v_cvt_f32_i32_e32 v1, s2
	v_mov_b32_e32 v3, 0x80
	v_readfirstlane_b32 s16, v1
	s_and_b32 s12, s16, 0x7fffffff
	s_cmp_gt_u32 s12, 0x477fffff
	s_cbranch_scc1 .LBB23_696
; %bb.689:
	s_cmp_gt_u32 s12, 0x37ffffff
	s_cbranch_scc0 .LBB23_691
; %bb.690:
	s_bfe_u32 s12, s16, 0x10015
	s_add_i32 s12, s16, s12
	s_add_i32 s12, s12, 0x88fffff
	s_lshr_b32 s17, s12, 21
	s_mov_b64 s[14:15], 0
	s_mov_b64 s[12:13], -1
	s_branch .LBB23_692
.LBB23_691:
	s_mov_b64 s[14:15], -1
	s_mov_b64 s[12:13], 0
                                        ; implicit-def: $sgpr17
.LBB23_692:
	s_andn2_b64 vcc, exec, s[14:15]
	v_mov_b32_e32 v1, s17
                                        ; implicit-def: $sgpr14
	s_cbranch_vccnz .LBB23_694
; %bb.693:
	v_mov_b32_e32 v1, 0x42800000
	v_add_f32_e64 v1, |s16|, v1
	v_and_b32_e32 v1, 0xff, v1
	s_mov_b32 s14, 0
	v_cmp_ne_u32_e64 s[12:13], 0, v1
.LBB23_694:
	s_andn2_b64 vcc, exec, s[12:13]
	v_mov_b32_e32 v3, s14
	s_cbranch_vccnz .LBB23_696
; %bb.695:
	s_lshr_b32 s12, s16, 24
	s_and_b32 s12, s12, 0x80
	v_or_b32_e32 v3, s12, v1
.LBB23_696:
	s_mov_b64 s[12:13], 0
	global_store_byte v[4:5], v3, off
.LBB23_697:
	s_and_b64 vcc, exec, s[12:13]
	s_cbranch_vccz .LBB23_709
; %bb.698:
	v_cvt_f32_i32_e32 v1, s2
	v_readfirstlane_b32 s14, v1
	s_and_b32 s15, s14, 0x7fffffff
	s_cmp_lt_u32 s15, 0x43f00000
	s_cbranch_scc0 .LBB23_701
; %bb.699:
	s_cmp_gt_u32 s15, 0x3c7fffff
	s_cbranch_scc0 .LBB23_702
; %bb.700:
	s_bfe_u32 s12, s14, 0x10014
	s_add_i32 s12, s14, s12
	s_add_i32 s12, s12, 0x407ffff
	s_lshr_b32 s13, s12, 20
	s_and_b32 s12, s12, 0xff00000
	s_cmp_lg_u32 s12, 0x7f00000
	s_cselect_b32 s16, s13, 0x7e
	s_mov_b64 s[12:13], 0
	s_branch .LBB23_703
.LBB23_701:
	s_mov_b64 s[12:13], -1
                                        ; implicit-def: $vgpr3
	s_branch .LBB23_706
.LBB23_702:
	s_mov_b64 s[12:13], -1
                                        ; implicit-def: $sgpr16
.LBB23_703:
	s_andn2_b64 vcc, exec, s[12:13]
	v_mov_b32_e32 v3, s16
	s_cbranch_vccnz .LBB23_705
; %bb.704:
	s_mov_b32 s12, 0x46800000
	v_add_f32_e64 v3, |v1|, s12
.LBB23_705:
	s_mov_b64 s[12:13], 0
.LBB23_706:
	s_andn2_b64 vcc, exec, s[12:13]
	s_cbranch_vccnz .LBB23_708
; %bb.707:
	s_cmp_gt_u32 s15, 0x7f800000
	s_movk_i32 s12, 0x7f
	s_cselect_b32 s12, s12, 0x7e
	v_mov_b32_e32 v3, s12
.LBB23_708:
	s_lshr_b32 s12, s14, 24
	s_and_b32 s12, s12, 0x80
	v_or_b32_e32 v1, s12, v3
	global_store_byte v[4:5], v1, off
.LBB23_709:
	s_mov_b64 s[12:13], 0
.LBB23_710:
	s_andn2_b64 vcc, exec, s[12:13]
	s_cbranch_vccnz .LBB23_722
; %bb.711:
	v_cvt_f32_i32_e32 v1, s2
	v_readfirstlane_b32 s14, v1
	s_and_b32 s15, s14, 0x7fffffff
	s_cmp_lt_u32 s15, 0x47800000
	s_cbranch_scc0 .LBB23_714
; %bb.712:
	s_cmp_gt_u32 s15, 0x387fffff
	s_cbranch_scc0 .LBB23_715
; %bb.713:
	s_bfe_u32 s12, s14, 0x10015
	s_add_i32 s12, s14, s12
	s_add_i32 s12, s12, 0x80fffff
	s_lshr_b32 s16, s12, 21
	s_mov_b64 s[12:13], 0
	s_branch .LBB23_716
.LBB23_714:
	s_mov_b64 s[12:13], -1
                                        ; implicit-def: $vgpr3
	s_branch .LBB23_719
.LBB23_715:
	s_mov_b64 s[12:13], -1
                                        ; implicit-def: $sgpr16
.LBB23_716:
	s_andn2_b64 vcc, exec, s[12:13]
	v_mov_b32_e32 v3, s16
	s_cbranch_vccnz .LBB23_718
; %bb.717:
	s_mov_b32 s12, 0x43000000
	v_add_f32_e64 v3, |v1|, s12
.LBB23_718:
	s_mov_b64 s[12:13], 0
.LBB23_719:
	s_andn2_b64 vcc, exec, s[12:13]
	s_cbranch_vccnz .LBB23_721
; %bb.720:
	s_cmp_gt_u32 s15, 0x7f800000
	s_movk_i32 s12, 0x7f
	s_cselect_b32 s12, s12, 0x7c
	v_mov_b32_e32 v3, s12
.LBB23_721:
	s_lshr_b32 s12, s14, 24
	s_and_b32 s12, s12, 0x80
	v_or_b32_e32 v1, s12, v3
	global_store_byte v[4:5], v1, off
.LBB23_722:
	s_mov_b64 s[12:13], 0
	s_mov_b64 s[14:15], -1
.LBB23_723:
	s_andn2_b64 vcc, exec, s[12:13]
	s_mov_b64 s[12:13], 0
	s_cbranch_vccnz .LBB23_730
; %bb.724:
	v_cmp_gt_i16_e64 s[12:13], s3, 14
	s_mov_b64 s[16:17], -1
	s_and_b64 vcc, exec, s[12:13]
	s_cbranch_vccz .LBB23_728
; %bb.725:
	v_cmp_eq_u16_e64 s[12:13], s3, 15
	s_mov_b64 s[10:11], -1
	s_and_b64 vcc, exec, s[12:13]
	s_cbranch_vccz .LBB23_727
; %bb.726:
	v_cvt_f32_i32_e32 v1, s2
	s_mov_b64 s[10:11], 0
	s_mov_b64 s[14:15], -1
	v_bfe_u32 v3, v1, 16, 1
	v_add_u32_e32 v1, v1, v3
	v_add_u32_e32 v1, 0x7fff, v1
	global_store_short_d16_hi v[4:5], v1, off
.LBB23_727:
	s_mov_b64 s[16:17], 0
.LBB23_728:
	s_mov_b64 s[12:13], 0
	s_and_b64 vcc, exec, s[16:17]
	s_cbranch_vccz .LBB23_730
; %bb.729:
	v_cmp_ne_u16_e64 s[10:11], s3, 11
	s_mov_b64 s[12:13], -1
.LBB23_730:
	s_and_b64 vcc, exec, s[10:11]
	s_cbranch_vccnz .LBB23_793
; %bb.731:
	s_andn2_b64 vcc, exec, s[12:13]
	s_cbranch_vccnz .LBB23_733
.LBB23_732:
	s_cmp_lg_u32 s2, 0
	s_cselect_b64 s[10:11], -1, 0
	v_cndmask_b32_e64 v1, 0, 1, s[10:11]
	s_mov_b64 s[14:15], -1
	global_store_byte v[4:5], v1, off
.LBB23_733:
	s_branch .LBB23_650
.LBB23_734:
	v_cmp_lt_i16_e64 s[12:13], s3, 5
	s_mov_b64 s[10:11], -1
	s_and_b64 vcc, exec, s[12:13]
	s_cbranch_vccnz .LBB23_755
; %bb.735:
	v_cmp_lt_i16_e64 s[12:13], s3, 8
	s_and_b64 vcc, exec, s[12:13]
	s_cbranch_vccnz .LBB23_745
; %bb.736:
	v_cmp_lt_i16_e64 s[12:13], s3, 9
	s_and_b64 vcc, exec, s[12:13]
	s_cbranch_vccnz .LBB23_742
; %bb.737:
	v_cmp_gt_i16_e64 s[12:13], s3, 9
	s_and_b64 vcc, exec, s[12:13]
	s_cbranch_vccz .LBB23_739
; %bb.738:
	v_mov_b32_e32 v8, 0
	v_cvt_f64_i32_e32 v[6:7], s2
	v_mov_b32_e32 v9, v8
	global_store_dwordx4 v[4:5], v[6:9], off
	s_mov_b64 s[10:11], 0
.LBB23_739:
	s_andn2_b64 vcc, exec, s[10:11]
	s_cbranch_vccnz .LBB23_741
; %bb.740:
	v_cvt_f32_i32_e32 v6, s2
	v_mov_b32_e32 v7, 0
	global_store_dwordx2 v[4:5], v[6:7], off
.LBB23_741:
	s_mov_b64 s[10:11], 0
.LBB23_742:
	s_andn2_b64 vcc, exec, s[10:11]
	s_cbranch_vccnz .LBB23_744
; %bb.743:
	v_cvt_f32_i32_e32 v1, s2
	v_cvt_f16_f32_e32 v1, v1
	global_store_dword v[4:5], v1, off
.LBB23_744:
	s_mov_b64 s[10:11], 0
.LBB23_745:
	s_andn2_b64 vcc, exec, s[10:11]
	s_cbranch_vccnz .LBB23_754
; %bb.746:
	v_cmp_lt_i16_e64 s[12:13], s3, 6
	s_mov_b64 s[10:11], -1
	s_and_b64 vcc, exec, s[12:13]
	s_cbranch_vccnz .LBB23_752
; %bb.747:
	v_cmp_gt_i16_e64 s[12:13], s3, 6
	s_and_b64 vcc, exec, s[12:13]
	s_cbranch_vccz .LBB23_749
; %bb.748:
	v_cvt_f64_i32_e32 v[6:7], s2
	global_store_dwordx2 v[4:5], v[6:7], off
	s_mov_b64 s[10:11], 0
.LBB23_749:
	s_andn2_b64 vcc, exec, s[10:11]
	s_cbranch_vccnz .LBB23_751
; %bb.750:
	v_cvt_f32_i32_e32 v1, s2
	global_store_dword v[4:5], v1, off
.LBB23_751:
	s_mov_b64 s[10:11], 0
.LBB23_752:
	s_andn2_b64 vcc, exec, s[10:11]
	s_cbranch_vccnz .LBB23_754
; %bb.753:
	v_cvt_f32_i32_e32 v1, s2
	v_cvt_f16_f32_e32 v1, v1
	global_store_short v[4:5], v1, off
.LBB23_754:
	s_mov_b64 s[10:11], 0
.LBB23_755:
	s_andn2_b64 vcc, exec, s[10:11]
	s_cbranch_vccnz .LBB23_771
; %bb.756:
	v_cmp_lt_i16_e64 s[12:13], s3, 2
	s_mov_b64 s[10:11], -1
	s_and_b64 vcc, exec, s[12:13]
	s_cbranch_vccnz .LBB23_766
; %bb.757:
	v_cmp_lt_i16_e64 s[12:13], s3, 3
	s_and_b64 vcc, exec, s[12:13]
	s_cbranch_vccnz .LBB23_763
; %bb.758:
	v_cmp_gt_i16_e64 s[12:13], s3, 3
	s_and_b64 vcc, exec, s[12:13]
	s_cbranch_vccz .LBB23_760
; %bb.759:
	s_ashr_i32 s10, s2, 31
	v_mov_b32_e32 v6, s2
	v_mov_b32_e32 v7, s10
	global_store_dwordx2 v[4:5], v[6:7], off
	s_mov_b64 s[10:11], 0
.LBB23_760:
	s_andn2_b64 vcc, exec, s[10:11]
	s_cbranch_vccnz .LBB23_762
; %bb.761:
	v_mov_b32_e32 v1, s2
	global_store_dword v[4:5], v1, off
.LBB23_762:
	s_mov_b64 s[10:11], 0
.LBB23_763:
	s_andn2_b64 vcc, exec, s[10:11]
	s_cbranch_vccnz .LBB23_765
; %bb.764:
	v_mov_b32_e32 v1, s2
	global_store_short v[4:5], v1, off
.LBB23_765:
	s_mov_b64 s[10:11], 0
.LBB23_766:
	s_andn2_b64 vcc, exec, s[10:11]
	s_cbranch_vccnz .LBB23_771
; %bb.767:
	v_cmp_gt_i16_e64 s[12:13], s3, 0
	s_mov_b64 s[10:11], -1
	s_and_b64 vcc, exec, s[12:13]
	s_cbranch_vccz .LBB23_769
; %bb.768:
	v_mov_b32_e32 v1, s2
	global_store_byte v[4:5], v1, off
	s_mov_b64 s[10:11], 0
.LBB23_769:
	s_andn2_b64 vcc, exec, s[10:11]
	s_cbranch_vccnz .LBB23_771
; %bb.770:
	v_mov_b32_e32 v1, s2
	global_store_byte v[4:5], v1, off
.LBB23_771:
.LBB23_772:
	v_mov_b32_e32 v1, s1
	v_add_co_u32_e32 v2, vcc, s0, v2
	v_addc_co_u32_e32 v3, vcc, 0, v1, vcc
	s_and_b64 vcc, exec, s[8:9]
	s_cbranch_vccnz .LBB23_779
; %bb.773:
	v_cmp_gt_i16_e64 s[10:11], s3, 25
	s_mov_b64 s[16:17], -1
	s_mov_b64 s[12:13], 0
	s_and_b64 vcc, exec, s[10:11]
	s_mov_b64 s[14:15], 0
	s_mov_b64 s[10:11], 0
	s_cbranch_vccz .LBB23_847
; %bb.774:
	v_cmp_gt_i16_e64 s[10:11], s3, 28
	s_and_b64 vcc, exec, s[10:11]
	s_cbranch_vccz .LBB23_790
; %bb.775:
	v_cmp_gt_i16_e64 s[10:11], s3, 43
	s_and_b64 vcc, exec, s[10:11]
	;; [unrolled: 4-line block ×3, first 2 shown]
	s_cbranch_vccz .LBB23_794
; %bb.777:
	v_cmp_eq_u16_e64 s[14:15], s3, 46
	s_mov_b64 s[10:11], -1
	s_mov_b64 s[16:17], 0
	s_and_b64 vcc, exec, s[14:15]
	s_mov_b64 s[14:15], 0
	s_cbranch_vccz .LBB23_795
; %bb.778:
	v_cvt_f32_i32_e32 v1, s2
	s_mov_b64 s[10:11], 0
	s_mov_b64 s[14:15], -1
	v_bfe_u32 v4, v1, 16, 1
	v_add_u32_e32 v1, v1, v4
	v_add_u32_e32 v1, 0x7fff, v1
	v_lshrrev_b32_e32 v1, 16, v1
	global_store_dword v[2:3], v1, off
	s_branch .LBB23_795
.LBB23_779:
	s_mov_b64 s[14:15], 0
	s_cbranch_execnz .LBB23_911
.LBB23_780:
	s_andn2_b64 vcc, exec, s[14:15]
	s_cbranch_vccnz .LBB23_949
.LBB23_781:
	v_mov_b32_e32 v1, s1
	v_add_co_u32_e32 v0, vcc, s0, v0
	v_addc_co_u32_e32 v1, vcc, 0, v1, vcc
	s_and_b64 vcc, exec, s[8:9]
	s_cbranch_vccnz .LBB23_789
; %bb.782:
	v_cmp_gt_i16_e64 s[0:1], s3, 25
	s_mov_b64 s[10:11], -1
	s_mov_b64 s[8:9], 0
	s_and_b64 vcc, exec, s[0:1]
	s_mov_b64 s[0:1], 0
	s_cbranch_vccz .LBB23_861
; %bb.783:
	v_cmp_gt_i16_e64 s[0:1], s3, 28
	s_and_b64 vcc, exec, s[0:1]
	s_cbranch_vccz .LBB23_792
; %bb.784:
	v_cmp_gt_i16_e64 s[0:1], s3, 43
	s_and_b64 vcc, exec, s[0:1]
	s_cbranch_vccz .LBB23_816
; %bb.785:
	v_cmp_gt_i16_e64 s[0:1], s3, 45
	s_and_b64 vcc, exec, s[0:1]
	s_cbranch_vccz .LBB23_817
; %bb.786:
	v_cmp_eq_u16_e64 s[10:11], s3, 46
	s_mov_b64 s[0:1], -1
	s_and_b64 vcc, exec, s[10:11]
	s_cbranch_vccz .LBB23_788
; %bb.787:
	v_cvt_f32_i32_e32 v2, s2
	s_mov_b64 s[0:1], 0
	v_bfe_u32 v3, v2, 16, 1
	v_add_u32_e32 v2, v2, v3
	v_add_u32_e32 v2, 0x7fff, v2
	v_lshrrev_b32_e32 v2, 16, v2
	global_store_dword v[0:1], v2, off
.LBB23_788:
	s_mov_b64 s[10:11], 0
	s_branch .LBB23_818
.LBB23_789:
	s_mov_b64 s[8:9], 0
	s_mov_b64 s[0:1], -1
	s_branch .LBB23_950
.LBB23_790:
	s_mov_b64 s[10:11], 0
	s_branch .LBB23_805
.LBB23_791:
	s_mov_b64 s[10:11], 0
	s_branch .LBB23_801
.LBB23_792:
	s_mov_b64 s[0:1], 0
	s_branch .LBB23_828
.LBB23_793:
	s_trap 2
	s_or_b64 s[4:5], s[4:5], exec
	s_cbranch_execz .LBB23_732
	s_branch .LBB23_733
.LBB23_794:
	s_mov_b64 s[10:11], 0
.LBB23_795:
	s_and_b64 vcc, exec, s[16:17]
	s_cbranch_vccz .LBB23_800
; %bb.796:
	v_cmp_eq_u16_e64 s[16:17], s3, 44
	s_mov_b64 s[10:11], -1
	s_and_b64 vcc, exec, s[16:17]
	s_cbranch_vccz .LBB23_800
; %bb.797:
	v_cvt_f32_i32_e32 v1, s2
	v_mov_b32_e32 v4, 0xff
	v_readfirstlane_b32 s10, v1
	s_bfe_u32 s11, s10, 0x80017
	s_cmpk_eq_i32 s11, 0xff
	s_cbranch_scc1 .LBB23_799
; %bb.798:
	s_bitcmp1_b32 s10, 22
	s_cselect_b64 s[14:15], -1, 0
	s_and_b32 s10, s10, 0x3fffff
	s_or_b32 s10, s11, s10
	s_cmp_lg_u32 s10, 0
	s_cselect_b64 s[10:11], -1, 0
	s_and_b64 s[10:11], s[14:15], s[10:11]
	v_lshrrev_b32_e32 v1, 23, v1
	v_cndmask_b32_e64 v4, 0, 1, s[10:11]
	v_add_u32_e32 v4, v1, v4
.LBB23_799:
	s_mov_b64 s[10:11], 0
	s_mov_b64 s[14:15], -1
	global_store_byte v[2:3], v4, off
.LBB23_800:
	s_mov_b64 s[16:17], 0
.LBB23_801:
	s_and_b64 vcc, exec, s[16:17]
	s_cbranch_vccz .LBB23_804
; %bb.802:
	v_cmp_eq_u16_e64 s[16:17], s3, 29
	s_mov_b64 s[10:11], -1
	s_and_b64 vcc, exec, s[16:17]
	s_cbranch_vccz .LBB23_804
; %bb.803:
	s_ashr_i32 s10, s2, 31
	v_mov_b32_e32 v4, s2
	v_mov_b32_e32 v5, s10
	global_store_dwordx2 v[2:3], v[4:5], off
	s_mov_b64 s[10:11], 0
	s_mov_b64 s[14:15], -1
.LBB23_804:
	s_mov_b64 s[16:17], 0
.LBB23_805:
	s_and_b64 vcc, exec, s[16:17]
	s_cbranch_vccz .LBB23_846
; %bb.806:
	v_cmp_lt_i16_e64 s[16:17], s3, 27
	s_mov_b64 s[14:15], -1
	s_and_b64 vcc, exec, s[16:17]
	s_cbranch_vccnz .LBB23_812
; %bb.807:
	v_cmp_gt_i16_e64 s[16:17], s3, 27
	s_and_b64 vcc, exec, s[16:17]
	s_cbranch_vccz .LBB23_809
; %bb.808:
	v_mov_b32_e32 v1, s2
	s_mov_b64 s[14:15], 0
	global_store_dword v[2:3], v1, off
.LBB23_809:
	s_andn2_b64 vcc, exec, s[14:15]
	s_cbranch_vccnz .LBB23_811
; %bb.810:
	v_mov_b32_e32 v1, s2
	global_store_short v[2:3], v1, off
.LBB23_811:
	s_mov_b64 s[14:15], 0
.LBB23_812:
	s_andn2_b64 vcc, exec, s[14:15]
	s_cbranch_vccnz .LBB23_845
; %bb.813:
	v_cvt_f32_i32_e32 v1, s2
	v_mov_b32_e32 v4, 0x80
	v_readfirstlane_b32 s18, v1
	s_and_b32 s14, s18, 0x7fffffff
	s_cmp_gt_u32 s14, 0x437fffff
	s_cbranch_scc1 .LBB23_844
; %bb.814:
	s_cmp_gt_u32 s14, 0x3bffffff
	s_cbranch_scc0 .LBB23_839
; %bb.815:
	s_bfe_u32 s14, s18, 0x10014
	s_add_i32 s14, s18, s14
	s_add_i32 s14, s14, 0x487ffff
	s_lshr_b32 s19, s14, 20
	s_mov_b64 s[16:17], 0
	s_mov_b64 s[14:15], -1
	s_branch .LBB23_840
.LBB23_816:
	s_mov_b64 s[0:1], 0
	s_branch .LBB23_824
.LBB23_817:
	s_mov_b64 s[0:1], 0
.LBB23_818:
	s_and_b64 vcc, exec, s[10:11]
	s_cbranch_vccz .LBB23_823
; %bb.819:
	v_cmp_eq_u16_e64 s[10:11], s3, 44
	s_mov_b64 s[0:1], -1
	s_and_b64 vcc, exec, s[10:11]
	s_cbranch_vccz .LBB23_823
; %bb.820:
	v_cvt_f32_i32_e32 v2, s2
	v_mov_b32_e32 v3, 0xff
	v_readfirstlane_b32 s0, v2
	s_bfe_u32 s1, s0, 0x80017
	s_cmpk_eq_i32 s1, 0xff
	s_cbranch_scc1 .LBB23_822
; %bb.821:
	s_bitcmp1_b32 s0, 22
	s_cselect_b64 s[10:11], -1, 0
	s_and_b32 s0, s0, 0x3fffff
	s_or_b32 s0, s1, s0
	s_cmp_lg_u32 s0, 0
	s_cselect_b64 s[0:1], -1, 0
	s_and_b64 s[0:1], s[10:11], s[0:1]
	v_lshrrev_b32_e32 v2, 23, v2
	v_cndmask_b32_e64 v3, 0, 1, s[0:1]
	v_add_u32_e32 v3, v2, v3
.LBB23_822:
	s_mov_b64 s[0:1], 0
	global_store_byte v[0:1], v3, off
.LBB23_823:
	s_mov_b64 s[10:11], 0
.LBB23_824:
	s_and_b64 vcc, exec, s[10:11]
	s_cbranch_vccz .LBB23_827
; %bb.825:
	v_cmp_eq_u16_e64 s[10:11], s3, 29
	s_mov_b64 s[0:1], -1
	s_and_b64 vcc, exec, s[10:11]
	s_cbranch_vccz .LBB23_827
; %bb.826:
	s_ashr_i32 s0, s2, 31
	v_mov_b32_e32 v2, s2
	v_mov_b32_e32 v3, s0
	global_store_dwordx2 v[0:1], v[2:3], off
	s_mov_b64 s[0:1], 0
.LBB23_827:
	s_mov_b64 s[10:11], 0
.LBB23_828:
	s_and_b64 vcc, exec, s[10:11]
	s_cbranch_vccz .LBB23_860
; %bb.829:
	v_cmp_lt_i16_e64 s[12:13], s3, 27
	s_mov_b64 s[10:11], -1
	s_and_b64 vcc, exec, s[12:13]
	s_cbranch_vccnz .LBB23_835
; %bb.830:
	v_cmp_gt_i16_e64 s[12:13], s3, 27
	s_and_b64 vcc, exec, s[12:13]
	s_cbranch_vccz .LBB23_832
; %bb.831:
	v_mov_b32_e32 v2, s2
	global_store_dword v[0:1], v2, off
	s_mov_b64 s[10:11], 0
.LBB23_832:
	s_andn2_b64 vcc, exec, s[10:11]
	s_cbranch_vccnz .LBB23_834
; %bb.833:
	v_mov_b32_e32 v2, s2
	global_store_short v[0:1], v2, off
.LBB23_834:
	s_mov_b64 s[10:11], 0
.LBB23_835:
	s_andn2_b64 vcc, exec, s[10:11]
	s_cbranch_vccnz .LBB23_860
; %bb.836:
	v_cvt_f32_i32_e32 v2, s2
	v_mov_b32_e32 v3, 0x80
	v_readfirstlane_b32 s14, v2
	s_and_b32 s10, s14, 0x7fffffff
	s_cmp_gt_u32 s10, 0x437fffff
	s_cbranch_scc1 .LBB23_859
; %bb.837:
	s_cmp_gt_u32 s10, 0x3bffffff
	s_cbranch_scc0 .LBB23_854
; %bb.838:
	s_bfe_u32 s10, s14, 0x10014
	s_add_i32 s10, s14, s10
	s_add_i32 s10, s10, 0x487ffff
	s_lshr_b32 s15, s10, 20
	s_mov_b64 s[12:13], 0
	s_mov_b64 s[10:11], -1
	s_branch .LBB23_855
.LBB23_839:
	s_mov_b64 s[16:17], -1
	s_mov_b64 s[14:15], 0
                                        ; implicit-def: $sgpr19
.LBB23_840:
	s_andn2_b64 vcc, exec, s[16:17]
	v_mov_b32_e32 v1, s19
                                        ; implicit-def: $sgpr16
	s_cbranch_vccnz .LBB23_842
; %bb.841:
	v_mov_b32_e32 v1, 0x46000000
	v_add_f32_e64 v1, |s18|, v1
	v_and_b32_e32 v1, 0xff, v1
	s_mov_b32 s16, 0
	v_cmp_ne_u32_e64 s[14:15], 0, v1
.LBB23_842:
	s_andn2_b64 vcc, exec, s[14:15]
	v_mov_b32_e32 v4, s16
	s_cbranch_vccnz .LBB23_844
; %bb.843:
	s_lshr_b32 s14, s18, 24
	s_and_b32 s14, s14, 0x80
	v_or_b32_e32 v4, s14, v1
.LBB23_844:
	global_store_byte v[2:3], v4, off
.LBB23_845:
	s_mov_b64 s[14:15], -1
.LBB23_846:
	s_mov_b64 s[16:17], 0
.LBB23_847:
	s_and_b64 vcc, exec, s[16:17]
	s_cbranch_vccz .LBB23_907
; %bb.848:
	v_cmp_gt_i16_e64 s[16:17], s3, 22
	s_mov_b64 s[12:13], -1
	s_and_b64 vcc, exec, s[16:17]
	s_cbranch_vccz .LBB23_900
; %bb.849:
	v_cmp_lt_i16_e64 s[14:15], s3, 24
	s_and_b64 vcc, exec, s[14:15]
	s_cbranch_vccnz .LBB23_887
; %bb.850:
	v_cmp_gt_i16_e64 s[14:15], s3, 24
	s_and_b64 vcc, exec, s[14:15]
	s_cbranch_vccz .LBB23_874
; %bb.851:
	v_cvt_f32_i32_e32 v1, s2
	v_mov_b32_e32 v4, 0x80
	v_readfirstlane_b32 s16, v1
	s_and_b32 s12, s16, 0x7fffffff
	s_cmp_gt_u32 s12, 0x477fffff
	s_cbranch_scc1 .LBB23_873
; %bb.852:
	s_cmp_gt_u32 s12, 0x37ffffff
	s_cbranch_scc0 .LBB23_868
; %bb.853:
	s_bfe_u32 s12, s16, 0x10015
	s_add_i32 s12, s16, s12
	s_add_i32 s12, s12, 0x88fffff
	s_lshr_b32 s17, s12, 21
	s_mov_b64 s[14:15], 0
	s_mov_b64 s[12:13], -1
	s_branch .LBB23_869
.LBB23_854:
	s_mov_b64 s[12:13], -1
	s_mov_b64 s[10:11], 0
                                        ; implicit-def: $sgpr15
.LBB23_855:
	s_andn2_b64 vcc, exec, s[12:13]
	v_mov_b32_e32 v2, s15
                                        ; implicit-def: $sgpr12
	s_cbranch_vccnz .LBB23_857
; %bb.856:
	v_mov_b32_e32 v2, 0x46000000
	v_add_f32_e64 v2, |s14|, v2
	v_and_b32_e32 v2, 0xff, v2
	s_mov_b32 s12, 0
	v_cmp_ne_u32_e64 s[10:11], 0, v2
.LBB23_857:
	s_andn2_b64 vcc, exec, s[10:11]
	v_mov_b32_e32 v3, s12
	s_cbranch_vccnz .LBB23_859
; %bb.858:
	s_lshr_b32 s10, s14, 24
	s_and_b32 s10, s10, 0x80
	v_or_b32_e32 v3, s10, v2
.LBB23_859:
	global_store_byte v[0:1], v3, off
.LBB23_860:
	s_mov_b64 s[10:11], 0
.LBB23_861:
	s_and_b64 vcc, exec, s[10:11]
	s_cbranch_vccz .LBB23_1034
; %bb.862:
	v_cmp_gt_i16_e64 s[10:11], s3, 22
	s_mov_b64 s[8:9], -1
	s_and_b64 vcc, exec, s[10:11]
	s_cbranch_vccz .LBB23_1027
; %bb.863:
	v_cmp_lt_i16_e64 s[10:11], s3, 24
	s_and_b64 vcc, exec, s[10:11]
	s_cbranch_vccnz .LBB23_1014
; %bb.864:
	v_cmp_gt_i16_e64 s[10:11], s3, 24
	s_and_b64 vcc, exec, s[10:11]
	s_cbranch_vccz .LBB23_1001
; %bb.865:
	v_cvt_f32_i32_e32 v2, s2
	v_mov_b32_e32 v3, 0x80
	v_readfirstlane_b32 s12, v2
	s_and_b32 s8, s12, 0x7fffffff
	s_cmp_gt_u32 s8, 0x477fffff
	s_cbranch_scc1 .LBB23_1000
; %bb.866:
	s_cmp_gt_u32 s8, 0x37ffffff
	s_cbranch_scc0 .LBB23_995
; %bb.867:
	s_bfe_u32 s8, s12, 0x10015
	s_add_i32 s8, s12, s8
	s_add_i32 s8, s8, 0x88fffff
	s_lshr_b32 s13, s8, 21
	s_mov_b64 s[10:11], 0
	s_mov_b64 s[8:9], -1
	s_branch .LBB23_996
.LBB23_868:
	s_mov_b64 s[14:15], -1
	s_mov_b64 s[12:13], 0
                                        ; implicit-def: $sgpr17
.LBB23_869:
	s_andn2_b64 vcc, exec, s[14:15]
	v_mov_b32_e32 v1, s17
                                        ; implicit-def: $sgpr14
	s_cbranch_vccnz .LBB23_871
; %bb.870:
	v_mov_b32_e32 v1, 0x42800000
	v_add_f32_e64 v1, |s16|, v1
	v_and_b32_e32 v1, 0xff, v1
	s_mov_b32 s14, 0
	v_cmp_ne_u32_e64 s[12:13], 0, v1
.LBB23_871:
	s_andn2_b64 vcc, exec, s[12:13]
	v_mov_b32_e32 v4, s14
	s_cbranch_vccnz .LBB23_873
; %bb.872:
	s_lshr_b32 s12, s16, 24
	s_and_b32 s12, s12, 0x80
	v_or_b32_e32 v4, s12, v1
.LBB23_873:
	s_mov_b64 s[12:13], 0
	global_store_byte v[2:3], v4, off
.LBB23_874:
	s_and_b64 vcc, exec, s[12:13]
	s_cbranch_vccz .LBB23_886
; %bb.875:
	v_cvt_f32_i32_e32 v1, s2
	v_readfirstlane_b32 s14, v1
	s_and_b32 s15, s14, 0x7fffffff
	s_cmp_lt_u32 s15, 0x43f00000
	s_cbranch_scc0 .LBB23_878
; %bb.876:
	s_cmp_gt_u32 s15, 0x3c7fffff
	s_cbranch_scc0 .LBB23_879
; %bb.877:
	s_bfe_u32 s12, s14, 0x10014
	s_add_i32 s12, s14, s12
	s_add_i32 s12, s12, 0x407ffff
	s_lshr_b32 s13, s12, 20
	s_and_b32 s12, s12, 0xff00000
	s_cmp_lg_u32 s12, 0x7f00000
	s_cselect_b32 s16, s13, 0x7e
	s_mov_b64 s[12:13], 0
	s_branch .LBB23_880
.LBB23_878:
	s_mov_b64 s[12:13], -1
                                        ; implicit-def: $vgpr4
	s_branch .LBB23_883
.LBB23_879:
	s_mov_b64 s[12:13], -1
                                        ; implicit-def: $sgpr16
.LBB23_880:
	s_andn2_b64 vcc, exec, s[12:13]
	v_mov_b32_e32 v4, s16
	s_cbranch_vccnz .LBB23_882
; %bb.881:
	s_mov_b32 s12, 0x46800000
	v_add_f32_e64 v4, |v1|, s12
.LBB23_882:
	s_mov_b64 s[12:13], 0
.LBB23_883:
	s_andn2_b64 vcc, exec, s[12:13]
	s_cbranch_vccnz .LBB23_885
; %bb.884:
	s_cmp_gt_u32 s15, 0x7f800000
	s_movk_i32 s12, 0x7f
	s_cselect_b32 s12, s12, 0x7e
	v_mov_b32_e32 v4, s12
.LBB23_885:
	s_lshr_b32 s12, s14, 24
	s_and_b32 s12, s12, 0x80
	v_or_b32_e32 v1, s12, v4
	global_store_byte v[2:3], v1, off
.LBB23_886:
	s_mov_b64 s[12:13], 0
.LBB23_887:
	s_andn2_b64 vcc, exec, s[12:13]
	s_cbranch_vccnz .LBB23_899
; %bb.888:
	v_cvt_f32_i32_e32 v1, s2
	v_readfirstlane_b32 s14, v1
	s_and_b32 s15, s14, 0x7fffffff
	s_cmp_lt_u32 s15, 0x47800000
	s_cbranch_scc0 .LBB23_891
; %bb.889:
	s_cmp_gt_u32 s15, 0x387fffff
	s_cbranch_scc0 .LBB23_892
; %bb.890:
	s_bfe_u32 s12, s14, 0x10015
	s_add_i32 s12, s14, s12
	s_add_i32 s12, s12, 0x80fffff
	s_lshr_b32 s16, s12, 21
	s_mov_b64 s[12:13], 0
	s_branch .LBB23_893
.LBB23_891:
	s_mov_b64 s[12:13], -1
                                        ; implicit-def: $vgpr4
	s_branch .LBB23_896
.LBB23_892:
	s_mov_b64 s[12:13], -1
                                        ; implicit-def: $sgpr16
.LBB23_893:
	s_andn2_b64 vcc, exec, s[12:13]
	v_mov_b32_e32 v4, s16
	s_cbranch_vccnz .LBB23_895
; %bb.894:
	s_mov_b32 s12, 0x43000000
	v_add_f32_e64 v4, |v1|, s12
.LBB23_895:
	s_mov_b64 s[12:13], 0
.LBB23_896:
	s_andn2_b64 vcc, exec, s[12:13]
	s_cbranch_vccnz .LBB23_898
; %bb.897:
	s_cmp_gt_u32 s15, 0x7f800000
	s_movk_i32 s12, 0x7f
	s_cselect_b32 s12, s12, 0x7c
	v_mov_b32_e32 v4, s12
.LBB23_898:
	s_lshr_b32 s12, s14, 24
	s_and_b32 s12, s12, 0x80
	v_or_b32_e32 v1, s12, v4
	global_store_byte v[2:3], v1, off
.LBB23_899:
	s_mov_b64 s[12:13], 0
	s_mov_b64 s[14:15], -1
.LBB23_900:
	s_andn2_b64 vcc, exec, s[12:13]
	s_mov_b64 s[12:13], 0
	s_cbranch_vccnz .LBB23_907
; %bb.901:
	v_cmp_gt_i16_e64 s[12:13], s3, 14
	s_mov_b64 s[16:17], -1
	s_and_b64 vcc, exec, s[12:13]
	s_cbranch_vccz .LBB23_905
; %bb.902:
	v_cmp_eq_u16_e64 s[12:13], s3, 15
	s_mov_b64 s[10:11], -1
	s_and_b64 vcc, exec, s[12:13]
	s_cbranch_vccz .LBB23_904
; %bb.903:
	v_cvt_f32_i32_e32 v1, s2
	s_mov_b64 s[10:11], 0
	s_mov_b64 s[14:15], -1
	v_bfe_u32 v4, v1, 16, 1
	v_add_u32_e32 v1, v1, v4
	v_add_u32_e32 v1, 0x7fff, v1
	global_store_short_d16_hi v[2:3], v1, off
.LBB23_904:
	s_mov_b64 s[16:17], 0
.LBB23_905:
	s_mov_b64 s[12:13], 0
	s_and_b64 vcc, exec, s[16:17]
	s_cbranch_vccz .LBB23_907
; %bb.906:
	v_cmp_ne_u16_e64 s[10:11], s3, 11
	s_mov_b64 s[12:13], -1
.LBB23_907:
	s_and_b64 vcc, exec, s[10:11]
	s_cbranch_vccnz .LBB23_994
; %bb.908:
	s_andn2_b64 vcc, exec, s[12:13]
	s_cbranch_vccnz .LBB23_910
.LBB23_909:
	s_cmp_lg_u32 s2, 0
	s_cselect_b64 s[10:11], -1, 0
	v_cndmask_b32_e64 v1, 0, 1, s[10:11]
	s_mov_b64 s[14:15], -1
	global_store_byte v[2:3], v1, off
.LBB23_910:
	s_branch .LBB23_780
.LBB23_911:
	v_cmp_lt_i16_e64 s[12:13], s3, 5
	s_mov_b64 s[10:11], -1
	s_and_b64 vcc, exec, s[12:13]
	s_cbranch_vccnz .LBB23_932
; %bb.912:
	v_cmp_lt_i16_e64 s[12:13], s3, 8
	s_and_b64 vcc, exec, s[12:13]
	s_cbranch_vccnz .LBB23_922
; %bb.913:
	v_cmp_lt_i16_e64 s[12:13], s3, 9
	s_and_b64 vcc, exec, s[12:13]
	s_cbranch_vccnz .LBB23_919
; %bb.914:
	v_cmp_gt_i16_e64 s[12:13], s3, 9
	s_and_b64 vcc, exec, s[12:13]
	s_cbranch_vccz .LBB23_916
; %bb.915:
	v_mov_b32_e32 v6, 0
	v_cvt_f64_i32_e32 v[4:5], s2
	v_mov_b32_e32 v7, v6
	global_store_dwordx4 v[2:3], v[4:7], off
	s_mov_b64 s[10:11], 0
.LBB23_916:
	s_andn2_b64 vcc, exec, s[10:11]
	s_cbranch_vccnz .LBB23_918
; %bb.917:
	v_cvt_f32_i32_e32 v4, s2
	v_mov_b32_e32 v5, 0
	global_store_dwordx2 v[2:3], v[4:5], off
.LBB23_918:
	s_mov_b64 s[10:11], 0
.LBB23_919:
	s_andn2_b64 vcc, exec, s[10:11]
	s_cbranch_vccnz .LBB23_921
; %bb.920:
	v_cvt_f32_i32_e32 v1, s2
	v_cvt_f16_f32_e32 v1, v1
	global_store_dword v[2:3], v1, off
.LBB23_921:
	s_mov_b64 s[10:11], 0
.LBB23_922:
	s_andn2_b64 vcc, exec, s[10:11]
	s_cbranch_vccnz .LBB23_931
; %bb.923:
	v_cmp_lt_i16_e64 s[12:13], s3, 6
	s_mov_b64 s[10:11], -1
	s_and_b64 vcc, exec, s[12:13]
	s_cbranch_vccnz .LBB23_929
; %bb.924:
	v_cmp_gt_i16_e64 s[12:13], s3, 6
	s_and_b64 vcc, exec, s[12:13]
	s_cbranch_vccz .LBB23_926
; %bb.925:
	v_cvt_f64_i32_e32 v[4:5], s2
	global_store_dwordx2 v[2:3], v[4:5], off
	s_mov_b64 s[10:11], 0
.LBB23_926:
	s_andn2_b64 vcc, exec, s[10:11]
	s_cbranch_vccnz .LBB23_928
; %bb.927:
	v_cvt_f32_i32_e32 v1, s2
	global_store_dword v[2:3], v1, off
.LBB23_928:
	s_mov_b64 s[10:11], 0
.LBB23_929:
	s_andn2_b64 vcc, exec, s[10:11]
	s_cbranch_vccnz .LBB23_931
; %bb.930:
	v_cvt_f32_i32_e32 v1, s2
	v_cvt_f16_f32_e32 v1, v1
	global_store_short v[2:3], v1, off
.LBB23_931:
	s_mov_b64 s[10:11], 0
.LBB23_932:
	s_andn2_b64 vcc, exec, s[10:11]
	s_cbranch_vccnz .LBB23_948
; %bb.933:
	v_cmp_lt_i16_e64 s[12:13], s3, 2
	s_mov_b64 s[10:11], -1
	s_and_b64 vcc, exec, s[12:13]
	s_cbranch_vccnz .LBB23_943
; %bb.934:
	v_cmp_lt_i16_e64 s[12:13], s3, 3
	s_and_b64 vcc, exec, s[12:13]
	s_cbranch_vccnz .LBB23_940
; %bb.935:
	v_cmp_gt_i16_e64 s[12:13], s3, 3
	s_and_b64 vcc, exec, s[12:13]
	s_cbranch_vccz .LBB23_937
; %bb.936:
	s_ashr_i32 s10, s2, 31
	v_mov_b32_e32 v4, s2
	v_mov_b32_e32 v5, s10
	global_store_dwordx2 v[2:3], v[4:5], off
	s_mov_b64 s[10:11], 0
.LBB23_937:
	s_andn2_b64 vcc, exec, s[10:11]
	s_cbranch_vccnz .LBB23_939
; %bb.938:
	v_mov_b32_e32 v1, s2
	global_store_dword v[2:3], v1, off
.LBB23_939:
	s_mov_b64 s[10:11], 0
.LBB23_940:
	s_andn2_b64 vcc, exec, s[10:11]
	s_cbranch_vccnz .LBB23_942
; %bb.941:
	v_mov_b32_e32 v1, s2
	global_store_short v[2:3], v1, off
.LBB23_942:
	s_mov_b64 s[10:11], 0
.LBB23_943:
	s_andn2_b64 vcc, exec, s[10:11]
	s_cbranch_vccnz .LBB23_948
; %bb.944:
	v_cmp_gt_i16_e64 s[12:13], s3, 0
	s_mov_b64 s[10:11], -1
	s_and_b64 vcc, exec, s[12:13]
	s_cbranch_vccz .LBB23_946
; %bb.945:
	v_mov_b32_e32 v1, s2
	global_store_byte v[2:3], v1, off
	s_mov_b64 s[10:11], 0
.LBB23_946:
	s_andn2_b64 vcc, exec, s[10:11]
	s_cbranch_vccnz .LBB23_948
; %bb.947:
	v_mov_b32_e32 v1, s2
	global_store_byte v[2:3], v1, off
.LBB23_948:
	s_branch .LBB23_781
.LBB23_949:
	s_mov_b64 s[0:1], 0
	s_mov_b64 s[8:9], 0
                                        ; implicit-def: $sgpr3
                                        ; implicit-def: $vgpr0_vgpr1
.LBB23_950:
	s_andn2_b64 s[6:7], s[6:7], exec
	s_and_b64 s[4:5], s[4:5], exec
	s_and_b64 s[0:1], s[0:1], exec
	;; [unrolled: 1-line block ×3, first 2 shown]
	s_or_b64 s[6:7], s[6:7], s[4:5]
.LBB23_951:
	s_or_b64 exec, exec, s[24:25]
	s_and_saveexec_b64 s[4:5], s[6:7]
	s_cbranch_execz .LBB23_954
; %bb.952:
	; divergent unreachable
	s_or_b64 exec, exec, s[4:5]
	s_and_saveexec_b64 s[4:5], s[34:35]
	s_xor_b64 s[4:5], exec, s[4:5]
	s_cbranch_execnz .LBB23_955
.LBB23_953:
	s_or_b64 exec, exec, s[4:5]
	s_and_saveexec_b64 s[4:5], s[0:1]
	s_cbranch_execnz .LBB23_956
	s_branch .LBB23_993
.LBB23_954:
	s_or_b64 exec, exec, s[4:5]
	s_and_saveexec_b64 s[4:5], s[34:35]
	s_xor_b64 s[4:5], exec, s[4:5]
	s_cbranch_execz .LBB23_953
.LBB23_955:
	s_cmp_lg_u32 s2, 0
	s_cselect_b64 s[6:7], -1, 0
	v_cndmask_b32_e64 v2, 0, 1, s[6:7]
	global_store_byte v[0:1], v2, off
	s_or_b64 exec, exec, s[4:5]
	s_and_saveexec_b64 s[4:5], s[0:1]
	s_cbranch_execz .LBB23_993
.LBB23_956:
	v_cmp_lt_i16_e64 s[4:5], s3, 5
	s_mov_b64 s[0:1], -1
	s_and_b64 vcc, exec, s[4:5]
	s_cbranch_vccnz .LBB23_977
; %bb.957:
	v_cmp_lt_i16_e64 s[4:5], s3, 8
	s_and_b64 vcc, exec, s[4:5]
	s_cbranch_vccnz .LBB23_967
; %bb.958:
	v_cmp_lt_i16_e64 s[4:5], s3, 9
	s_and_b64 vcc, exec, s[4:5]
	s_cbranch_vccnz .LBB23_964
; %bb.959:
	v_cmp_gt_i16_e64 s[4:5], s3, 9
	s_and_b64 vcc, exec, s[4:5]
	s_cbranch_vccz .LBB23_961
; %bb.960:
	v_mov_b32_e32 v4, 0
	v_cvt_f64_i32_e32 v[2:3], s2
	v_mov_b32_e32 v5, v4
	global_store_dwordx4 v[0:1], v[2:5], off
	s_mov_b64 s[0:1], 0
.LBB23_961:
	s_andn2_b64 vcc, exec, s[0:1]
	s_cbranch_vccnz .LBB23_963
; %bb.962:
	v_cvt_f32_i32_e32 v2, s2
	v_mov_b32_e32 v3, 0
	global_store_dwordx2 v[0:1], v[2:3], off
.LBB23_963:
	s_mov_b64 s[0:1], 0
.LBB23_964:
	s_andn2_b64 vcc, exec, s[0:1]
	s_cbranch_vccnz .LBB23_966
; %bb.965:
	v_cvt_f32_i32_e32 v2, s2
	v_cvt_f16_f32_e32 v2, v2
	global_store_dword v[0:1], v2, off
.LBB23_966:
	s_mov_b64 s[0:1], 0
.LBB23_967:
	s_andn2_b64 vcc, exec, s[0:1]
	s_cbranch_vccnz .LBB23_976
; %bb.968:
	v_cmp_lt_i16_e64 s[4:5], s3, 6
	s_mov_b64 s[0:1], -1
	s_and_b64 vcc, exec, s[4:5]
	s_cbranch_vccnz .LBB23_974
; %bb.969:
	v_cmp_gt_i16_e64 s[4:5], s3, 6
	s_and_b64 vcc, exec, s[4:5]
	s_cbranch_vccz .LBB23_971
; %bb.970:
	v_cvt_f64_i32_e32 v[2:3], s2
	global_store_dwordx2 v[0:1], v[2:3], off
	s_mov_b64 s[0:1], 0
.LBB23_971:
	s_andn2_b64 vcc, exec, s[0:1]
	s_cbranch_vccnz .LBB23_973
; %bb.972:
	v_cvt_f32_i32_e32 v2, s2
	global_store_dword v[0:1], v2, off
.LBB23_973:
	s_mov_b64 s[0:1], 0
.LBB23_974:
	s_andn2_b64 vcc, exec, s[0:1]
	s_cbranch_vccnz .LBB23_976
; %bb.975:
	v_cvt_f32_i32_e32 v2, s2
	v_cvt_f16_f32_e32 v2, v2
	global_store_short v[0:1], v2, off
.LBB23_976:
	s_mov_b64 s[0:1], 0
.LBB23_977:
	s_andn2_b64 vcc, exec, s[0:1]
	s_cbranch_vccnz .LBB23_993
; %bb.978:
	v_cmp_lt_i16_e64 s[4:5], s3, 2
	s_mov_b64 s[0:1], -1
	s_and_b64 vcc, exec, s[4:5]
	s_cbranch_vccnz .LBB23_988
; %bb.979:
	v_cmp_lt_i16_e64 s[4:5], s3, 3
	s_and_b64 vcc, exec, s[4:5]
	s_cbranch_vccnz .LBB23_985
; %bb.980:
	v_cmp_gt_i16_e64 s[4:5], s3, 3
	s_and_b64 vcc, exec, s[4:5]
	s_cbranch_vccz .LBB23_982
; %bb.981:
	s_ashr_i32 s0, s2, 31
	v_mov_b32_e32 v2, s2
	v_mov_b32_e32 v3, s0
	global_store_dwordx2 v[0:1], v[2:3], off
	s_mov_b64 s[0:1], 0
.LBB23_982:
	s_andn2_b64 vcc, exec, s[0:1]
	s_cbranch_vccnz .LBB23_984
; %bb.983:
	v_mov_b32_e32 v2, s2
	global_store_dword v[0:1], v2, off
.LBB23_984:
	s_mov_b64 s[0:1], 0
.LBB23_985:
	s_andn2_b64 vcc, exec, s[0:1]
	s_cbranch_vccnz .LBB23_987
; %bb.986:
	v_mov_b32_e32 v2, s2
	global_store_short v[0:1], v2, off
.LBB23_987:
	s_mov_b64 s[0:1], 0
.LBB23_988:
	s_andn2_b64 vcc, exec, s[0:1]
	s_cbranch_vccnz .LBB23_993
; %bb.989:
	v_cmp_gt_i16_e64 s[4:5], s3, 0
	s_mov_b64 s[0:1], -1
	s_and_b64 vcc, exec, s[4:5]
	s_cbranch_vccz .LBB23_991
; %bb.990:
	v_mov_b32_e32 v2, s2
	global_store_byte v[0:1], v2, off
	s_mov_b64 s[0:1], 0
.LBB23_991:
	s_andn2_b64 vcc, exec, s[0:1]
	s_cbranch_vccnz .LBB23_993
; %bb.992:
	v_mov_b32_e32 v2, s2
	global_store_byte v[0:1], v2, off
	s_endpgm
.LBB23_993:
	s_endpgm
.LBB23_994:
	s_trap 2
	s_or_b64 s[4:5], s[4:5], exec
	s_cbranch_execz .LBB23_909
	s_branch .LBB23_910
.LBB23_995:
	s_mov_b64 s[10:11], -1
	s_mov_b64 s[8:9], 0
                                        ; implicit-def: $sgpr13
.LBB23_996:
	s_andn2_b64 vcc, exec, s[10:11]
	v_mov_b32_e32 v2, s13
                                        ; implicit-def: $sgpr10
	s_cbranch_vccnz .LBB23_998
; %bb.997:
	v_mov_b32_e32 v2, 0x42800000
	v_add_f32_e64 v2, |s12|, v2
	v_and_b32_e32 v2, 0xff, v2
	s_mov_b32 s10, 0
	v_cmp_ne_u32_e64 s[8:9], 0, v2
.LBB23_998:
	s_andn2_b64 vcc, exec, s[8:9]
	v_mov_b32_e32 v3, s10
	s_cbranch_vccnz .LBB23_1000
; %bb.999:
	s_lshr_b32 s8, s12, 24
	s_and_b32 s8, s8, 0x80
	v_or_b32_e32 v3, s8, v2
.LBB23_1000:
	s_mov_b64 s[8:9], 0
	global_store_byte v[0:1], v3, off
.LBB23_1001:
	s_and_b64 vcc, exec, s[8:9]
	s_cbranch_vccz .LBB23_1013
; %bb.1002:
	v_cvt_f32_i32_e32 v2, s2
	v_readfirstlane_b32 s10, v2
	s_and_b32 s11, s10, 0x7fffffff
	s_cmp_lt_u32 s11, 0x43f00000
	s_cbranch_scc0 .LBB23_1005
; %bb.1003:
	s_cmp_gt_u32 s11, 0x3c7fffff
	s_cbranch_scc0 .LBB23_1006
; %bb.1004:
	s_bfe_u32 s8, s10, 0x10014
	s_add_i32 s8, s10, s8
	s_add_i32 s8, s8, 0x407ffff
	s_lshr_b32 s9, s8, 20
	s_and_b32 s8, s8, 0xff00000
	s_cmp_lg_u32 s8, 0x7f00000
	s_cselect_b32 s12, s9, 0x7e
	s_mov_b64 s[8:9], 0
	s_branch .LBB23_1007
.LBB23_1005:
	s_mov_b64 s[8:9], -1
                                        ; implicit-def: $vgpr3
	s_branch .LBB23_1010
.LBB23_1006:
	s_mov_b64 s[8:9], -1
                                        ; implicit-def: $sgpr12
.LBB23_1007:
	s_andn2_b64 vcc, exec, s[8:9]
	v_mov_b32_e32 v3, s12
	s_cbranch_vccnz .LBB23_1009
; %bb.1008:
	s_mov_b32 s8, 0x46800000
	v_add_f32_e64 v3, |v2|, s8
.LBB23_1009:
	s_mov_b64 s[8:9], 0
.LBB23_1010:
	s_andn2_b64 vcc, exec, s[8:9]
	s_cbranch_vccnz .LBB23_1012
; %bb.1011:
	s_cmp_gt_u32 s11, 0x7f800000
	s_movk_i32 s8, 0x7f
	s_cselect_b32 s8, s8, 0x7e
	v_mov_b32_e32 v3, s8
.LBB23_1012:
	s_lshr_b32 s8, s10, 24
	s_and_b32 s8, s8, 0x80
	v_or_b32_e32 v2, s8, v3
	global_store_byte v[0:1], v2, off
.LBB23_1013:
	s_mov_b64 s[8:9], 0
.LBB23_1014:
	s_andn2_b64 vcc, exec, s[8:9]
	s_cbranch_vccnz .LBB23_1026
; %bb.1015:
	v_cvt_f32_i32_e32 v2, s2
	v_readfirstlane_b32 s10, v2
	s_and_b32 s11, s10, 0x7fffffff
	s_cmp_lt_u32 s11, 0x47800000
	s_cbranch_scc0 .LBB23_1018
; %bb.1016:
	s_cmp_gt_u32 s11, 0x387fffff
	s_cbranch_scc0 .LBB23_1019
; %bb.1017:
	s_bfe_u32 s8, s10, 0x10015
	s_add_i32 s8, s10, s8
	s_add_i32 s8, s8, 0x80fffff
	s_lshr_b32 s12, s8, 21
	s_mov_b64 s[8:9], 0
	s_branch .LBB23_1020
.LBB23_1018:
	s_mov_b64 s[8:9], -1
                                        ; implicit-def: $vgpr3
	s_branch .LBB23_1023
.LBB23_1019:
	s_mov_b64 s[8:9], -1
                                        ; implicit-def: $sgpr12
.LBB23_1020:
	s_andn2_b64 vcc, exec, s[8:9]
	v_mov_b32_e32 v3, s12
	s_cbranch_vccnz .LBB23_1022
; %bb.1021:
	s_mov_b32 s8, 0x43000000
	v_add_f32_e64 v3, |v2|, s8
.LBB23_1022:
	s_mov_b64 s[8:9], 0
.LBB23_1023:
	s_andn2_b64 vcc, exec, s[8:9]
	s_cbranch_vccnz .LBB23_1025
; %bb.1024:
	s_cmp_gt_u32 s11, 0x7f800000
	s_movk_i32 s8, 0x7f
	s_cselect_b32 s8, s8, 0x7c
	v_mov_b32_e32 v3, s8
.LBB23_1025:
	s_lshr_b32 s8, s10, 24
	s_and_b32 s8, s8, 0x80
	v_or_b32_e32 v2, s8, v3
	global_store_byte v[0:1], v2, off
.LBB23_1026:
	s_mov_b64 s[8:9], 0
.LBB23_1027:
	s_andn2_b64 vcc, exec, s[8:9]
	s_mov_b64 s[8:9], 0
	s_cbranch_vccnz .LBB23_1034
; %bb.1028:
	v_cmp_gt_i16_e64 s[8:9], s3, 14
	s_mov_b64 s[10:11], -1
	s_and_b64 vcc, exec, s[8:9]
	s_cbranch_vccz .LBB23_1032
; %bb.1029:
	v_cmp_eq_u16_e64 s[8:9], s3, 15
	s_mov_b64 s[0:1], -1
	s_and_b64 vcc, exec, s[8:9]
	s_cbranch_vccz .LBB23_1031
; %bb.1030:
	v_cvt_f32_i32_e32 v2, s2
	s_mov_b64 s[0:1], 0
	v_bfe_u32 v3, v2, 16, 1
	v_add_u32_e32 v2, v2, v3
	v_add_u32_e32 v2, 0x7fff, v2
	global_store_short_d16_hi v[0:1], v2, off
.LBB23_1031:
	s_mov_b64 s[10:11], 0
.LBB23_1032:
	s_mov_b64 s[8:9], 0
	s_and_b64 vcc, exec, s[10:11]
	s_cbranch_vccz .LBB23_1034
; %bb.1033:
	v_cmp_ne_u16_e64 s[0:1], s3, 11
	s_mov_b64 s[8:9], -1
.LBB23_1034:
	s_and_b64 vcc, exec, s[0:1]
	s_cbranch_vccnz .LBB23_1036
.LBB23_1035:
	s_mov_b64 s[0:1], 0
	s_branch .LBB23_950
.LBB23_1036:
	s_mov_b64 s[8:9], 0
	s_or_b64 s[4:5], s[4:5], exec
	s_trap 2
	s_branch .LBB23_1035
	.section	.rodata,"a",@progbits
	.p2align	6, 0x0
	.amdhsa_kernel _ZN2at6native32elementwise_kernel_manual_unrollILi128ELi4EZNS0_15gpu_kernel_implINS0_11FillFunctorIiEEEEvRNS_18TensorIteratorBaseERKT_EUlibE0_EEviT1_
		.amdhsa_group_segment_fixed_size 0
		.amdhsa_private_segment_fixed_size 0
		.amdhsa_kernarg_size 288
		.amdhsa_user_sgpr_count 6
		.amdhsa_user_sgpr_private_segment_buffer 1
		.amdhsa_user_sgpr_dispatch_ptr 0
		.amdhsa_user_sgpr_queue_ptr 0
		.amdhsa_user_sgpr_kernarg_segment_ptr 1
		.amdhsa_user_sgpr_dispatch_id 0
		.amdhsa_user_sgpr_flat_scratch_init 0
		.amdhsa_user_sgpr_kernarg_preload_length 0
		.amdhsa_user_sgpr_kernarg_preload_offset 0
		.amdhsa_user_sgpr_private_segment_size 0
		.amdhsa_uses_dynamic_stack 0
		.amdhsa_system_sgpr_private_segment_wavefront_offset 0
		.amdhsa_system_sgpr_workgroup_id_x 1
		.amdhsa_system_sgpr_workgroup_id_y 0
		.amdhsa_system_sgpr_workgroup_id_z 0
		.amdhsa_system_sgpr_workgroup_info 0
		.amdhsa_system_vgpr_workitem_id 0
		.amdhsa_next_free_vgpr 17
		.amdhsa_next_free_sgpr 96
		.amdhsa_accum_offset 20
		.amdhsa_reserve_vcc 1
		.amdhsa_reserve_flat_scratch 0
		.amdhsa_float_round_mode_32 0
		.amdhsa_float_round_mode_16_64 0
		.amdhsa_float_denorm_mode_32 3
		.amdhsa_float_denorm_mode_16_64 3
		.amdhsa_dx10_clamp 1
		.amdhsa_ieee_mode 1
		.amdhsa_fp16_overflow 0
		.amdhsa_tg_split 0
		.amdhsa_exception_fp_ieee_invalid_op 0
		.amdhsa_exception_fp_denorm_src 0
		.amdhsa_exception_fp_ieee_div_zero 0
		.amdhsa_exception_fp_ieee_overflow 0
		.amdhsa_exception_fp_ieee_underflow 0
		.amdhsa_exception_fp_ieee_inexact 0
		.amdhsa_exception_int_div_zero 0
	.end_amdhsa_kernel
	.section	.text._ZN2at6native32elementwise_kernel_manual_unrollILi128ELi4EZNS0_15gpu_kernel_implINS0_11FillFunctorIiEEEEvRNS_18TensorIteratorBaseERKT_EUlibE0_EEviT1_,"axG",@progbits,_ZN2at6native32elementwise_kernel_manual_unrollILi128ELi4EZNS0_15gpu_kernel_implINS0_11FillFunctorIiEEEEvRNS_18TensorIteratorBaseERKT_EUlibE0_EEviT1_,comdat
.Lfunc_end23:
	.size	_ZN2at6native32elementwise_kernel_manual_unrollILi128ELi4EZNS0_15gpu_kernel_implINS0_11FillFunctorIiEEEEvRNS_18TensorIteratorBaseERKT_EUlibE0_EEviT1_, .Lfunc_end23-_ZN2at6native32elementwise_kernel_manual_unrollILi128ELi4EZNS0_15gpu_kernel_implINS0_11FillFunctorIiEEEEvRNS_18TensorIteratorBaseERKT_EUlibE0_EEviT1_
                                        ; -- End function
	.section	.AMDGPU.csdata,"",@progbits
; Kernel info:
; codeLenInByte = 18488
; NumSgprs: 100
; NumVgprs: 17
; NumAgprs: 0
; TotalNumVgprs: 17
; ScratchSize: 0
; MemoryBound: 0
; FloatMode: 240
; IeeeMode: 1
; LDSByteSize: 0 bytes/workgroup (compile time only)
; SGPRBlocks: 12
; VGPRBlocks: 2
; NumSGPRsForWavesPerEU: 100
; NumVGPRsForWavesPerEU: 17
; AccumOffset: 20
; Occupancy: 8
; WaveLimiterHint : 1
; COMPUTE_PGM_RSRC2:SCRATCH_EN: 0
; COMPUTE_PGM_RSRC2:USER_SGPR: 6
; COMPUTE_PGM_RSRC2:TRAP_HANDLER: 0
; COMPUTE_PGM_RSRC2:TGID_X_EN: 1
; COMPUTE_PGM_RSRC2:TGID_Y_EN: 0
; COMPUTE_PGM_RSRC2:TGID_Z_EN: 0
; COMPUTE_PGM_RSRC2:TIDIG_COMP_CNT: 0
; COMPUTE_PGM_RSRC3_GFX90A:ACCUM_OFFSET: 4
; COMPUTE_PGM_RSRC3_GFX90A:TG_SPLIT: 0
	.section	.text._ZN2at6native29vectorized_elementwise_kernelILi16ENS0_11FillFunctorIlEESt5arrayIPcLm1EEEEviT0_T1_,"axG",@progbits,_ZN2at6native29vectorized_elementwise_kernelILi16ENS0_11FillFunctorIlEESt5arrayIPcLm1EEEEviT0_T1_,comdat
	.protected	_ZN2at6native29vectorized_elementwise_kernelILi16ENS0_11FillFunctorIlEESt5arrayIPcLm1EEEEviT0_T1_ ; -- Begin function _ZN2at6native29vectorized_elementwise_kernelILi16ENS0_11FillFunctorIlEESt5arrayIPcLm1EEEEviT0_T1_
	.globl	_ZN2at6native29vectorized_elementwise_kernelILi16ENS0_11FillFunctorIlEESt5arrayIPcLm1EEEEviT0_T1_
	.p2align	8
	.type	_ZN2at6native29vectorized_elementwise_kernelILi16ENS0_11FillFunctorIlEESt5arrayIPcLm1EEEEviT0_T1_,@function
_ZN2at6native29vectorized_elementwise_kernelILi16ENS0_11FillFunctorIlEESt5arrayIPcLm1EEEEviT0_T1_: ; @_ZN2at6native29vectorized_elementwise_kernelILi16ENS0_11FillFunctorIlEESt5arrayIPcLm1EEEEviT0_T1_
; %bb.0:
	s_load_dword s7, s[4:5], 0x0
	s_load_dwordx4 s[0:3], s[4:5], 0x8
	s_lshl_b32 s4, s6, 10
	s_waitcnt lgkmcnt(0)
	s_sub_i32 s8, s7, s4
	s_cmpk_gt_i32 s8, 0x3ff
	s_mov_b64 s[6:7], -1
	s_cbranch_scc0 .LBB24_2
; %bb.1:
	s_ashr_i32 s5, s4, 31
	s_lshl_b64 s[6:7], s[4:5], 3
	s_mov_b32 s12, s0
	s_mov_b32 s13, s1
	s_add_u32 s6, s2, s6
	s_mov_b32 s14, s0
	s_mov_b32 s15, s1
	v_pk_mov_b32 v[2:3], s[12:13], s[12:13] op_sel:[0,1]
	s_addc_u32 s7, s3, s7
	v_lshlrev_b32_e32 v1, 5, v0
	v_pk_mov_b32 v[4:5], s[14:15], s[14:15] op_sel:[0,1]
	global_store_dwordx4 v1, v[2:5], s[6:7]
	global_store_dwordx4 v1, v[2:5], s[6:7] offset:16
	s_mov_b64 s[6:7], 0
.LBB24_2:
	s_andn2_b64 vcc, exec, s[6:7]
	s_cbranch_vccnz .LBB24_8
; %bb.3:
	v_cmp_gt_i32_e32 vcc, s8, v0
	s_and_saveexec_b64 s[6:7], vcc
	s_cbranch_execnz .LBB24_9
; %bb.4:
	s_or_b64 exec, exec, s[6:7]
	v_cmp_gt_i32_e32 vcc, s8, v0
	s_and_saveexec_b64 s[6:7], vcc
	s_cbranch_execnz .LBB24_10
.LBB24_5:
	s_or_b64 exec, exec, s[6:7]
	v_cmp_gt_i32_e32 vcc, s8, v0
	s_and_saveexec_b64 s[6:7], vcc
	s_cbranch_execnz .LBB24_11
.LBB24_6:
	s_or_b64 exec, exec, s[6:7]
	v_cmp_gt_i32_e32 vcc, s8, v0
	s_and_saveexec_b64 s[6:7], vcc
	s_cbranch_execz .LBB24_8
.LBB24_7:
	v_add_u32_e32 v0, s4, v0
	v_mov_b32_e32 v1, 0
	v_lshlrev_b64 v[0:1], 3, v[0:1]
	v_mov_b32_e32 v4, s3
	v_add_co_u32_e32 v0, vcc, s2, v0
	v_mov_b32_e32 v3, s1
	v_mov_b32_e32 v2, s0
	v_addc_co_u32_e32 v1, vcc, v4, v1, vcc
	global_store_dwordx2 v[0:1], v[2:3], off
.LBB24_8:
	s_endpgm
.LBB24_9:
	v_or_b32_e32 v4, 0x100, v0
	v_or_b32_e32 v0, s4, v0
	v_mov_b32_e32 v1, 0
	v_lshlrev_b64 v[0:1], 3, v[0:1]
	v_mov_b32_e32 v5, s3
	v_add_co_u32_e32 v0, vcc, s2, v0
	v_mov_b32_e32 v3, s1
	v_mov_b32_e32 v2, s0
	v_addc_co_u32_e32 v1, vcc, v5, v1, vcc
	global_store_dwordx2 v[0:1], v[2:3], off
	v_mov_b32_e32 v0, v4
	s_or_b64 exec, exec, s[6:7]
	v_cmp_gt_i32_e32 vcc, s8, v0
	s_and_saveexec_b64 s[6:7], vcc
	s_cbranch_execz .LBB24_5
.LBB24_10:
	v_add_u32_e32 v4, s4, v0
	v_mov_b32_e32 v5, 0
	v_lshlrev_b64 v[4:5], 3, v[4:5]
	v_mov_b32_e32 v1, s3
	v_add_co_u32_e32 v4, vcc, s2, v4
	v_mov_b32_e32 v3, s1
	v_mov_b32_e32 v2, s0
	v_addc_co_u32_e32 v5, vcc, v1, v5, vcc
	v_add_u32_e32 v0, 0x100, v0
	global_store_dwordx2 v[4:5], v[2:3], off
	s_or_b64 exec, exec, s[6:7]
	v_cmp_gt_i32_e32 vcc, s8, v0
	s_and_saveexec_b64 s[6:7], vcc
	s_cbranch_execz .LBB24_6
.LBB24_11:
	v_add_u32_e32 v4, s4, v0
	v_mov_b32_e32 v5, 0
	v_lshlrev_b64 v[4:5], 3, v[4:5]
	v_mov_b32_e32 v1, s3
	v_add_co_u32_e32 v4, vcc, s2, v4
	v_mov_b32_e32 v3, s1
	v_mov_b32_e32 v2, s0
	v_addc_co_u32_e32 v5, vcc, v1, v5, vcc
	v_add_u32_e32 v0, 0x100, v0
	global_store_dwordx2 v[4:5], v[2:3], off
	s_or_b64 exec, exec, s[6:7]
	v_cmp_gt_i32_e32 vcc, s8, v0
	s_and_saveexec_b64 s[6:7], vcc
	s_cbranch_execnz .LBB24_7
	s_branch .LBB24_8
	.section	.rodata,"a",@progbits
	.p2align	6, 0x0
	.amdhsa_kernel _ZN2at6native29vectorized_elementwise_kernelILi16ENS0_11FillFunctorIlEESt5arrayIPcLm1EEEEviT0_T1_
		.amdhsa_group_segment_fixed_size 0
		.amdhsa_private_segment_fixed_size 0
		.amdhsa_kernarg_size 24
		.amdhsa_user_sgpr_count 6
		.amdhsa_user_sgpr_private_segment_buffer 1
		.amdhsa_user_sgpr_dispatch_ptr 0
		.amdhsa_user_sgpr_queue_ptr 0
		.amdhsa_user_sgpr_kernarg_segment_ptr 1
		.amdhsa_user_sgpr_dispatch_id 0
		.amdhsa_user_sgpr_flat_scratch_init 0
		.amdhsa_user_sgpr_kernarg_preload_length 0
		.amdhsa_user_sgpr_kernarg_preload_offset 0
		.amdhsa_user_sgpr_private_segment_size 0
		.amdhsa_uses_dynamic_stack 0
		.amdhsa_system_sgpr_private_segment_wavefront_offset 0
		.amdhsa_system_sgpr_workgroup_id_x 1
		.amdhsa_system_sgpr_workgroup_id_y 0
		.amdhsa_system_sgpr_workgroup_id_z 0
		.amdhsa_system_sgpr_workgroup_info 0
		.amdhsa_system_vgpr_workitem_id 0
		.amdhsa_next_free_vgpr 6
		.amdhsa_next_free_sgpr 16
		.amdhsa_accum_offset 8
		.amdhsa_reserve_vcc 1
		.amdhsa_reserve_flat_scratch 0
		.amdhsa_float_round_mode_32 0
		.amdhsa_float_round_mode_16_64 0
		.amdhsa_float_denorm_mode_32 3
		.amdhsa_float_denorm_mode_16_64 3
		.amdhsa_dx10_clamp 1
		.amdhsa_ieee_mode 1
		.amdhsa_fp16_overflow 0
		.amdhsa_tg_split 0
		.amdhsa_exception_fp_ieee_invalid_op 0
		.amdhsa_exception_fp_denorm_src 0
		.amdhsa_exception_fp_ieee_div_zero 0
		.amdhsa_exception_fp_ieee_overflow 0
		.amdhsa_exception_fp_ieee_underflow 0
		.amdhsa_exception_fp_ieee_inexact 0
		.amdhsa_exception_int_div_zero 0
	.end_amdhsa_kernel
	.section	.text._ZN2at6native29vectorized_elementwise_kernelILi16ENS0_11FillFunctorIlEESt5arrayIPcLm1EEEEviT0_T1_,"axG",@progbits,_ZN2at6native29vectorized_elementwise_kernelILi16ENS0_11FillFunctorIlEESt5arrayIPcLm1EEEEviT0_T1_,comdat
.Lfunc_end24:
	.size	_ZN2at6native29vectorized_elementwise_kernelILi16ENS0_11FillFunctorIlEESt5arrayIPcLm1EEEEviT0_T1_, .Lfunc_end24-_ZN2at6native29vectorized_elementwise_kernelILi16ENS0_11FillFunctorIlEESt5arrayIPcLm1EEEEviT0_T1_
                                        ; -- End function
	.section	.AMDGPU.csdata,"",@progbits
; Kernel info:
; codeLenInByte = 440
; NumSgprs: 20
; NumVgprs: 6
; NumAgprs: 0
; TotalNumVgprs: 6
; ScratchSize: 0
; MemoryBound: 0
; FloatMode: 240
; IeeeMode: 1
; LDSByteSize: 0 bytes/workgroup (compile time only)
; SGPRBlocks: 2
; VGPRBlocks: 0
; NumSGPRsForWavesPerEU: 20
; NumVGPRsForWavesPerEU: 6
; AccumOffset: 8
; Occupancy: 8
; WaveLimiterHint : 0
; COMPUTE_PGM_RSRC2:SCRATCH_EN: 0
; COMPUTE_PGM_RSRC2:USER_SGPR: 6
; COMPUTE_PGM_RSRC2:TRAP_HANDLER: 0
; COMPUTE_PGM_RSRC2:TGID_X_EN: 1
; COMPUTE_PGM_RSRC2:TGID_Y_EN: 0
; COMPUTE_PGM_RSRC2:TGID_Z_EN: 0
; COMPUTE_PGM_RSRC2:TIDIG_COMP_CNT: 0
; COMPUTE_PGM_RSRC3_GFX90A:ACCUM_OFFSET: 1
; COMPUTE_PGM_RSRC3_GFX90A:TG_SPLIT: 0
	.section	.text._ZN2at6native29vectorized_elementwise_kernelILi8ENS0_11FillFunctorIlEESt5arrayIPcLm1EEEEviT0_T1_,"axG",@progbits,_ZN2at6native29vectorized_elementwise_kernelILi8ENS0_11FillFunctorIlEESt5arrayIPcLm1EEEEviT0_T1_,comdat
	.protected	_ZN2at6native29vectorized_elementwise_kernelILi8ENS0_11FillFunctorIlEESt5arrayIPcLm1EEEEviT0_T1_ ; -- Begin function _ZN2at6native29vectorized_elementwise_kernelILi8ENS0_11FillFunctorIlEESt5arrayIPcLm1EEEEviT0_T1_
	.globl	_ZN2at6native29vectorized_elementwise_kernelILi8ENS0_11FillFunctorIlEESt5arrayIPcLm1EEEEviT0_T1_
	.p2align	8
	.type	_ZN2at6native29vectorized_elementwise_kernelILi8ENS0_11FillFunctorIlEESt5arrayIPcLm1EEEEviT0_T1_,@function
_ZN2at6native29vectorized_elementwise_kernelILi8ENS0_11FillFunctorIlEESt5arrayIPcLm1EEEEviT0_T1_: ; @_ZN2at6native29vectorized_elementwise_kernelILi8ENS0_11FillFunctorIlEESt5arrayIPcLm1EEEEviT0_T1_
; %bb.0:
	s_load_dword s7, s[4:5], 0x0
	s_load_dwordx4 s[0:3], s[4:5], 0x8
	s_lshl_b32 s4, s6, 10
	s_waitcnt lgkmcnt(0)
	s_sub_i32 s8, s7, s4
	s_cmpk_gt_i32 s8, 0x3ff
	s_mov_b64 s[6:7], -1
	s_cbranch_scc0 .LBB25_2
; %bb.1:
	s_ashr_i32 s5, s4, 31
	s_lshl_b64 s[6:7], s[4:5], 3
	s_mov_b32 s12, s0
	s_mov_b32 s13, s1
	s_add_u32 s6, s2, s6
	s_mov_b32 s14, s0
	s_mov_b32 s15, s1
	v_pk_mov_b32 v[2:3], s[12:13], s[12:13] op_sel:[0,1]
	s_addc_u32 s7, s3, s7
	v_lshlrev_b32_e32 v1, 5, v0
	v_pk_mov_b32 v[4:5], s[14:15], s[14:15] op_sel:[0,1]
	global_store_dwordx4 v1, v[2:5], s[6:7]
	global_store_dwordx4 v1, v[2:5], s[6:7] offset:16
	s_mov_b64 s[6:7], 0
.LBB25_2:
	s_andn2_b64 vcc, exec, s[6:7]
	s_cbranch_vccnz .LBB25_8
; %bb.3:
	v_cmp_gt_i32_e32 vcc, s8, v0
	s_and_saveexec_b64 s[6:7], vcc
	s_cbranch_execnz .LBB25_9
; %bb.4:
	s_or_b64 exec, exec, s[6:7]
	v_cmp_gt_i32_e32 vcc, s8, v0
	s_and_saveexec_b64 s[6:7], vcc
	s_cbranch_execnz .LBB25_10
.LBB25_5:
	s_or_b64 exec, exec, s[6:7]
	v_cmp_gt_i32_e32 vcc, s8, v0
	s_and_saveexec_b64 s[6:7], vcc
	s_cbranch_execnz .LBB25_11
.LBB25_6:
	s_or_b64 exec, exec, s[6:7]
	v_cmp_gt_i32_e32 vcc, s8, v0
	s_and_saveexec_b64 s[6:7], vcc
	s_cbranch_execz .LBB25_8
.LBB25_7:
	v_add_u32_e32 v0, s4, v0
	v_mov_b32_e32 v1, 0
	v_lshlrev_b64 v[0:1], 3, v[0:1]
	v_mov_b32_e32 v4, s3
	v_add_co_u32_e32 v0, vcc, s2, v0
	v_mov_b32_e32 v3, s1
	v_mov_b32_e32 v2, s0
	v_addc_co_u32_e32 v1, vcc, v4, v1, vcc
	global_store_dwordx2 v[0:1], v[2:3], off
.LBB25_8:
	s_endpgm
.LBB25_9:
	v_or_b32_e32 v4, 0x100, v0
	v_or_b32_e32 v0, s4, v0
	v_mov_b32_e32 v1, 0
	v_lshlrev_b64 v[0:1], 3, v[0:1]
	v_mov_b32_e32 v5, s3
	v_add_co_u32_e32 v0, vcc, s2, v0
	v_mov_b32_e32 v3, s1
	v_mov_b32_e32 v2, s0
	v_addc_co_u32_e32 v1, vcc, v5, v1, vcc
	global_store_dwordx2 v[0:1], v[2:3], off
	v_mov_b32_e32 v0, v4
	s_or_b64 exec, exec, s[6:7]
	v_cmp_gt_i32_e32 vcc, s8, v0
	s_and_saveexec_b64 s[6:7], vcc
	s_cbranch_execz .LBB25_5
.LBB25_10:
	v_add_u32_e32 v4, s4, v0
	v_mov_b32_e32 v5, 0
	v_lshlrev_b64 v[4:5], 3, v[4:5]
	v_mov_b32_e32 v1, s3
	v_add_co_u32_e32 v4, vcc, s2, v4
	v_mov_b32_e32 v3, s1
	v_mov_b32_e32 v2, s0
	v_addc_co_u32_e32 v5, vcc, v1, v5, vcc
	v_add_u32_e32 v0, 0x100, v0
	global_store_dwordx2 v[4:5], v[2:3], off
	s_or_b64 exec, exec, s[6:7]
	v_cmp_gt_i32_e32 vcc, s8, v0
	s_and_saveexec_b64 s[6:7], vcc
	s_cbranch_execz .LBB25_6
.LBB25_11:
	v_add_u32_e32 v4, s4, v0
	v_mov_b32_e32 v5, 0
	v_lshlrev_b64 v[4:5], 3, v[4:5]
	v_mov_b32_e32 v1, s3
	v_add_co_u32_e32 v4, vcc, s2, v4
	v_mov_b32_e32 v3, s1
	v_mov_b32_e32 v2, s0
	v_addc_co_u32_e32 v5, vcc, v1, v5, vcc
	v_add_u32_e32 v0, 0x100, v0
	global_store_dwordx2 v[4:5], v[2:3], off
	s_or_b64 exec, exec, s[6:7]
	v_cmp_gt_i32_e32 vcc, s8, v0
	s_and_saveexec_b64 s[6:7], vcc
	s_cbranch_execnz .LBB25_7
	s_branch .LBB25_8
	.section	.rodata,"a",@progbits
	.p2align	6, 0x0
	.amdhsa_kernel _ZN2at6native29vectorized_elementwise_kernelILi8ENS0_11FillFunctorIlEESt5arrayIPcLm1EEEEviT0_T1_
		.amdhsa_group_segment_fixed_size 0
		.amdhsa_private_segment_fixed_size 0
		.amdhsa_kernarg_size 24
		.amdhsa_user_sgpr_count 6
		.amdhsa_user_sgpr_private_segment_buffer 1
		.amdhsa_user_sgpr_dispatch_ptr 0
		.amdhsa_user_sgpr_queue_ptr 0
		.amdhsa_user_sgpr_kernarg_segment_ptr 1
		.amdhsa_user_sgpr_dispatch_id 0
		.amdhsa_user_sgpr_flat_scratch_init 0
		.amdhsa_user_sgpr_kernarg_preload_length 0
		.amdhsa_user_sgpr_kernarg_preload_offset 0
		.amdhsa_user_sgpr_private_segment_size 0
		.amdhsa_uses_dynamic_stack 0
		.amdhsa_system_sgpr_private_segment_wavefront_offset 0
		.amdhsa_system_sgpr_workgroup_id_x 1
		.amdhsa_system_sgpr_workgroup_id_y 0
		.amdhsa_system_sgpr_workgroup_id_z 0
		.amdhsa_system_sgpr_workgroup_info 0
		.amdhsa_system_vgpr_workitem_id 0
		.amdhsa_next_free_vgpr 6
		.amdhsa_next_free_sgpr 16
		.amdhsa_accum_offset 8
		.amdhsa_reserve_vcc 1
		.amdhsa_reserve_flat_scratch 0
		.amdhsa_float_round_mode_32 0
		.amdhsa_float_round_mode_16_64 0
		.amdhsa_float_denorm_mode_32 3
		.amdhsa_float_denorm_mode_16_64 3
		.amdhsa_dx10_clamp 1
		.amdhsa_ieee_mode 1
		.amdhsa_fp16_overflow 0
		.amdhsa_tg_split 0
		.amdhsa_exception_fp_ieee_invalid_op 0
		.amdhsa_exception_fp_denorm_src 0
		.amdhsa_exception_fp_ieee_div_zero 0
		.amdhsa_exception_fp_ieee_overflow 0
		.amdhsa_exception_fp_ieee_underflow 0
		.amdhsa_exception_fp_ieee_inexact 0
		.amdhsa_exception_int_div_zero 0
	.end_amdhsa_kernel
	.section	.text._ZN2at6native29vectorized_elementwise_kernelILi8ENS0_11FillFunctorIlEESt5arrayIPcLm1EEEEviT0_T1_,"axG",@progbits,_ZN2at6native29vectorized_elementwise_kernelILi8ENS0_11FillFunctorIlEESt5arrayIPcLm1EEEEviT0_T1_,comdat
.Lfunc_end25:
	.size	_ZN2at6native29vectorized_elementwise_kernelILi8ENS0_11FillFunctorIlEESt5arrayIPcLm1EEEEviT0_T1_, .Lfunc_end25-_ZN2at6native29vectorized_elementwise_kernelILi8ENS0_11FillFunctorIlEESt5arrayIPcLm1EEEEviT0_T1_
                                        ; -- End function
	.section	.AMDGPU.csdata,"",@progbits
; Kernel info:
; codeLenInByte = 440
; NumSgprs: 20
; NumVgprs: 6
; NumAgprs: 0
; TotalNumVgprs: 6
; ScratchSize: 0
; MemoryBound: 0
; FloatMode: 240
; IeeeMode: 1
; LDSByteSize: 0 bytes/workgroup (compile time only)
; SGPRBlocks: 2
; VGPRBlocks: 0
; NumSGPRsForWavesPerEU: 20
; NumVGPRsForWavesPerEU: 6
; AccumOffset: 8
; Occupancy: 8
; WaveLimiterHint : 0
; COMPUTE_PGM_RSRC2:SCRATCH_EN: 0
; COMPUTE_PGM_RSRC2:USER_SGPR: 6
; COMPUTE_PGM_RSRC2:TRAP_HANDLER: 0
; COMPUTE_PGM_RSRC2:TGID_X_EN: 1
; COMPUTE_PGM_RSRC2:TGID_Y_EN: 0
; COMPUTE_PGM_RSRC2:TGID_Z_EN: 0
; COMPUTE_PGM_RSRC2:TIDIG_COMP_CNT: 0
; COMPUTE_PGM_RSRC3_GFX90A:ACCUM_OFFSET: 1
; COMPUTE_PGM_RSRC3_GFX90A:TG_SPLIT: 0
	.section	.text._ZN2at6native29vectorized_elementwise_kernelILi4ENS0_11FillFunctorIlEESt5arrayIPcLm1EEEEviT0_T1_,"axG",@progbits,_ZN2at6native29vectorized_elementwise_kernelILi4ENS0_11FillFunctorIlEESt5arrayIPcLm1EEEEviT0_T1_,comdat
	.protected	_ZN2at6native29vectorized_elementwise_kernelILi4ENS0_11FillFunctorIlEESt5arrayIPcLm1EEEEviT0_T1_ ; -- Begin function _ZN2at6native29vectorized_elementwise_kernelILi4ENS0_11FillFunctorIlEESt5arrayIPcLm1EEEEviT0_T1_
	.globl	_ZN2at6native29vectorized_elementwise_kernelILi4ENS0_11FillFunctorIlEESt5arrayIPcLm1EEEEviT0_T1_
	.p2align	8
	.type	_ZN2at6native29vectorized_elementwise_kernelILi4ENS0_11FillFunctorIlEESt5arrayIPcLm1EEEEviT0_T1_,@function
_ZN2at6native29vectorized_elementwise_kernelILi4ENS0_11FillFunctorIlEESt5arrayIPcLm1EEEEviT0_T1_: ; @_ZN2at6native29vectorized_elementwise_kernelILi4ENS0_11FillFunctorIlEESt5arrayIPcLm1EEEEviT0_T1_
; %bb.0:
	s_load_dword s7, s[4:5], 0x0
	s_load_dwordx4 s[0:3], s[4:5], 0x8
	s_lshl_b32 s4, s6, 10
	s_waitcnt lgkmcnt(0)
	s_sub_i32 s8, s7, s4
	s_cmpk_gt_i32 s8, 0x3ff
	s_mov_b64 s[6:7], -1
	s_cbranch_scc0 .LBB26_2
; %bb.1:
	s_ashr_i32 s5, s4, 31
	s_lshl_b64 s[6:7], s[4:5], 3
	s_mov_b32 s12, s0
	s_mov_b32 s13, s1
	s_add_u32 s6, s2, s6
	s_mov_b32 s14, s0
	s_mov_b32 s15, s1
	v_pk_mov_b32 v[2:3], s[12:13], s[12:13] op_sel:[0,1]
	s_addc_u32 s7, s3, s7
	v_lshlrev_b32_e32 v1, 5, v0
	v_pk_mov_b32 v[4:5], s[14:15], s[14:15] op_sel:[0,1]
	global_store_dwordx4 v1, v[2:5], s[6:7]
	global_store_dwordx4 v1, v[2:5], s[6:7] offset:16
	s_mov_b64 s[6:7], 0
.LBB26_2:
	s_andn2_b64 vcc, exec, s[6:7]
	s_cbranch_vccnz .LBB26_8
; %bb.3:
	v_cmp_gt_i32_e32 vcc, s8, v0
	s_and_saveexec_b64 s[6:7], vcc
	s_cbranch_execnz .LBB26_9
; %bb.4:
	s_or_b64 exec, exec, s[6:7]
	v_cmp_gt_i32_e32 vcc, s8, v0
	s_and_saveexec_b64 s[6:7], vcc
	s_cbranch_execnz .LBB26_10
.LBB26_5:
	s_or_b64 exec, exec, s[6:7]
	v_cmp_gt_i32_e32 vcc, s8, v0
	s_and_saveexec_b64 s[6:7], vcc
	s_cbranch_execnz .LBB26_11
.LBB26_6:
	s_or_b64 exec, exec, s[6:7]
	v_cmp_gt_i32_e32 vcc, s8, v0
	s_and_saveexec_b64 s[6:7], vcc
	s_cbranch_execz .LBB26_8
.LBB26_7:
	v_add_u32_e32 v0, s4, v0
	v_mov_b32_e32 v1, 0
	v_lshlrev_b64 v[0:1], 3, v[0:1]
	v_mov_b32_e32 v4, s3
	v_add_co_u32_e32 v0, vcc, s2, v0
	v_mov_b32_e32 v3, s1
	v_mov_b32_e32 v2, s0
	v_addc_co_u32_e32 v1, vcc, v4, v1, vcc
	global_store_dwordx2 v[0:1], v[2:3], off
.LBB26_8:
	s_endpgm
.LBB26_9:
	v_or_b32_e32 v4, 0x100, v0
	v_or_b32_e32 v0, s4, v0
	v_mov_b32_e32 v1, 0
	v_lshlrev_b64 v[0:1], 3, v[0:1]
	v_mov_b32_e32 v5, s3
	v_add_co_u32_e32 v0, vcc, s2, v0
	v_mov_b32_e32 v3, s1
	v_mov_b32_e32 v2, s0
	v_addc_co_u32_e32 v1, vcc, v5, v1, vcc
	global_store_dwordx2 v[0:1], v[2:3], off
	v_mov_b32_e32 v0, v4
	s_or_b64 exec, exec, s[6:7]
	v_cmp_gt_i32_e32 vcc, s8, v0
	s_and_saveexec_b64 s[6:7], vcc
	s_cbranch_execz .LBB26_5
.LBB26_10:
	v_add_u32_e32 v4, s4, v0
	v_mov_b32_e32 v5, 0
	v_lshlrev_b64 v[4:5], 3, v[4:5]
	v_mov_b32_e32 v1, s3
	v_add_co_u32_e32 v4, vcc, s2, v4
	v_mov_b32_e32 v3, s1
	v_mov_b32_e32 v2, s0
	v_addc_co_u32_e32 v5, vcc, v1, v5, vcc
	v_add_u32_e32 v0, 0x100, v0
	global_store_dwordx2 v[4:5], v[2:3], off
	s_or_b64 exec, exec, s[6:7]
	v_cmp_gt_i32_e32 vcc, s8, v0
	s_and_saveexec_b64 s[6:7], vcc
	s_cbranch_execz .LBB26_6
.LBB26_11:
	v_add_u32_e32 v4, s4, v0
	v_mov_b32_e32 v5, 0
	v_lshlrev_b64 v[4:5], 3, v[4:5]
	v_mov_b32_e32 v1, s3
	v_add_co_u32_e32 v4, vcc, s2, v4
	v_mov_b32_e32 v3, s1
	v_mov_b32_e32 v2, s0
	v_addc_co_u32_e32 v5, vcc, v1, v5, vcc
	v_add_u32_e32 v0, 0x100, v0
	global_store_dwordx2 v[4:5], v[2:3], off
	s_or_b64 exec, exec, s[6:7]
	v_cmp_gt_i32_e32 vcc, s8, v0
	s_and_saveexec_b64 s[6:7], vcc
	s_cbranch_execnz .LBB26_7
	s_branch .LBB26_8
	.section	.rodata,"a",@progbits
	.p2align	6, 0x0
	.amdhsa_kernel _ZN2at6native29vectorized_elementwise_kernelILi4ENS0_11FillFunctorIlEESt5arrayIPcLm1EEEEviT0_T1_
		.amdhsa_group_segment_fixed_size 0
		.amdhsa_private_segment_fixed_size 0
		.amdhsa_kernarg_size 24
		.amdhsa_user_sgpr_count 6
		.amdhsa_user_sgpr_private_segment_buffer 1
		.amdhsa_user_sgpr_dispatch_ptr 0
		.amdhsa_user_sgpr_queue_ptr 0
		.amdhsa_user_sgpr_kernarg_segment_ptr 1
		.amdhsa_user_sgpr_dispatch_id 0
		.amdhsa_user_sgpr_flat_scratch_init 0
		.amdhsa_user_sgpr_kernarg_preload_length 0
		.amdhsa_user_sgpr_kernarg_preload_offset 0
		.amdhsa_user_sgpr_private_segment_size 0
		.amdhsa_uses_dynamic_stack 0
		.amdhsa_system_sgpr_private_segment_wavefront_offset 0
		.amdhsa_system_sgpr_workgroup_id_x 1
		.amdhsa_system_sgpr_workgroup_id_y 0
		.amdhsa_system_sgpr_workgroup_id_z 0
		.amdhsa_system_sgpr_workgroup_info 0
		.amdhsa_system_vgpr_workitem_id 0
		.amdhsa_next_free_vgpr 6
		.amdhsa_next_free_sgpr 16
		.amdhsa_accum_offset 8
		.amdhsa_reserve_vcc 1
		.amdhsa_reserve_flat_scratch 0
		.amdhsa_float_round_mode_32 0
		.amdhsa_float_round_mode_16_64 0
		.amdhsa_float_denorm_mode_32 3
		.amdhsa_float_denorm_mode_16_64 3
		.amdhsa_dx10_clamp 1
		.amdhsa_ieee_mode 1
		.amdhsa_fp16_overflow 0
		.amdhsa_tg_split 0
		.amdhsa_exception_fp_ieee_invalid_op 0
		.amdhsa_exception_fp_denorm_src 0
		.amdhsa_exception_fp_ieee_div_zero 0
		.amdhsa_exception_fp_ieee_overflow 0
		.amdhsa_exception_fp_ieee_underflow 0
		.amdhsa_exception_fp_ieee_inexact 0
		.amdhsa_exception_int_div_zero 0
	.end_amdhsa_kernel
	.section	.text._ZN2at6native29vectorized_elementwise_kernelILi4ENS0_11FillFunctorIlEESt5arrayIPcLm1EEEEviT0_T1_,"axG",@progbits,_ZN2at6native29vectorized_elementwise_kernelILi4ENS0_11FillFunctorIlEESt5arrayIPcLm1EEEEviT0_T1_,comdat
.Lfunc_end26:
	.size	_ZN2at6native29vectorized_elementwise_kernelILi4ENS0_11FillFunctorIlEESt5arrayIPcLm1EEEEviT0_T1_, .Lfunc_end26-_ZN2at6native29vectorized_elementwise_kernelILi4ENS0_11FillFunctorIlEESt5arrayIPcLm1EEEEviT0_T1_
                                        ; -- End function
	.section	.AMDGPU.csdata,"",@progbits
; Kernel info:
; codeLenInByte = 440
; NumSgprs: 20
; NumVgprs: 6
; NumAgprs: 0
; TotalNumVgprs: 6
; ScratchSize: 0
; MemoryBound: 0
; FloatMode: 240
; IeeeMode: 1
; LDSByteSize: 0 bytes/workgroup (compile time only)
; SGPRBlocks: 2
; VGPRBlocks: 0
; NumSGPRsForWavesPerEU: 20
; NumVGPRsForWavesPerEU: 6
; AccumOffset: 8
; Occupancy: 8
; WaveLimiterHint : 0
; COMPUTE_PGM_RSRC2:SCRATCH_EN: 0
; COMPUTE_PGM_RSRC2:USER_SGPR: 6
; COMPUTE_PGM_RSRC2:TRAP_HANDLER: 0
; COMPUTE_PGM_RSRC2:TGID_X_EN: 1
; COMPUTE_PGM_RSRC2:TGID_Y_EN: 0
; COMPUTE_PGM_RSRC2:TGID_Z_EN: 0
; COMPUTE_PGM_RSRC2:TIDIG_COMP_CNT: 0
; COMPUTE_PGM_RSRC3_GFX90A:ACCUM_OFFSET: 1
; COMPUTE_PGM_RSRC3_GFX90A:TG_SPLIT: 0
	.section	.text._ZN2at6native29vectorized_elementwise_kernelILi2ENS0_11FillFunctorIlEESt5arrayIPcLm1EEEEviT0_T1_,"axG",@progbits,_ZN2at6native29vectorized_elementwise_kernelILi2ENS0_11FillFunctorIlEESt5arrayIPcLm1EEEEviT0_T1_,comdat
	.protected	_ZN2at6native29vectorized_elementwise_kernelILi2ENS0_11FillFunctorIlEESt5arrayIPcLm1EEEEviT0_T1_ ; -- Begin function _ZN2at6native29vectorized_elementwise_kernelILi2ENS0_11FillFunctorIlEESt5arrayIPcLm1EEEEviT0_T1_
	.globl	_ZN2at6native29vectorized_elementwise_kernelILi2ENS0_11FillFunctorIlEESt5arrayIPcLm1EEEEviT0_T1_
	.p2align	8
	.type	_ZN2at6native29vectorized_elementwise_kernelILi2ENS0_11FillFunctorIlEESt5arrayIPcLm1EEEEviT0_T1_,@function
_ZN2at6native29vectorized_elementwise_kernelILi2ENS0_11FillFunctorIlEESt5arrayIPcLm1EEEEviT0_T1_: ; @_ZN2at6native29vectorized_elementwise_kernelILi2ENS0_11FillFunctorIlEESt5arrayIPcLm1EEEEviT0_T1_
; %bb.0:
	s_load_dword s7, s[4:5], 0x0
	s_load_dwordx4 s[0:3], s[4:5], 0x8
	s_lshl_b32 s4, s6, 10
	s_waitcnt lgkmcnt(0)
	s_sub_i32 s8, s7, s4
	s_cmpk_gt_i32 s8, 0x3ff
	s_mov_b64 s[6:7], -1
	s_cbranch_scc0 .LBB27_2
; %bb.1:
	s_ashr_i32 s5, s4, 31
	s_lshl_b64 s[6:7], s[4:5], 3
	s_add_u32 s6, s2, s6
	s_addc_u32 s7, s3, s7
	v_lshlrev_b32_e32 v1, 4, v0
	v_mov_b32_e32 v2, s7
	v_add_co_u32_e32 v6, vcc, s6, v1
	v_addc_co_u32_e32 v7, vcc, 0, v2, vcc
	s_mov_b32 s12, s0
	s_mov_b32 s13, s1
	;; [unrolled: 1-line block ×4, first 2 shown]
	v_pk_mov_b32 v[2:3], s[12:13], s[12:13] op_sel:[0,1]
	v_add_co_u32_e32 v6, vcc, 0x1000, v6
	v_pk_mov_b32 v[4:5], s[14:15], s[14:15] op_sel:[0,1]
	v_addc_co_u32_e32 v7, vcc, 0, v7, vcc
	global_store_dwordx4 v1, v[2:5], s[6:7]
	global_store_dwordx4 v[6:7], v[2:5], off
	s_mov_b64 s[6:7], 0
.LBB27_2:
	s_andn2_b64 vcc, exec, s[6:7]
	s_cbranch_vccnz .LBB27_8
; %bb.3:
	v_cmp_gt_i32_e32 vcc, s8, v0
	s_and_saveexec_b64 s[6:7], vcc
	s_cbranch_execnz .LBB27_9
; %bb.4:
	s_or_b64 exec, exec, s[6:7]
	v_cmp_gt_i32_e32 vcc, s8, v0
	s_and_saveexec_b64 s[6:7], vcc
	s_cbranch_execnz .LBB27_10
.LBB27_5:
	s_or_b64 exec, exec, s[6:7]
	v_cmp_gt_i32_e32 vcc, s8, v0
	s_and_saveexec_b64 s[6:7], vcc
	s_cbranch_execnz .LBB27_11
.LBB27_6:
	s_or_b64 exec, exec, s[6:7]
	v_cmp_gt_i32_e32 vcc, s8, v0
	s_and_saveexec_b64 s[6:7], vcc
	s_cbranch_execz .LBB27_8
.LBB27_7:
	v_add_u32_e32 v0, s4, v0
	v_mov_b32_e32 v1, 0
	v_lshlrev_b64 v[0:1], 3, v[0:1]
	v_mov_b32_e32 v4, s3
	v_add_co_u32_e32 v0, vcc, s2, v0
	v_mov_b32_e32 v3, s1
	v_mov_b32_e32 v2, s0
	v_addc_co_u32_e32 v1, vcc, v4, v1, vcc
	global_store_dwordx2 v[0:1], v[2:3], off
.LBB27_8:
	s_endpgm
.LBB27_9:
	v_or_b32_e32 v4, 0x100, v0
	v_or_b32_e32 v0, s4, v0
	v_mov_b32_e32 v1, 0
	v_lshlrev_b64 v[0:1], 3, v[0:1]
	v_mov_b32_e32 v5, s3
	v_add_co_u32_e32 v0, vcc, s2, v0
	v_mov_b32_e32 v3, s1
	v_mov_b32_e32 v2, s0
	v_addc_co_u32_e32 v1, vcc, v5, v1, vcc
	global_store_dwordx2 v[0:1], v[2:3], off
	v_mov_b32_e32 v0, v4
	s_or_b64 exec, exec, s[6:7]
	v_cmp_gt_i32_e32 vcc, s8, v0
	s_and_saveexec_b64 s[6:7], vcc
	s_cbranch_execz .LBB27_5
.LBB27_10:
	v_add_u32_e32 v4, s4, v0
	v_mov_b32_e32 v5, 0
	v_lshlrev_b64 v[4:5], 3, v[4:5]
	v_mov_b32_e32 v1, s3
	v_add_co_u32_e32 v4, vcc, s2, v4
	v_mov_b32_e32 v3, s1
	v_mov_b32_e32 v2, s0
	v_addc_co_u32_e32 v5, vcc, v1, v5, vcc
	v_add_u32_e32 v0, 0x100, v0
	global_store_dwordx2 v[4:5], v[2:3], off
	s_or_b64 exec, exec, s[6:7]
	v_cmp_gt_i32_e32 vcc, s8, v0
	s_and_saveexec_b64 s[6:7], vcc
	s_cbranch_execz .LBB27_6
.LBB27_11:
	v_add_u32_e32 v4, s4, v0
	v_mov_b32_e32 v5, 0
	v_lshlrev_b64 v[4:5], 3, v[4:5]
	v_mov_b32_e32 v1, s3
	v_add_co_u32_e32 v4, vcc, s2, v4
	v_mov_b32_e32 v3, s1
	v_mov_b32_e32 v2, s0
	v_addc_co_u32_e32 v5, vcc, v1, v5, vcc
	v_add_u32_e32 v0, 0x100, v0
	global_store_dwordx2 v[4:5], v[2:3], off
	s_or_b64 exec, exec, s[6:7]
	v_cmp_gt_i32_e32 vcc, s8, v0
	s_and_saveexec_b64 s[6:7], vcc
	s_cbranch_execnz .LBB27_7
	s_branch .LBB27_8
	.section	.rodata,"a",@progbits
	.p2align	6, 0x0
	.amdhsa_kernel _ZN2at6native29vectorized_elementwise_kernelILi2ENS0_11FillFunctorIlEESt5arrayIPcLm1EEEEviT0_T1_
		.amdhsa_group_segment_fixed_size 0
		.amdhsa_private_segment_fixed_size 0
		.amdhsa_kernarg_size 24
		.amdhsa_user_sgpr_count 6
		.amdhsa_user_sgpr_private_segment_buffer 1
		.amdhsa_user_sgpr_dispatch_ptr 0
		.amdhsa_user_sgpr_queue_ptr 0
		.amdhsa_user_sgpr_kernarg_segment_ptr 1
		.amdhsa_user_sgpr_dispatch_id 0
		.amdhsa_user_sgpr_flat_scratch_init 0
		.amdhsa_user_sgpr_kernarg_preload_length 0
		.amdhsa_user_sgpr_kernarg_preload_offset 0
		.amdhsa_user_sgpr_private_segment_size 0
		.amdhsa_uses_dynamic_stack 0
		.amdhsa_system_sgpr_private_segment_wavefront_offset 0
		.amdhsa_system_sgpr_workgroup_id_x 1
		.amdhsa_system_sgpr_workgroup_id_y 0
		.amdhsa_system_sgpr_workgroup_id_z 0
		.amdhsa_system_sgpr_workgroup_info 0
		.amdhsa_system_vgpr_workitem_id 0
		.amdhsa_next_free_vgpr 8
		.amdhsa_next_free_sgpr 16
		.amdhsa_accum_offset 8
		.amdhsa_reserve_vcc 1
		.amdhsa_reserve_flat_scratch 0
		.amdhsa_float_round_mode_32 0
		.amdhsa_float_round_mode_16_64 0
		.amdhsa_float_denorm_mode_32 3
		.amdhsa_float_denorm_mode_16_64 3
		.amdhsa_dx10_clamp 1
		.amdhsa_ieee_mode 1
		.amdhsa_fp16_overflow 0
		.amdhsa_tg_split 0
		.amdhsa_exception_fp_ieee_invalid_op 0
		.amdhsa_exception_fp_denorm_src 0
		.amdhsa_exception_fp_ieee_div_zero 0
		.amdhsa_exception_fp_ieee_overflow 0
		.amdhsa_exception_fp_ieee_underflow 0
		.amdhsa_exception_fp_ieee_inexact 0
		.amdhsa_exception_int_div_zero 0
	.end_amdhsa_kernel
	.section	.text._ZN2at6native29vectorized_elementwise_kernelILi2ENS0_11FillFunctorIlEESt5arrayIPcLm1EEEEviT0_T1_,"axG",@progbits,_ZN2at6native29vectorized_elementwise_kernelILi2ENS0_11FillFunctorIlEESt5arrayIPcLm1EEEEviT0_T1_,comdat
.Lfunc_end27:
	.size	_ZN2at6native29vectorized_elementwise_kernelILi2ENS0_11FillFunctorIlEESt5arrayIPcLm1EEEEviT0_T1_, .Lfunc_end27-_ZN2at6native29vectorized_elementwise_kernelILi2ENS0_11FillFunctorIlEESt5arrayIPcLm1EEEEviT0_T1_
                                        ; -- End function
	.section	.AMDGPU.csdata,"",@progbits
; Kernel info:
; codeLenInByte = 464
; NumSgprs: 20
; NumVgprs: 8
; NumAgprs: 0
; TotalNumVgprs: 8
; ScratchSize: 0
; MemoryBound: 0
; FloatMode: 240
; IeeeMode: 1
; LDSByteSize: 0 bytes/workgroup (compile time only)
; SGPRBlocks: 2
; VGPRBlocks: 0
; NumSGPRsForWavesPerEU: 20
; NumVGPRsForWavesPerEU: 8
; AccumOffset: 8
; Occupancy: 8
; WaveLimiterHint : 1
; COMPUTE_PGM_RSRC2:SCRATCH_EN: 0
; COMPUTE_PGM_RSRC2:USER_SGPR: 6
; COMPUTE_PGM_RSRC2:TRAP_HANDLER: 0
; COMPUTE_PGM_RSRC2:TGID_X_EN: 1
; COMPUTE_PGM_RSRC2:TGID_Y_EN: 0
; COMPUTE_PGM_RSRC2:TGID_Z_EN: 0
; COMPUTE_PGM_RSRC2:TIDIG_COMP_CNT: 0
; COMPUTE_PGM_RSRC3_GFX90A:ACCUM_OFFSET: 1
; COMPUTE_PGM_RSRC3_GFX90A:TG_SPLIT: 0
	.section	.text._ZN2at6native27unrolled_elementwise_kernelINS0_11FillFunctorIlEESt5arrayIPcLm1EELi4E23TrivialOffsetCalculatorILi0EjES7_ILi1EjENS0_6memory15LoadWithoutCastENSA_16StoreWithoutCastEEEviT_T0_T2_T3_T4_T5_,"axG",@progbits,_ZN2at6native27unrolled_elementwise_kernelINS0_11FillFunctorIlEESt5arrayIPcLm1EELi4E23TrivialOffsetCalculatorILi0EjES7_ILi1EjENS0_6memory15LoadWithoutCastENSA_16StoreWithoutCastEEEviT_T0_T2_T3_T4_T5_,comdat
	.protected	_ZN2at6native27unrolled_elementwise_kernelINS0_11FillFunctorIlEESt5arrayIPcLm1EELi4E23TrivialOffsetCalculatorILi0EjES7_ILi1EjENS0_6memory15LoadWithoutCastENSA_16StoreWithoutCastEEEviT_T0_T2_T3_T4_T5_ ; -- Begin function _ZN2at6native27unrolled_elementwise_kernelINS0_11FillFunctorIlEESt5arrayIPcLm1EELi4E23TrivialOffsetCalculatorILi0EjES7_ILi1EjENS0_6memory15LoadWithoutCastENSA_16StoreWithoutCastEEEviT_T0_T2_T3_T4_T5_
	.globl	_ZN2at6native27unrolled_elementwise_kernelINS0_11FillFunctorIlEESt5arrayIPcLm1EELi4E23TrivialOffsetCalculatorILi0EjES7_ILi1EjENS0_6memory15LoadWithoutCastENSA_16StoreWithoutCastEEEviT_T0_T2_T3_T4_T5_
	.p2align	8
	.type	_ZN2at6native27unrolled_elementwise_kernelINS0_11FillFunctorIlEESt5arrayIPcLm1EELi4E23TrivialOffsetCalculatorILi0EjES7_ILi1EjENS0_6memory15LoadWithoutCastENSA_16StoreWithoutCastEEEviT_T0_T2_T3_T4_T5_,@function
_ZN2at6native27unrolled_elementwise_kernelINS0_11FillFunctorIlEESt5arrayIPcLm1EELi4E23TrivialOffsetCalculatorILi0EjES7_ILi1EjENS0_6memory15LoadWithoutCastENSA_16StoreWithoutCastEEEviT_T0_T2_T3_T4_T5_: ; @_ZN2at6native27unrolled_elementwise_kernelINS0_11FillFunctorIlEESt5arrayIPcLm1EELi4E23TrivialOffsetCalculatorILi0EjES7_ILi1EjENS0_6memory15LoadWithoutCastENSA_16StoreWithoutCastEEEviT_T0_T2_T3_T4_T5_
; %bb.0:
	s_load_dword s0, s[4:5], 0x0
	s_load_dwordx4 s[8:11], s[4:5], 0x8
	s_lshl_b32 s2, s6, 10
	v_or_b32_e32 v1, 0x100, v0
	s_waitcnt lgkmcnt(0)
	s_sub_i32 s3, s0, s2
	v_mov_b32_e32 v2, s11
	v_mov_b32_e32 v3, s9
	v_cmp_gt_i32_e64 s[0:1], s3, v1
	v_cndmask_b32_e64 v3, v2, v3, s[0:1]
	v_mov_b32_e32 v2, s10
	v_mov_b32_e32 v4, s8
	v_cmp_gt_i32_e32 vcc, s3, v0
	v_cndmask_b32_e64 v2, v2, v4, s[0:1]
	s_and_saveexec_b64 s[0:1], vcc
	s_cbranch_execnz .LBB28_5
; %bb.1:
	s_or_b64 exec, exec, s[0:1]
	v_cmp_gt_i32_e32 vcc, s3, v0
	s_and_saveexec_b64 s[0:1], vcc
	s_cbranch_execnz .LBB28_6
.LBB28_2:
	s_or_b64 exec, exec, s[0:1]
	v_cmp_gt_i32_e32 vcc, s3, v0
	s_and_saveexec_b64 s[0:1], vcc
	s_cbranch_execnz .LBB28_7
.LBB28_3:
	s_or_b64 exec, exec, s[0:1]
	v_cmp_gt_i32_e32 vcc, s3, v0
	s_and_saveexec_b64 s[0:1], vcc
	s_cbranch_execnz .LBB28_8
.LBB28_4:
	s_endpgm
.LBB28_5:
	v_or_b32_e32 v4, s2, v0
	v_mov_b32_e32 v5, 0
	v_lshlrev_b64 v[4:5], 3, v[4:5]
	v_mov_b32_e32 v0, s11
	v_add_co_u32_e32 v4, vcc, s10, v4
	v_addc_co_u32_e32 v5, vcc, v0, v5, vcc
	v_mov_b32_e32 v7, s9
	v_mov_b32_e32 v6, s8
	;; [unrolled: 1-line block ×3, first 2 shown]
	global_store_dwordx2 v[4:5], v[6:7], off
	s_or_b64 exec, exec, s[0:1]
	v_cmp_gt_i32_e32 vcc, s3, v0
	s_and_saveexec_b64 s[0:1], vcc
	s_cbranch_execz .LBB28_2
.LBB28_6:
	v_add_u32_e32 v4, 0x100, v0
	v_add_u32_e32 v0, s2, v0
	v_mov_b32_e32 v1, 0
	v_lshlrev_b64 v[0:1], 3, v[0:1]
	v_mov_b32_e32 v5, s11
	v_add_co_u32_e32 v0, vcc, s10, v0
	v_addc_co_u32_e32 v1, vcc, v5, v1, vcc
	global_store_dwordx2 v[0:1], v[2:3], off
	v_mov_b32_e32 v0, v4
	s_or_b64 exec, exec, s[0:1]
	v_cmp_gt_i32_e32 vcc, s3, v0
	s_and_saveexec_b64 s[0:1], vcc
	s_cbranch_execz .LBB28_3
.LBB28_7:
	v_add_u32_e32 v4, 0x100, v0
	v_add_u32_e32 v0, s2, v0
	v_mov_b32_e32 v1, 0
	v_lshlrev_b64 v[0:1], 3, v[0:1]
	v_mov_b32_e32 v2, s11
	v_add_co_u32_e32 v0, vcc, s10, v0
	v_addc_co_u32_e32 v1, vcc, v2, v1, vcc
	v_mov_b32_e32 v3, s9
	v_mov_b32_e32 v2, s8
	global_store_dwordx2 v[0:1], v[2:3], off
	v_mov_b32_e32 v0, v4
	s_or_b64 exec, exec, s[0:1]
	v_cmp_gt_i32_e32 vcc, s3, v0
	s_and_saveexec_b64 s[0:1], vcc
	s_cbranch_execz .LBB28_4
.LBB28_8:
	v_add_u32_e32 v0, s2, v0
	v_mov_b32_e32 v1, 0
	v_lshlrev_b64 v[0:1], 3, v[0:1]
	v_mov_b32_e32 v2, s11
	v_add_co_u32_e32 v0, vcc, s10, v0
	v_addc_co_u32_e32 v1, vcc, v2, v1, vcc
	v_mov_b32_e32 v3, s9
	v_mov_b32_e32 v2, s8
	global_store_dwordx2 v[0:1], v[2:3], off
	s_endpgm
	.section	.rodata,"a",@progbits
	.p2align	6, 0x0
	.amdhsa_kernel _ZN2at6native27unrolled_elementwise_kernelINS0_11FillFunctorIlEESt5arrayIPcLm1EELi4E23TrivialOffsetCalculatorILi0EjES7_ILi1EjENS0_6memory15LoadWithoutCastENSA_16StoreWithoutCastEEEviT_T0_T2_T3_T4_T5_
		.amdhsa_group_segment_fixed_size 0
		.amdhsa_private_segment_fixed_size 0
		.amdhsa_kernarg_size 28
		.amdhsa_user_sgpr_count 6
		.amdhsa_user_sgpr_private_segment_buffer 1
		.amdhsa_user_sgpr_dispatch_ptr 0
		.amdhsa_user_sgpr_queue_ptr 0
		.amdhsa_user_sgpr_kernarg_segment_ptr 1
		.amdhsa_user_sgpr_dispatch_id 0
		.amdhsa_user_sgpr_flat_scratch_init 0
		.amdhsa_user_sgpr_kernarg_preload_length 0
		.amdhsa_user_sgpr_kernarg_preload_offset 0
		.amdhsa_user_sgpr_private_segment_size 0
		.amdhsa_uses_dynamic_stack 0
		.amdhsa_system_sgpr_private_segment_wavefront_offset 0
		.amdhsa_system_sgpr_workgroup_id_x 1
		.amdhsa_system_sgpr_workgroup_id_y 0
		.amdhsa_system_sgpr_workgroup_id_z 0
		.amdhsa_system_sgpr_workgroup_info 0
		.amdhsa_system_vgpr_workitem_id 0
		.amdhsa_next_free_vgpr 8
		.amdhsa_next_free_sgpr 12
		.amdhsa_accum_offset 8
		.amdhsa_reserve_vcc 1
		.amdhsa_reserve_flat_scratch 0
		.amdhsa_float_round_mode_32 0
		.amdhsa_float_round_mode_16_64 0
		.amdhsa_float_denorm_mode_32 3
		.amdhsa_float_denorm_mode_16_64 3
		.amdhsa_dx10_clamp 1
		.amdhsa_ieee_mode 1
		.amdhsa_fp16_overflow 0
		.amdhsa_tg_split 0
		.amdhsa_exception_fp_ieee_invalid_op 0
		.amdhsa_exception_fp_denorm_src 0
		.amdhsa_exception_fp_ieee_div_zero 0
		.amdhsa_exception_fp_ieee_overflow 0
		.amdhsa_exception_fp_ieee_underflow 0
		.amdhsa_exception_fp_ieee_inexact 0
		.amdhsa_exception_int_div_zero 0
	.end_amdhsa_kernel
	.section	.text._ZN2at6native27unrolled_elementwise_kernelINS0_11FillFunctorIlEESt5arrayIPcLm1EELi4E23TrivialOffsetCalculatorILi0EjES7_ILi1EjENS0_6memory15LoadWithoutCastENSA_16StoreWithoutCastEEEviT_T0_T2_T3_T4_T5_,"axG",@progbits,_ZN2at6native27unrolled_elementwise_kernelINS0_11FillFunctorIlEESt5arrayIPcLm1EELi4E23TrivialOffsetCalculatorILi0EjES7_ILi1EjENS0_6memory15LoadWithoutCastENSA_16StoreWithoutCastEEEviT_T0_T2_T3_T4_T5_,comdat
.Lfunc_end28:
	.size	_ZN2at6native27unrolled_elementwise_kernelINS0_11FillFunctorIlEESt5arrayIPcLm1EELi4E23TrivialOffsetCalculatorILi0EjES7_ILi1EjENS0_6memory15LoadWithoutCastENSA_16StoreWithoutCastEEEviT_T0_T2_T3_T4_T5_, .Lfunc_end28-_ZN2at6native27unrolled_elementwise_kernelINS0_11FillFunctorIlEESt5arrayIPcLm1EELi4E23TrivialOffsetCalculatorILi0EjES7_ILi1EjENS0_6memory15LoadWithoutCastENSA_16StoreWithoutCastEEEviT_T0_T2_T3_T4_T5_
                                        ; -- End function
	.section	.AMDGPU.csdata,"",@progbits
; Kernel info:
; codeLenInByte = 388
; NumSgprs: 16
; NumVgprs: 8
; NumAgprs: 0
; TotalNumVgprs: 8
; ScratchSize: 0
; MemoryBound: 0
; FloatMode: 240
; IeeeMode: 1
; LDSByteSize: 0 bytes/workgroup (compile time only)
; SGPRBlocks: 1
; VGPRBlocks: 0
; NumSGPRsForWavesPerEU: 16
; NumVGPRsForWavesPerEU: 8
; AccumOffset: 8
; Occupancy: 8
; WaveLimiterHint : 0
; COMPUTE_PGM_RSRC2:SCRATCH_EN: 0
; COMPUTE_PGM_RSRC2:USER_SGPR: 6
; COMPUTE_PGM_RSRC2:TRAP_HANDLER: 0
; COMPUTE_PGM_RSRC2:TGID_X_EN: 1
; COMPUTE_PGM_RSRC2:TGID_Y_EN: 0
; COMPUTE_PGM_RSRC2:TGID_Z_EN: 0
; COMPUTE_PGM_RSRC2:TIDIG_COMP_CNT: 0
; COMPUTE_PGM_RSRC3_GFX90A:ACCUM_OFFSET: 1
; COMPUTE_PGM_RSRC3_GFX90A:TG_SPLIT: 0
	.section	.text._ZN2at6native32elementwise_kernel_manual_unrollILi128ELi4EZNS0_22gpu_kernel_impl_nocastINS0_11FillFunctorIlEEEEvRNS_18TensorIteratorBaseERKT_EUlibE_EEviT1_,"axG",@progbits,_ZN2at6native32elementwise_kernel_manual_unrollILi128ELi4EZNS0_22gpu_kernel_impl_nocastINS0_11FillFunctorIlEEEEvRNS_18TensorIteratorBaseERKT_EUlibE_EEviT1_,comdat
	.protected	_ZN2at6native32elementwise_kernel_manual_unrollILi128ELi4EZNS0_22gpu_kernel_impl_nocastINS0_11FillFunctorIlEEEEvRNS_18TensorIteratorBaseERKT_EUlibE_EEviT1_ ; -- Begin function _ZN2at6native32elementwise_kernel_manual_unrollILi128ELi4EZNS0_22gpu_kernel_impl_nocastINS0_11FillFunctorIlEEEEvRNS_18TensorIteratorBaseERKT_EUlibE_EEviT1_
	.globl	_ZN2at6native32elementwise_kernel_manual_unrollILi128ELi4EZNS0_22gpu_kernel_impl_nocastINS0_11FillFunctorIlEEEEvRNS_18TensorIteratorBaseERKT_EUlibE_EEviT1_
	.p2align	8
	.type	_ZN2at6native32elementwise_kernel_manual_unrollILi128ELi4EZNS0_22gpu_kernel_impl_nocastINS0_11FillFunctorIlEEEEvRNS_18TensorIteratorBaseERKT_EUlibE_EEviT1_,@function
_ZN2at6native32elementwise_kernel_manual_unrollILi128ELi4EZNS0_22gpu_kernel_impl_nocastINS0_11FillFunctorIlEEEEvRNS_18TensorIteratorBaseERKT_EUlibE_EEviT1_: ; @_ZN2at6native32elementwise_kernel_manual_unrollILi128ELi4EZNS0_22gpu_kernel_impl_nocastINS0_11FillFunctorIlEEEEvRNS_18TensorIteratorBaseERKT_EUlibE_EEviT1_
; %bb.0:
	s_load_dword s49, s[4:5], 0x0
	s_load_dword s33, s[4:5], 0x8
	s_or_b32 s4, s4, 8
	v_lshl_or_b32 v4, s6, 9, v0
	v_or_b32_e32 v8, 0x180, v4
	s_waitcnt lgkmcnt(0)
	v_cmp_le_i32_e32 vcc, s49, v8
	s_add_i32 s48, s33, -1
	s_cmp_gt_u32 s48, 1
	s_cselect_b64 s[6:7], -1, 0
	s_and_saveexec_b64 s[0:1], vcc
	s_xor_b64 s[28:29], exec, s[0:1]
	s_cbranch_execz .LBB29_7
; %bb.1:
	s_load_dwordx4 s[16:19], s[4:5], 0x4
	s_load_dwordx2 s[34:35], s[4:5], 0x14
	s_load_dwordx2 s[30:31], s[4:5], 0xc4
	s_load_dwordx4 s[0:3], s[4:5], 0x108
	s_cmp_lg_u32 s33, 0
	s_cselect_b64 s[40:41], -1, 0
	s_add_u32 s38, s4, 0xc4
	s_addc_u32 s39, s5, 0
	s_min_u32 s50, s48, 15
	s_cmp_gt_u32 s33, 1
	s_cselect_b64 s[36:37], -1, 0
	v_cmp_gt_i32_e32 vcc, s49, v4
	s_and_saveexec_b64 s[42:43], vcc
	s_cbranch_execz .LBB29_14
; %bb.2:
	s_andn2_b64 vcc, exec, s[6:7]
	s_cbranch_vccnz .LBB29_21
; %bb.3:
	s_andn2_b64 vcc, exec, s[40:41]
	s_cbranch_vccnz .LBB29_69
; %bb.4:
	s_add_i32 s52, s50, 1
	s_mov_b32 s51, 0
	s_cmp_eq_u32 s48, 2
	v_mov_b32_e32 v0, 0
	s_cbranch_scc1 .LBB29_71
; %bb.5:
	s_and_b32 s51, s52, 28
	s_mov_b32 s53, 0
	v_mov_b32_e32 v0, 0
	s_mov_b64 s[44:45], s[4:5]
	s_mov_b64 s[46:47], s[38:39]
	v_mov_b32_e32 v2, v4
.LBB29_6:                               ; =>This Inner Loop Header: Depth=1
	s_load_dwordx8 s[8:15], s[44:45], 0x4
	s_load_dwordx4 s[20:23], s[44:45], 0x24
	s_load_dwordx4 s[24:27], s[46:47], 0x0
	s_add_u32 s44, s44, 48
	s_addc_u32 s45, s45, 0
	s_waitcnt lgkmcnt(0)
	v_mul_hi_u32 v1, s9, v2
	v_add_u32_e32 v1, v2, v1
	v_lshrrev_b32_e32 v1, s10, v1
	v_mul_lo_u32 v3, v1, s8
	v_mul_hi_u32 v5, s12, v1
	v_sub_u32_e32 v2, v2, v3
	v_add_u32_e32 v3, v1, v5
	v_lshrrev_b32_e32 v3, s13, v3
	v_mul_lo_u32 v5, v3, s11
	v_mul_hi_u32 v6, s15, v3
	v_sub_u32_e32 v1, v1, v5
	v_add_u32_e32 v5, v3, v6
	v_mul_lo_u32 v2, v2, s24
	v_mul_lo_u32 v1, v1, s25
	v_lshrrev_b32_e32 v5, s20, v5
	v_add3_u32 v0, v2, v0, v1
	v_mul_hi_u32 v2, s22, v5
	v_add_u32_e32 v2, v5, v2
	v_mul_lo_u32 v1, v5, s14
	v_lshrrev_b32_e32 v2, s23, v2
	s_add_i32 s53, s53, 4
	v_sub_u32_e32 v1, v3, v1
	v_mul_lo_u32 v3, v2, s21
	s_add_u32 s46, s46, 16
	v_sub_u32_e32 v3, v5, v3
	s_addc_u32 s47, s47, 0
	v_mul_lo_u32 v1, v1, s26
	v_mul_lo_u32 v3, v3, s27
	s_cmp_lg_u32 s51, s53
	v_add3_u32 v0, v1, v0, v3
	s_cbranch_scc1 .LBB29_6
	s_branch .LBB29_72
.LBB29_7:
	s_andn2_saveexec_b64 s[0:1], s[28:29]
	s_cbranch_execz .LBB29_97
.LBB29_8:
	v_cndmask_b32_e64 v0, 0, 1, s[6:7]
	v_cmp_ne_u32_e64 s[0:1], 1, v0
	s_andn2_b64 vcc, exec, s[6:7]
	s_cbranch_vccnz .LBB29_20
; %bb.9:
	s_mov_b32 s24, 0
	s_cmp_eq_u32 s33, 0
	v_mov_b32_e32 v0, 0
	s_cbranch_scc1 .LBB29_26
; %bb.10:
	s_min_u32 s25, s48, 15
	s_add_i32 s25, s25, 1
	s_cmp_eq_u32 s48, 2
	v_mov_b32_e32 v0, 0
	s_cbranch_scc1 .LBB29_23
; %bb.11:
	s_add_u32 s2, s4, 0xc4
	s_addc_u32 s3, s5, 0
	s_and_b32 s24, s25, 28
	s_mov_b32 s26, 0
	v_mov_b32_e32 v0, 0
	s_mov_b64 s[6:7], s[4:5]
	v_mov_b32_e32 v2, v4
.LBB29_12:                              ; =>This Inner Loop Header: Depth=1
	s_load_dwordx8 s[8:15], s[6:7], 0x4
	s_load_dwordx4 s[16:19], s[6:7], 0x24
	s_load_dwordx4 s[20:23], s[2:3], 0x0
	s_add_u32 s6, s6, 48
	s_addc_u32 s7, s7, 0
	s_waitcnt lgkmcnt(0)
	v_mul_hi_u32 v1, s9, v2
	v_add_u32_e32 v1, v2, v1
	v_lshrrev_b32_e32 v1, s10, v1
	v_mul_lo_u32 v3, v1, s8
	v_mul_hi_u32 v5, s12, v1
	v_sub_u32_e32 v2, v2, v3
	v_add_u32_e32 v3, v1, v5
	v_lshrrev_b32_e32 v3, s13, v3
	v_mul_lo_u32 v5, v3, s11
	v_mul_hi_u32 v6, s15, v3
	v_sub_u32_e32 v1, v1, v5
	v_add_u32_e32 v5, v3, v6
	v_mul_lo_u32 v2, v2, s20
	v_mul_lo_u32 v1, v1, s21
	v_lshrrev_b32_e32 v5, s16, v5
	v_add3_u32 v0, v2, v0, v1
	v_mul_hi_u32 v2, s18, v5
	v_add_u32_e32 v2, v5, v2
	v_mul_lo_u32 v1, v5, s14
	v_lshrrev_b32_e32 v2, s19, v2
	s_add_i32 s26, s26, 4
	v_sub_u32_e32 v1, v3, v1
	v_mul_lo_u32 v3, v2, s17
	s_add_u32 s2, s2, 16
	v_sub_u32_e32 v3, v5, v3
	s_addc_u32 s3, s3, 0
	v_mul_lo_u32 v1, v1, s22
	v_mul_lo_u32 v3, v3, s23
	s_cmp_lg_u32 s24, s26
	v_add3_u32 v0, v1, v0, v3
	s_cbranch_scc1 .LBB29_12
; %bb.13:
	s_and_b32 s8, s25, 3
	s_cmp_eq_u32 s8, 0
	s_cbranch_scc0 .LBB29_24
	s_branch .LBB29_26
.LBB29_14:
	s_or_b64 exec, exec, s[42:43]
	v_cmp_gt_i32_e32 vcc, s49, v4
	s_and_saveexec_b64 s[42:43], vcc
	s_cbranch_execz .LBB29_79
.LBB29_15:
	s_andn2_b64 vcc, exec, s[6:7]
	s_cbranch_vccnz .LBB29_22
; %bb.16:
	s_andn2_b64 vcc, exec, s[40:41]
	s_cbranch_vccnz .LBB29_70
; %bb.17:
	s_add_i32 s52, s50, 1
	s_mov_b32 s51, 0
	s_cmp_eq_u32 s48, 2
	v_mov_b32_e32 v0, 0
	s_cbranch_scc1 .LBB29_87
; %bb.18:
	s_and_b32 s51, s52, 28
	s_mov_b32 s53, 0
	v_mov_b32_e32 v0, 0
	s_mov_b64 s[44:45], s[4:5]
	s_mov_b64 s[46:47], s[38:39]
	v_mov_b32_e32 v2, v4
.LBB29_19:                              ; =>This Inner Loop Header: Depth=1
	s_load_dwordx8 s[8:15], s[44:45], 0x4
	s_load_dwordx4 s[20:23], s[44:45], 0x24
	s_load_dwordx4 s[24:27], s[46:47], 0x0
	s_add_u32 s44, s44, 48
	s_addc_u32 s45, s45, 0
	s_waitcnt lgkmcnt(0)
	v_mul_hi_u32 v1, s9, v2
	v_add_u32_e32 v1, v2, v1
	v_lshrrev_b32_e32 v1, s10, v1
	v_mul_lo_u32 v3, v1, s8
	v_mul_hi_u32 v5, s12, v1
	v_sub_u32_e32 v2, v2, v3
	v_add_u32_e32 v3, v1, v5
	v_lshrrev_b32_e32 v3, s13, v3
	v_mul_lo_u32 v5, v3, s11
	v_mul_hi_u32 v6, s15, v3
	v_sub_u32_e32 v1, v1, v5
	v_add_u32_e32 v5, v3, v6
	v_mul_lo_u32 v2, v2, s24
	v_mul_lo_u32 v1, v1, s25
	v_lshrrev_b32_e32 v5, s20, v5
	v_add3_u32 v0, v2, v0, v1
	v_mul_hi_u32 v2, s22, v5
	v_add_u32_e32 v2, v5, v2
	v_mul_lo_u32 v1, v5, s14
	v_lshrrev_b32_e32 v2, s23, v2
	s_add_i32 s53, s53, 4
	v_sub_u32_e32 v1, v3, v1
	v_mul_lo_u32 v3, v2, s21
	s_add_u32 s46, s46, 16
	v_sub_u32_e32 v3, v5, v3
	s_addc_u32 s47, s47, 0
	v_mul_lo_u32 v1, v1, s26
	v_mul_lo_u32 v3, v3, s27
	s_cmp_eq_u32 s51, s53
	v_add3_u32 v0, v1, v0, v3
	s_cbranch_scc0 .LBB29_19
	s_branch .LBB29_88
.LBB29_20:
                                        ; implicit-def: $vgpr0
	s_branch .LBB29_27
.LBB29_21:
                                        ; implicit-def: $vgpr0
	s_branch .LBB29_76
.LBB29_22:
                                        ; implicit-def: $vgpr0
	s_branch .LBB29_92
.LBB29_23:
	v_mov_b32_e32 v2, v4
	s_and_b32 s8, s25, 3
	s_cmp_eq_u32 s8, 0
	s_cbranch_scc1 .LBB29_26
.LBB29_24:
	s_lshl_b32 s2, s24, 2
	s_add_u32 s2, s2, s4
	s_addc_u32 s3, 0, s5
	s_add_u32 s2, s2, 0xc4
	s_addc_u32 s3, s3, 0
	s_mul_i32 s6, s24, 12
	s_add_u32 s6, s4, s6
	s_addc_u32 s7, 0, s5
.LBB29_25:                              ; =>This Inner Loop Header: Depth=1
	s_load_dwordx2 s[10:11], s[6:7], 0x4
	s_load_dword s9, s[6:7], 0xc
	s_load_dword s12, s[2:3], 0x0
	s_add_u32 s6, s6, 12
	s_addc_u32 s7, s7, 0
	s_waitcnt lgkmcnt(0)
	v_mul_hi_u32 v1, s11, v2
	v_add_u32_e32 v1, v2, v1
	v_lshrrev_b32_e32 v1, s9, v1
	s_add_u32 s2, s2, 4
	v_mul_lo_u32 v3, v1, s10
	s_addc_u32 s3, s3, 0
	s_add_i32 s8, s8, -1
	v_sub_u32_e32 v3, v2, v3
	s_cmp_lg_u32 s8, 0
	v_mov_b32_e32 v2, v1
	v_mad_u64_u32 v[0:1], s[10:11], v3, s12, v[0:1]
	s_cbranch_scc1 .LBB29_25
.LBB29_26:
	s_cbranch_execnz .LBB29_29
.LBB29_27:
	s_load_dwordx4 s[8:11], s[4:5], 0x4
	s_load_dword s2, s[4:5], 0xc4
	s_cmp_lt_u32 s33, 2
	s_waitcnt lgkmcnt(0)
	v_mul_hi_u32 v0, s9, v4
	v_add_u32_e32 v0, v4, v0
	v_lshrrev_b32_e32 v1, s10, v0
	v_mul_lo_u32 v0, v1, s8
	v_sub_u32_e32 v0, v4, v0
	v_mul_lo_u32 v0, v0, s2
	s_cbranch_scc1 .LBB29_29
; %bb.28:
	s_load_dwordx4 s[8:11], s[4:5], 0x10
	s_load_dword s2, s[4:5], 0xc8
	s_waitcnt lgkmcnt(0)
	v_mul_hi_u32 v2, s9, v1
	v_add_u32_e32 v2, v1, v2
	v_lshrrev_b32_e32 v2, s10, v2
	v_mul_lo_u32 v2, v2, s8
	v_sub_u32_e32 v1, v1, v2
	v_mad_u64_u32 v[0:1], s[2:3], v1, s2, v[0:1]
.LBB29_29:
	s_and_b64 vcc, exec, s[0:1]
	v_add_u32_e32 v1, 0x80, v4
	s_cbranch_vccnz .LBB29_35
; %bb.30:
	s_mov_b32 s24, 0
	s_cmp_eq_u32 s33, 0
	v_mov_b32_e32 v2, 0
	s_cbranch_scc1 .LBB29_39
; %bb.31:
	s_min_u32 s25, s48, 15
	s_add_i32 s25, s25, 1
	s_cmp_eq_u32 s48, 2
	v_mov_b32_e32 v2, 0
	s_cbranch_scc1 .LBB29_36
; %bb.32:
	s_add_u32 s2, s4, 0xc4
	s_addc_u32 s3, s5, 0
	s_and_b32 s24, s25, 28
	s_mov_b32 s26, 0
	v_mov_b32_e32 v2, 0
	s_mov_b64 s[6:7], s[4:5]
	v_mov_b32_e32 v5, v1
.LBB29_33:                              ; =>This Inner Loop Header: Depth=1
	s_load_dwordx8 s[8:15], s[6:7], 0x4
	s_load_dwordx4 s[16:19], s[6:7], 0x24
	s_load_dwordx4 s[20:23], s[2:3], 0x0
	s_add_u32 s6, s6, 48
	s_addc_u32 s7, s7, 0
	s_waitcnt lgkmcnt(0)
	v_mul_hi_u32 v3, s9, v5
	v_add_u32_e32 v3, v5, v3
	v_lshrrev_b32_e32 v3, s10, v3
	v_mul_lo_u32 v6, v3, s8
	v_mul_hi_u32 v7, s12, v3
	v_sub_u32_e32 v5, v5, v6
	v_add_u32_e32 v6, v3, v7
	v_lshrrev_b32_e32 v6, s13, v6
	v_mul_lo_u32 v7, v6, s11
	v_mul_hi_u32 v9, s15, v6
	v_sub_u32_e32 v3, v3, v7
	v_add_u32_e32 v7, v6, v9
	v_mul_lo_u32 v5, v5, s20
	v_mul_lo_u32 v3, v3, s21
	v_lshrrev_b32_e32 v7, s16, v7
	v_add3_u32 v2, v5, v2, v3
	v_mul_hi_u32 v5, s18, v7
	v_add_u32_e32 v5, v7, v5
	v_mul_lo_u32 v3, v7, s14
	v_lshrrev_b32_e32 v5, s19, v5
	s_add_i32 s26, s26, 4
	v_sub_u32_e32 v3, v6, v3
	v_mul_lo_u32 v6, v5, s17
	s_add_u32 s2, s2, 16
	v_sub_u32_e32 v6, v7, v6
	s_addc_u32 s3, s3, 0
	v_mul_lo_u32 v3, v3, s22
	v_mul_lo_u32 v6, v6, s23
	s_cmp_lg_u32 s24, s26
	v_add3_u32 v2, v3, v2, v6
	s_cbranch_scc1 .LBB29_33
; %bb.34:
	s_and_b32 s8, s25, 3
	s_cmp_eq_u32 s8, 0
	s_cbranch_scc0 .LBB29_37
	s_branch .LBB29_39
.LBB29_35:
                                        ; implicit-def: $vgpr2
	s_branch .LBB29_40
.LBB29_36:
	v_mov_b32_e32 v5, v1
	s_and_b32 s8, s25, 3
	s_cmp_eq_u32 s8, 0
	s_cbranch_scc1 .LBB29_39
.LBB29_37:
	s_lshl_b32 s2, s24, 2
	s_add_u32 s2, s2, s4
	s_addc_u32 s3, 0, s5
	s_add_u32 s2, s2, 0xc4
	s_addc_u32 s3, s3, 0
	s_mul_i32 s6, s24, 12
	s_add_u32 s6, s4, s6
	s_addc_u32 s7, 0, s5
.LBB29_38:                              ; =>This Inner Loop Header: Depth=1
	s_load_dwordx2 s[10:11], s[6:7], 0x4
	s_load_dword s9, s[6:7], 0xc
	s_load_dword s12, s[2:3], 0x0
	s_add_u32 s6, s6, 12
	s_addc_u32 s7, s7, 0
	s_waitcnt lgkmcnt(0)
	v_mul_hi_u32 v3, s11, v5
	v_add_u32_e32 v3, v5, v3
	v_lshrrev_b32_e32 v3, s9, v3
	s_add_u32 s2, s2, 4
	v_mul_lo_u32 v6, v3, s10
	s_addc_u32 s3, s3, 0
	s_add_i32 s8, s8, -1
	v_sub_u32_e32 v6, v5, v6
	s_cmp_lg_u32 s8, 0
	v_mov_b32_e32 v5, v3
	v_mad_u64_u32 v[2:3], s[10:11], v6, s12, v[2:3]
	s_cbranch_scc1 .LBB29_38
.LBB29_39:
	s_cbranch_execnz .LBB29_42
.LBB29_40:
	s_load_dwordx4 s[8:11], s[4:5], 0x4
	s_load_dword s2, s[4:5], 0xc4
	s_cmp_lt_u32 s33, 2
	s_waitcnt lgkmcnt(0)
	v_mul_hi_u32 v2, s9, v1
	v_add_u32_e32 v2, v1, v2
	v_lshrrev_b32_e32 v3, s10, v2
	v_mul_lo_u32 v2, v3, s8
	v_sub_u32_e32 v1, v1, v2
	v_mul_lo_u32 v2, v1, s2
	s_cbranch_scc1 .LBB29_42
; %bb.41:
	s_load_dwordx4 s[8:11], s[4:5], 0x10
	s_load_dword s2, s[4:5], 0xc8
	s_waitcnt lgkmcnt(0)
	v_mul_hi_u32 v1, s9, v3
	v_add_u32_e32 v1, v3, v1
	v_lshrrev_b32_e32 v1, s10, v1
	v_mul_lo_u32 v1, v1, s8
	v_sub_u32_e32 v1, v3, v1
	v_mad_u64_u32 v[2:3], s[2:3], v1, s2, v[2:3]
.LBB29_42:
	s_and_b64 vcc, exec, s[0:1]
	v_add_u32_e32 v1, 0x100, v4
	s_cbranch_vccnz .LBB29_48
; %bb.43:
	s_mov_b32 s24, 0
	s_cmp_eq_u32 s33, 0
	v_mov_b32_e32 v4, 0
	s_cbranch_scc1 .LBB29_52
; %bb.44:
	s_min_u32 s25, s48, 15
	s_add_i32 s25, s25, 1
	s_cmp_eq_u32 s48, 2
	v_mov_b32_e32 v4, 0
	s_cbranch_scc1 .LBB29_49
; %bb.45:
	s_add_u32 s2, s4, 0xc4
	s_addc_u32 s3, s5, 0
	s_and_b32 s24, s25, 28
	s_mov_b32 s26, 0
	v_mov_b32_e32 v4, 0
	s_mov_b64 s[6:7], s[4:5]
	v_mov_b32_e32 v3, v1
.LBB29_46:                              ; =>This Inner Loop Header: Depth=1
	s_load_dwordx8 s[8:15], s[6:7], 0x4
	s_load_dwordx4 s[16:19], s[6:7], 0x24
	s_load_dwordx4 s[20:23], s[2:3], 0x0
	s_add_u32 s6, s6, 48
	s_addc_u32 s7, s7, 0
	s_waitcnt lgkmcnt(0)
	v_mul_hi_u32 v5, s9, v3
	v_add_u32_e32 v5, v3, v5
	v_lshrrev_b32_e32 v5, s10, v5
	v_mul_lo_u32 v6, v5, s8
	v_mul_hi_u32 v7, s12, v5
	v_sub_u32_e32 v3, v3, v6
	v_add_u32_e32 v6, v5, v7
	v_lshrrev_b32_e32 v6, s13, v6
	v_mul_lo_u32 v7, v6, s11
	v_mul_hi_u32 v9, s15, v6
	v_sub_u32_e32 v5, v5, v7
	v_add_u32_e32 v7, v6, v9
	v_mul_lo_u32 v3, v3, s20
	v_mul_lo_u32 v5, v5, s21
	v_lshrrev_b32_e32 v7, s16, v7
	v_add3_u32 v4, v3, v4, v5
	v_mul_lo_u32 v3, v7, s14
	v_mul_hi_u32 v5, s18, v7
	v_sub_u32_e32 v3, v6, v3
	v_add_u32_e32 v5, v7, v5
	v_mul_lo_u32 v6, v3, s22
	v_lshrrev_b32_e32 v3, s19, v5
	s_add_i32 s26, s26, 4
	v_mul_lo_u32 v5, v3, s17
	s_add_u32 s2, s2, 16
	v_sub_u32_e32 v5, v7, v5
	s_addc_u32 s3, s3, 0
	v_mul_lo_u32 v5, v5, s23
	s_cmp_lg_u32 s24, s26
	v_add3_u32 v4, v6, v4, v5
	s_cbranch_scc1 .LBB29_46
; %bb.47:
	s_and_b32 s8, s25, 3
	s_cmp_eq_u32 s8, 0
	s_cbranch_scc0 .LBB29_50
	s_branch .LBB29_52
.LBB29_48:
                                        ; implicit-def: $vgpr4
	s_branch .LBB29_53
.LBB29_49:
	v_mov_b32_e32 v3, v1
	s_and_b32 s8, s25, 3
	s_cmp_eq_u32 s8, 0
	s_cbranch_scc1 .LBB29_52
.LBB29_50:
	s_lshl_b32 s2, s24, 2
	s_add_u32 s2, s2, s4
	s_addc_u32 s3, 0, s5
	s_add_u32 s2, s2, 0xc4
	s_addc_u32 s3, s3, 0
	s_mul_i32 s6, s24, 12
	s_add_u32 s6, s4, s6
	s_addc_u32 s7, 0, s5
.LBB29_51:                              ; =>This Inner Loop Header: Depth=1
	s_load_dwordx2 s[10:11], s[6:7], 0x4
	s_load_dword s9, s[6:7], 0xc
	s_load_dword s12, s[2:3], 0x0
	s_add_u32 s6, s6, 12
	s_addc_u32 s7, s7, 0
	s_waitcnt lgkmcnt(0)
	v_mul_hi_u32 v5, s11, v3
	v_add_u32_e32 v5, v3, v5
	v_lshrrev_b32_e32 v5, s9, v5
	s_add_u32 s2, s2, 4
	v_mul_lo_u32 v6, v5, s10
	s_addc_u32 s3, s3, 0
	s_add_i32 s8, s8, -1
	v_sub_u32_e32 v6, v3, v6
	s_cmp_lg_u32 s8, 0
	v_mov_b32_e32 v3, v5
	v_mad_u64_u32 v[4:5], s[10:11], v6, s12, v[4:5]
	s_cbranch_scc1 .LBB29_51
.LBB29_52:
	s_cbranch_execnz .LBB29_55
.LBB29_53:
	s_load_dwordx4 s[8:11], s[4:5], 0x4
	s_load_dword s2, s[4:5], 0xc4
	s_cmp_lt_u32 s33, 2
	s_waitcnt lgkmcnt(0)
	v_mul_hi_u32 v3, s9, v1
	v_add_u32_e32 v3, v1, v3
	v_lshrrev_b32_e32 v3, s10, v3
	v_mul_lo_u32 v4, v3, s8
	v_sub_u32_e32 v1, v1, v4
	v_mul_lo_u32 v4, v1, s2
	s_cbranch_scc1 .LBB29_55
; %bb.54:
	s_load_dwordx4 s[8:11], s[4:5], 0x10
	s_load_dword s2, s[4:5], 0xc8
	s_waitcnt lgkmcnt(0)
	v_mul_hi_u32 v1, s9, v3
	v_add_u32_e32 v1, v3, v1
	v_lshrrev_b32_e32 v1, s10, v1
	v_mul_lo_u32 v1, v1, s8
	v_sub_u32_e32 v1, v3, v1
	v_mad_u64_u32 v[4:5], s[2:3], v1, s2, v[4:5]
.LBB29_55:
	s_and_b64 vcc, exec, s[0:1]
	s_cbranch_vccnz .LBB29_61
; %bb.56:
	s_mov_b32 s22, 0
	s_cmp_eq_u32 s33, 0
	v_mov_b32_e32 v6, 0
	s_cbranch_scc1 .LBB29_65
; %bb.57:
	s_min_u32 s23, s48, 15
	s_add_i32 s23, s23, 1
	s_cmp_eq_u32 s48, 2
	v_mov_b32_e32 v6, 0
	s_cbranch_scc1 .LBB29_62
; %bb.58:
	s_add_u32 s6, s4, 0xc4
	s_addc_u32 s7, s5, 0
	s_and_b32 s22, s23, 28
	s_mov_b32 s24, 0
	v_mov_b32_e32 v6, 0
	s_mov_b64 s[20:21], s[4:5]
	v_mov_b32_e32 v1, v8
.LBB29_59:                              ; =>This Inner Loop Header: Depth=1
	s_load_dwordx8 s[8:15], s[20:21], 0x4
	s_load_dwordx4 s[0:3], s[20:21], 0x24
	s_load_dwordx4 s[16:19], s[6:7], 0x0
	s_add_u32 s20, s20, 48
	s_addc_u32 s21, s21, 0
	s_waitcnt lgkmcnt(0)
	v_mul_hi_u32 v3, s9, v1
	v_add_u32_e32 v3, v1, v3
	v_lshrrev_b32_e32 v3, s10, v3
	v_mul_lo_u32 v5, v3, s8
	v_mul_hi_u32 v7, s12, v3
	v_sub_u32_e32 v1, v1, v5
	v_add_u32_e32 v5, v3, v7
	v_lshrrev_b32_e32 v5, s13, v5
	v_mul_lo_u32 v7, v5, s11
	v_mul_hi_u32 v9, s15, v5
	v_sub_u32_e32 v3, v3, v7
	v_add_u32_e32 v7, v5, v9
	v_mul_lo_u32 v1, v1, s16
	v_mul_lo_u32 v3, v3, s17
	v_lshrrev_b32_e32 v7, s0, v7
	v_add3_u32 v3, v1, v6, v3
	v_mul_lo_u32 v1, v7, s14
	v_mul_hi_u32 v6, s2, v7
	v_sub_u32_e32 v1, v5, v1
	v_add_u32_e32 v5, v7, v6
	v_mul_lo_u32 v6, v1, s18
	v_lshrrev_b32_e32 v1, s3, v5
	s_add_i32 s24, s24, 4
	v_mul_lo_u32 v5, v1, s1
	s_add_u32 s6, s6, 16
	v_sub_u32_e32 v5, v7, v5
	s_addc_u32 s7, s7, 0
	v_mul_lo_u32 v5, v5, s19
	s_cmp_lg_u32 s22, s24
	v_add3_u32 v6, v6, v3, v5
	s_cbranch_scc1 .LBB29_59
; %bb.60:
	s_and_b32 s6, s23, 3
	s_cmp_eq_u32 s6, 0
	s_cbranch_scc0 .LBB29_63
	s_branch .LBB29_65
.LBB29_61:
                                        ; implicit-def: $vgpr6
	s_branch .LBB29_66
.LBB29_62:
	v_mov_b32_e32 v1, v8
	s_and_b32 s6, s23, 3
	s_cmp_eq_u32 s6, 0
	s_cbranch_scc1 .LBB29_65
.LBB29_63:
	s_lshl_b32 s0, s22, 2
	s_add_u32 s0, s0, s4
	s_addc_u32 s1, 0, s5
	s_add_u32 s0, s0, 0xc4
	s_addc_u32 s1, s1, 0
	s_mul_i32 s2, s22, 12
	s_add_u32 s2, s4, s2
	s_addc_u32 s3, 0, s5
.LBB29_64:                              ; =>This Inner Loop Header: Depth=1
	s_load_dwordx2 s[8:9], s[2:3], 0x4
	s_load_dword s7, s[2:3], 0xc
	s_load_dword s10, s[0:1], 0x0
	s_add_u32 s2, s2, 12
	s_addc_u32 s3, s3, 0
	s_waitcnt lgkmcnt(0)
	v_mul_hi_u32 v3, s9, v1
	v_add_u32_e32 v3, v1, v3
	v_lshrrev_b32_e32 v3, s7, v3
	s_add_u32 s0, s0, 4
	v_mul_lo_u32 v5, v3, s8
	s_addc_u32 s1, s1, 0
	s_add_i32 s6, s6, -1
	v_sub_u32_e32 v5, v1, v5
	s_cmp_lg_u32 s6, 0
	v_mov_b32_e32 v1, v3
	v_mad_u64_u32 v[6:7], s[8:9], v5, s10, v[6:7]
	s_cbranch_scc1 .LBB29_64
.LBB29_65:
	s_cbranch_execnz .LBB29_68
.LBB29_66:
	s_load_dwordx4 s[0:3], s[4:5], 0x4
	s_waitcnt lgkmcnt(0)
	s_load_dword s3, s[4:5], 0xc4
	s_cmp_lt_u32 s33, 2
	v_mul_hi_u32 v1, s1, v8
	v_add_u32_e32 v1, v8, v1
	v_lshrrev_b32_e32 v1, s2, v1
	v_mul_lo_u32 v3, v1, s0
	v_sub_u32_e32 v3, v8, v3
	s_waitcnt lgkmcnt(0)
	v_mul_lo_u32 v6, v3, s3
	s_cbranch_scc1 .LBB29_68
; %bb.67:
	s_load_dwordx4 s[0:3], s[4:5], 0x10
	s_waitcnt lgkmcnt(0)
	s_load_dword s3, s[4:5], 0xc8
	v_mul_hi_u32 v3, s1, v1
	v_add_u32_e32 v3, v1, v3
	v_lshrrev_b32_e32 v3, s2, v3
	v_mul_lo_u32 v3, v3, s0
	v_sub_u32_e32 v1, v1, v3
	s_waitcnt lgkmcnt(0)
	v_mad_u64_u32 v[6:7], s[0:1], v1, s3, v[6:7]
.LBB29_68:
	s_load_dwordx4 s[0:3], s[4:5], 0x108
	s_waitcnt lgkmcnt(0)
	v_pk_mov_b32 v[8:9], s[2:3], s[2:3] op_sel:[0,1]
	s_nop 1
	global_store_dwordx2 v0, v[8:9], s[0:1]
	global_store_dwordx2 v2, v[8:9], s[0:1]
	global_store_dwordx2 v4, v[8:9], s[0:1]
	global_store_dwordx2 v6, v[8:9], s[0:1]
	s_endpgm
.LBB29_69:
	v_mov_b32_e32 v0, 0
	s_branch .LBB29_75
.LBB29_70:
	v_mov_b32_e32 v0, 0
	s_branch .LBB29_91
.LBB29_71:
	v_mov_b32_e32 v2, v4
.LBB29_72:
	s_and_b32 s12, s52, 3
	s_cmp_eq_u32 s12, 0
	s_cbranch_scc1 .LBB29_75
; %bb.73:
	s_lshl_b32 s8, s51, 2
	s_add_u32 s8, s8, s4
	s_addc_u32 s9, s5, 0
	s_add_u32 s8, s8, 0xc4
	s_addc_u32 s9, s9, 0
	s_mul_i32 s10, s51, 12
	s_add_u32 s10, s4, s10
	s_addc_u32 s11, s5, 0
.LBB29_74:                              ; =>This Inner Loop Header: Depth=1
	s_load_dwordx2 s[14:15], s[10:11], 0x4
	s_load_dword s13, s[10:11], 0xc
	s_load_dword s20, s[8:9], 0x0
	s_add_u32 s10, s10, 12
	s_addc_u32 s11, s11, 0
	s_waitcnt lgkmcnt(0)
	v_mul_hi_u32 v1, s15, v2
	v_add_u32_e32 v1, v2, v1
	v_lshrrev_b32_e32 v1, s13, v1
	s_add_u32 s8, s8, 4
	v_mul_lo_u32 v3, v1, s14
	s_addc_u32 s9, s9, 0
	s_add_i32 s12, s12, -1
	v_sub_u32_e32 v3, v2, v3
	s_cmp_lg_u32 s12, 0
	v_mov_b32_e32 v2, v1
	v_mad_u64_u32 v[0:1], s[14:15], v3, s20, v[0:1]
	s_cbranch_scc1 .LBB29_74
.LBB29_75:
	s_cbranch_execnz .LBB29_78
.LBB29_76:
	s_waitcnt lgkmcnt(0)
	v_mul_hi_u32 v0, s17, v4
	v_add_u32_e32 v0, v4, v0
	v_lshrrev_b32_e32 v1, s18, v0
	v_mul_lo_u32 v0, v1, s16
	v_sub_u32_e32 v0, v4, v0
	s_andn2_b64 vcc, exec, s[36:37]
	v_mul_lo_u32 v0, v0, s30
	s_cbranch_vccnz .LBB29_78
; %bb.77:
	v_mul_hi_u32 v2, s34, v1
	v_add_u32_e32 v2, v1, v2
	v_lshrrev_b32_e32 v2, s35, v2
	v_mul_lo_u32 v2, v2, s19
	v_sub_u32_e32 v1, v1, v2
	v_mad_u64_u32 v[0:1], s[8:9], v1, s31, v[0:1]
.LBB29_78:
	s_waitcnt lgkmcnt(0)
	v_pk_mov_b32 v[2:3], s[2:3], s[2:3] op_sel:[0,1]
	v_add_u32_e32 v4, 0x80, v4
	global_store_dwordx2 v0, v[2:3], s[0:1]
	s_or_b64 exec, exec, s[42:43]
	v_cmp_gt_i32_e32 vcc, s49, v4
	s_and_saveexec_b64 s[42:43], vcc
	s_cbranch_execnz .LBB29_15
.LBB29_79:
	s_or_b64 exec, exec, s[42:43]
	v_cmp_gt_i32_e32 vcc, s49, v4
	s_and_saveexec_b64 s[42:43], vcc
	s_cbranch_execz .LBB29_95
.LBB29_80:
	s_andn2_b64 vcc, exec, s[6:7]
	s_cbranch_vccnz .LBB29_85
; %bb.81:
	s_andn2_b64 vcc, exec, s[40:41]
	s_cbranch_vccnz .LBB29_86
; %bb.82:
	s_add_i32 s52, s50, 1
	s_mov_b32 s51, 0
	s_cmp_eq_u32 s48, 2
	v_mov_b32_e32 v0, 0
	s_cbranch_scc1 .LBB29_98
; %bb.83:
	s_and_b32 s51, s52, 28
	s_mov_b32 s53, 0
	v_mov_b32_e32 v0, 0
	s_mov_b64 s[44:45], s[4:5]
	s_mov_b64 s[46:47], s[38:39]
	v_mov_b32_e32 v2, v4
.LBB29_84:                              ; =>This Inner Loop Header: Depth=1
	s_load_dwordx8 s[8:15], s[44:45], 0x4
	s_load_dwordx4 s[20:23], s[44:45], 0x24
	s_load_dwordx4 s[24:27], s[46:47], 0x0
	s_add_u32 s44, s44, 48
	s_addc_u32 s45, s45, 0
	s_waitcnt lgkmcnt(0)
	v_mul_hi_u32 v1, s9, v2
	v_add_u32_e32 v1, v2, v1
	v_lshrrev_b32_e32 v1, s10, v1
	v_mul_lo_u32 v3, v1, s8
	v_mul_hi_u32 v5, s12, v1
	v_sub_u32_e32 v2, v2, v3
	v_add_u32_e32 v3, v1, v5
	v_lshrrev_b32_e32 v3, s13, v3
	v_mul_lo_u32 v5, v3, s11
	v_mul_hi_u32 v6, s15, v3
	v_sub_u32_e32 v1, v1, v5
	v_add_u32_e32 v5, v3, v6
	v_mul_lo_u32 v2, v2, s24
	v_mul_lo_u32 v1, v1, s25
	v_lshrrev_b32_e32 v5, s20, v5
	v_add3_u32 v0, v2, v0, v1
	v_mul_hi_u32 v2, s22, v5
	v_add_u32_e32 v2, v5, v2
	v_mul_lo_u32 v1, v5, s14
	v_lshrrev_b32_e32 v2, s23, v2
	s_add_i32 s53, s53, 4
	v_sub_u32_e32 v1, v3, v1
	v_mul_lo_u32 v3, v2, s21
	s_add_u32 s46, s46, 16
	v_sub_u32_e32 v3, v5, v3
	s_addc_u32 s47, s47, 0
	v_mul_lo_u32 v1, v1, s26
	v_mul_lo_u32 v3, v3, s27
	s_cmp_eq_u32 s51, s53
	v_add3_u32 v0, v1, v0, v3
	s_cbranch_scc0 .LBB29_84
	s_branch .LBB29_99
.LBB29_85:
                                        ; implicit-def: $vgpr0
	s_branch .LBB29_103
.LBB29_86:
	v_mov_b32_e32 v0, 0
	s_branch .LBB29_102
.LBB29_87:
	v_mov_b32_e32 v2, v4
.LBB29_88:
	s_and_b32 s12, s52, 3
	s_cmp_eq_u32 s12, 0
	s_cbranch_scc1 .LBB29_91
; %bb.89:
	s_lshl_b32 s8, s51, 2
	s_add_u32 s8, s8, s4
	s_addc_u32 s9, s5, 0
	s_add_u32 s8, s8, 0xc4
	s_addc_u32 s9, s9, 0
	s_mul_i32 s10, s51, 12
	s_add_u32 s10, s4, s10
	s_addc_u32 s11, s5, 0
.LBB29_90:                              ; =>This Inner Loop Header: Depth=1
	s_load_dwordx2 s[14:15], s[10:11], 0x4
	s_load_dword s13, s[10:11], 0xc
	s_load_dword s20, s[8:9], 0x0
	s_add_u32 s10, s10, 12
	s_addc_u32 s11, s11, 0
	s_waitcnt lgkmcnt(0)
	v_mul_hi_u32 v1, s15, v2
	v_add_u32_e32 v1, v2, v1
	v_lshrrev_b32_e32 v1, s13, v1
	s_add_u32 s8, s8, 4
	v_mul_lo_u32 v3, v1, s14
	s_addc_u32 s9, s9, 0
	s_add_i32 s12, s12, -1
	v_sub_u32_e32 v3, v2, v3
	s_cmp_lg_u32 s12, 0
	v_mov_b32_e32 v2, v1
	v_mad_u64_u32 v[0:1], s[14:15], v3, s20, v[0:1]
	s_cbranch_scc1 .LBB29_90
.LBB29_91:
	s_cbranch_execnz .LBB29_94
.LBB29_92:
	s_waitcnt lgkmcnt(0)
	v_mul_hi_u32 v0, s17, v4
	v_add_u32_e32 v0, v4, v0
	v_lshrrev_b32_e32 v1, s18, v0
	v_mul_lo_u32 v0, v1, s16
	v_sub_u32_e32 v0, v4, v0
	s_andn2_b64 vcc, exec, s[36:37]
	v_mul_lo_u32 v0, v0, s30
	s_cbranch_vccnz .LBB29_94
; %bb.93:
	v_mul_hi_u32 v2, s34, v1
	v_add_u32_e32 v2, v1, v2
	v_lshrrev_b32_e32 v2, s35, v2
	v_mul_lo_u32 v2, v2, s19
	v_sub_u32_e32 v1, v1, v2
	v_mad_u64_u32 v[0:1], s[8:9], v1, s31, v[0:1]
.LBB29_94:
	s_waitcnt lgkmcnt(0)
	v_pk_mov_b32 v[2:3], s[2:3], s[2:3] op_sel:[0,1]
	v_add_u32_e32 v4, 0x80, v4
	global_store_dwordx2 v0, v[2:3], s[0:1]
	s_or_b64 exec, exec, s[42:43]
	v_cmp_gt_i32_e32 vcc, s49, v4
	s_and_saveexec_b64 s[42:43], vcc
	s_cbranch_execnz .LBB29_80
.LBB29_95:
	s_or_b64 exec, exec, s[42:43]
	v_cmp_gt_i32_e32 vcc, s49, v4
	s_and_saveexec_b64 s[42:43], vcc
	s_cbranch_execnz .LBB29_106
.LBB29_96:
	s_or_b64 exec, exec, s[42:43]
                                        ; implicit-def: $vgpr8
                                        ; implicit-def: $vgpr4
	s_waitcnt lgkmcnt(0)
	s_andn2_saveexec_b64 s[0:1], s[28:29]
	s_cbranch_execnz .LBB29_8
.LBB29_97:
	s_endpgm
.LBB29_98:
	v_mov_b32_e32 v2, v4
.LBB29_99:
	s_and_b32 s12, s52, 3
	s_cmp_eq_u32 s12, 0
	s_cbranch_scc1 .LBB29_102
; %bb.100:
	s_lshl_b32 s8, s51, 2
	s_add_u32 s8, s8, s4
	s_addc_u32 s9, s5, 0
	s_add_u32 s8, s8, 0xc4
	s_addc_u32 s9, s9, 0
	s_mul_i32 s10, s51, 12
	s_add_u32 s10, s4, s10
	s_addc_u32 s11, s5, 0
.LBB29_101:                             ; =>This Inner Loop Header: Depth=1
	s_load_dwordx2 s[14:15], s[10:11], 0x4
	s_load_dword s13, s[10:11], 0xc
	s_load_dword s20, s[8:9], 0x0
	s_add_u32 s10, s10, 12
	s_addc_u32 s11, s11, 0
	s_waitcnt lgkmcnt(0)
	v_mul_hi_u32 v1, s15, v2
	v_add_u32_e32 v1, v2, v1
	v_lshrrev_b32_e32 v1, s13, v1
	s_add_u32 s8, s8, 4
	v_mul_lo_u32 v3, v1, s14
	s_addc_u32 s9, s9, 0
	s_add_i32 s12, s12, -1
	v_sub_u32_e32 v3, v2, v3
	s_cmp_lg_u32 s12, 0
	v_mov_b32_e32 v2, v1
	v_mad_u64_u32 v[0:1], s[14:15], v3, s20, v[0:1]
	s_cbranch_scc1 .LBB29_101
.LBB29_102:
	s_cbranch_execnz .LBB29_105
.LBB29_103:
	s_waitcnt lgkmcnt(0)
	v_mul_hi_u32 v0, s17, v4
	v_add_u32_e32 v0, v4, v0
	v_lshrrev_b32_e32 v1, s18, v0
	v_mul_lo_u32 v0, v1, s16
	v_sub_u32_e32 v0, v4, v0
	s_andn2_b64 vcc, exec, s[36:37]
	v_mul_lo_u32 v0, v0, s30
	s_cbranch_vccnz .LBB29_105
; %bb.104:
	v_mul_hi_u32 v2, s34, v1
	v_add_u32_e32 v2, v1, v2
	v_lshrrev_b32_e32 v2, s35, v2
	v_mul_lo_u32 v2, v2, s19
	v_sub_u32_e32 v1, v1, v2
	v_mad_u64_u32 v[0:1], s[8:9], v1, s31, v[0:1]
.LBB29_105:
	s_waitcnt lgkmcnt(0)
	v_pk_mov_b32 v[2:3], s[2:3], s[2:3] op_sel:[0,1]
	v_add_u32_e32 v4, 0x80, v4
	global_store_dwordx2 v0, v[2:3], s[0:1]
	s_or_b64 exec, exec, s[42:43]
	v_cmp_gt_i32_e32 vcc, s49, v4
	s_and_saveexec_b64 s[42:43], vcc
	s_cbranch_execz .LBB29_96
.LBB29_106:
	s_andn2_b64 vcc, exec, s[6:7]
	s_cbranch_vccnz .LBB29_111
; %bb.107:
	s_andn2_b64 vcc, exec, s[40:41]
	s_cbranch_vccnz .LBB29_112
; %bb.108:
	s_add_i32 s50, s50, 1
	s_mov_b32 s44, 0
	s_cmp_eq_u32 s48, 2
	v_mov_b32_e32 v0, 0
	s_cbranch_scc1 .LBB29_113
; %bb.109:
	s_and_b32 s44, s50, 28
	s_mov_b32 s45, 0
	v_mov_b32_e32 v0, 0
	s_mov_b64 s[40:41], s[4:5]
	v_mov_b32_e32 v2, v4
.LBB29_110:                             ; =>This Inner Loop Header: Depth=1
	s_load_dwordx8 s[8:15], s[40:41], 0x4
	s_load_dwordx4 s[20:23], s[40:41], 0x24
	s_load_dwordx4 s[24:27], s[38:39], 0x0
	s_add_u32 s40, s40, 48
	s_addc_u32 s41, s41, 0
	s_waitcnt lgkmcnt(0)
	v_mul_hi_u32 v1, s9, v2
	v_add_u32_e32 v1, v2, v1
	v_lshrrev_b32_e32 v1, s10, v1
	v_mul_lo_u32 v3, v1, s8
	v_mul_hi_u32 v5, s12, v1
	v_sub_u32_e32 v2, v2, v3
	v_add_u32_e32 v3, v1, v5
	v_lshrrev_b32_e32 v3, s13, v3
	v_mul_lo_u32 v5, v3, s11
	v_mul_hi_u32 v6, s15, v3
	v_sub_u32_e32 v1, v1, v5
	v_add_u32_e32 v5, v3, v6
	v_mul_lo_u32 v2, v2, s24
	v_mul_lo_u32 v1, v1, s25
	v_lshrrev_b32_e32 v5, s20, v5
	v_add3_u32 v0, v2, v0, v1
	v_mul_hi_u32 v2, s22, v5
	v_add_u32_e32 v2, v5, v2
	v_mul_lo_u32 v1, v5, s14
	v_lshrrev_b32_e32 v2, s23, v2
	s_add_i32 s45, s45, 4
	v_sub_u32_e32 v1, v3, v1
	v_mul_lo_u32 v3, v2, s21
	s_add_u32 s38, s38, 16
	v_sub_u32_e32 v3, v5, v3
	s_addc_u32 s39, s39, 0
	v_mul_lo_u32 v1, v1, s26
	v_mul_lo_u32 v3, v3, s27
	s_cmp_eq_u32 s44, s45
	v_add3_u32 v0, v1, v0, v3
	s_cbranch_scc0 .LBB29_110
	s_branch .LBB29_114
.LBB29_111:
                                        ; implicit-def: $vgpr0
	s_branch .LBB29_118
.LBB29_112:
	v_mov_b32_e32 v0, 0
	s_branch .LBB29_117
.LBB29_113:
	v_mov_b32_e32 v2, v4
.LBB29_114:
	s_and_b32 s12, s50, 3
	s_cmp_eq_u32 s12, 0
	s_cbranch_scc1 .LBB29_117
; %bb.115:
	s_lshl_b32 s8, s44, 2
	s_add_u32 s8, s8, s4
	s_addc_u32 s9, s5, 0
	s_add_u32 s8, s8, 0xc4
	s_addc_u32 s9, s9, 0
	s_mul_i32 s10, s44, 12
	s_add_u32 s10, s4, s10
	s_addc_u32 s11, s5, 0
.LBB29_116:                             ; =>This Inner Loop Header: Depth=1
	s_load_dwordx2 s[14:15], s[10:11], 0x4
	s_load_dword s13, s[10:11], 0xc
	s_load_dword s20, s[8:9], 0x0
	s_add_u32 s10, s10, 12
	s_addc_u32 s11, s11, 0
	s_waitcnt lgkmcnt(0)
	v_mul_hi_u32 v1, s15, v2
	v_add_u32_e32 v1, v2, v1
	v_lshrrev_b32_e32 v1, s13, v1
	s_add_u32 s8, s8, 4
	v_mul_lo_u32 v3, v1, s14
	s_addc_u32 s9, s9, 0
	s_add_i32 s12, s12, -1
	v_sub_u32_e32 v3, v2, v3
	s_cmp_lg_u32 s12, 0
	v_mov_b32_e32 v2, v1
	v_mad_u64_u32 v[0:1], s[14:15], v3, s20, v[0:1]
	s_cbranch_scc1 .LBB29_116
.LBB29_117:
	s_cbranch_execnz .LBB29_120
.LBB29_118:
	s_waitcnt lgkmcnt(0)
	v_mul_hi_u32 v0, s17, v4
	v_add_u32_e32 v0, v4, v0
	v_lshrrev_b32_e32 v1, s18, v0
	v_mul_lo_u32 v0, v1, s16
	v_sub_u32_e32 v0, v4, v0
	s_andn2_b64 vcc, exec, s[36:37]
	v_mul_lo_u32 v0, v0, s30
	s_cbranch_vccnz .LBB29_120
; %bb.119:
	v_mul_hi_u32 v2, s34, v1
	v_add_u32_e32 v2, v1, v2
	v_lshrrev_b32_e32 v2, s35, v2
	v_mul_lo_u32 v2, v2, s19
	v_sub_u32_e32 v1, v1, v2
	v_mad_u64_u32 v[0:1], s[8:9], v1, s31, v[0:1]
.LBB29_120:
	s_waitcnt lgkmcnt(0)
	v_pk_mov_b32 v[2:3], s[2:3], s[2:3] op_sel:[0,1]
	global_store_dwordx2 v0, v[2:3], s[0:1]
	s_or_b64 exec, exec, s[42:43]
                                        ; implicit-def: $vgpr8
                                        ; implicit-def: $vgpr4
	s_andn2_saveexec_b64 s[0:1], s[28:29]
	s_cbranch_execz .LBB29_97
	s_branch .LBB29_8
	.section	.rodata,"a",@progbits
	.p2align	6, 0x0
	.amdhsa_kernel _ZN2at6native32elementwise_kernel_manual_unrollILi128ELi4EZNS0_22gpu_kernel_impl_nocastINS0_11FillFunctorIlEEEEvRNS_18TensorIteratorBaseERKT_EUlibE_EEviT1_
		.amdhsa_group_segment_fixed_size 0
		.amdhsa_private_segment_fixed_size 0
		.amdhsa_kernarg_size 288
		.amdhsa_user_sgpr_count 6
		.amdhsa_user_sgpr_private_segment_buffer 1
		.amdhsa_user_sgpr_dispatch_ptr 0
		.amdhsa_user_sgpr_queue_ptr 0
		.amdhsa_user_sgpr_kernarg_segment_ptr 1
		.amdhsa_user_sgpr_dispatch_id 0
		.amdhsa_user_sgpr_flat_scratch_init 0
		.amdhsa_user_sgpr_kernarg_preload_length 0
		.amdhsa_user_sgpr_kernarg_preload_offset 0
		.amdhsa_user_sgpr_private_segment_size 0
		.amdhsa_uses_dynamic_stack 0
		.amdhsa_system_sgpr_private_segment_wavefront_offset 0
		.amdhsa_system_sgpr_workgroup_id_x 1
		.amdhsa_system_sgpr_workgroup_id_y 0
		.amdhsa_system_sgpr_workgroup_id_z 0
		.amdhsa_system_sgpr_workgroup_info 0
		.amdhsa_system_vgpr_workitem_id 0
		.amdhsa_next_free_vgpr 10
		.amdhsa_next_free_sgpr 54
		.amdhsa_accum_offset 12
		.amdhsa_reserve_vcc 1
		.amdhsa_reserve_flat_scratch 0
		.amdhsa_float_round_mode_32 0
		.amdhsa_float_round_mode_16_64 0
		.amdhsa_float_denorm_mode_32 3
		.amdhsa_float_denorm_mode_16_64 3
		.amdhsa_dx10_clamp 1
		.amdhsa_ieee_mode 1
		.amdhsa_fp16_overflow 0
		.amdhsa_tg_split 0
		.amdhsa_exception_fp_ieee_invalid_op 0
		.amdhsa_exception_fp_denorm_src 0
		.amdhsa_exception_fp_ieee_div_zero 0
		.amdhsa_exception_fp_ieee_overflow 0
		.amdhsa_exception_fp_ieee_underflow 0
		.amdhsa_exception_fp_ieee_inexact 0
		.amdhsa_exception_int_div_zero 0
	.end_amdhsa_kernel
	.section	.text._ZN2at6native32elementwise_kernel_manual_unrollILi128ELi4EZNS0_22gpu_kernel_impl_nocastINS0_11FillFunctorIlEEEEvRNS_18TensorIteratorBaseERKT_EUlibE_EEviT1_,"axG",@progbits,_ZN2at6native32elementwise_kernel_manual_unrollILi128ELi4EZNS0_22gpu_kernel_impl_nocastINS0_11FillFunctorIlEEEEvRNS_18TensorIteratorBaseERKT_EUlibE_EEviT1_,comdat
.Lfunc_end29:
	.size	_ZN2at6native32elementwise_kernel_manual_unrollILi128ELi4EZNS0_22gpu_kernel_impl_nocastINS0_11FillFunctorIlEEEEvRNS_18TensorIteratorBaseERKT_EUlibE_EEviT1_, .Lfunc_end29-_ZN2at6native32elementwise_kernel_manual_unrollILi128ELi4EZNS0_22gpu_kernel_impl_nocastINS0_11FillFunctorIlEEEEvRNS_18TensorIteratorBaseERKT_EUlibE_EEviT1_
                                        ; -- End function
	.section	.AMDGPU.csdata,"",@progbits
; Kernel info:
; codeLenInByte = 4932
; NumSgprs: 58
; NumVgprs: 10
; NumAgprs: 0
; TotalNumVgprs: 10
; ScratchSize: 0
; MemoryBound: 0
; FloatMode: 240
; IeeeMode: 1
; LDSByteSize: 0 bytes/workgroup (compile time only)
; SGPRBlocks: 7
; VGPRBlocks: 1
; NumSGPRsForWavesPerEU: 58
; NumVGPRsForWavesPerEU: 10
; AccumOffset: 12
; Occupancy: 8
; WaveLimiterHint : 1
; COMPUTE_PGM_RSRC2:SCRATCH_EN: 0
; COMPUTE_PGM_RSRC2:USER_SGPR: 6
; COMPUTE_PGM_RSRC2:TRAP_HANDLER: 0
; COMPUTE_PGM_RSRC2:TGID_X_EN: 1
; COMPUTE_PGM_RSRC2:TGID_Y_EN: 0
; COMPUTE_PGM_RSRC2:TGID_Z_EN: 0
; COMPUTE_PGM_RSRC2:TIDIG_COMP_CNT: 0
; COMPUTE_PGM_RSRC3_GFX90A:ACCUM_OFFSET: 2
; COMPUTE_PGM_RSRC3_GFX90A:TG_SPLIT: 0
	.section	.text._ZN2at6native32elementwise_kernel_manual_unrollILi128ELi4EZNS0_15gpu_kernel_implINS0_11FillFunctorIlEEEEvRNS_18TensorIteratorBaseERKT_EUlibE_EEviT1_,"axG",@progbits,_ZN2at6native32elementwise_kernel_manual_unrollILi128ELi4EZNS0_15gpu_kernel_implINS0_11FillFunctorIlEEEEvRNS_18TensorIteratorBaseERKT_EUlibE_EEviT1_,comdat
	.protected	_ZN2at6native32elementwise_kernel_manual_unrollILi128ELi4EZNS0_15gpu_kernel_implINS0_11FillFunctorIlEEEEvRNS_18TensorIteratorBaseERKT_EUlibE_EEviT1_ ; -- Begin function _ZN2at6native32elementwise_kernel_manual_unrollILi128ELi4EZNS0_15gpu_kernel_implINS0_11FillFunctorIlEEEEvRNS_18TensorIteratorBaseERKT_EUlibE_EEviT1_
	.globl	_ZN2at6native32elementwise_kernel_manual_unrollILi128ELi4EZNS0_15gpu_kernel_implINS0_11FillFunctorIlEEEEvRNS_18TensorIteratorBaseERKT_EUlibE_EEviT1_
	.p2align	8
	.type	_ZN2at6native32elementwise_kernel_manual_unrollILi128ELi4EZNS0_15gpu_kernel_implINS0_11FillFunctorIlEEEEvRNS_18TensorIteratorBaseERKT_EUlibE_EEviT1_,@function
_ZN2at6native32elementwise_kernel_manual_unrollILi128ELi4EZNS0_15gpu_kernel_implINS0_11FillFunctorIlEEEEvRNS_18TensorIteratorBaseERKT_EUlibE_EEviT1_: ; @_ZN2at6native32elementwise_kernel_manual_unrollILi128ELi4EZNS0_15gpu_kernel_implINS0_11FillFunctorIlEEEEvRNS_18TensorIteratorBaseERKT_EUlibE_EEviT1_
; %bb.0:
	v_lshl_or_b32 v15, s6, 9, v0
	s_load_dword s48, s[4:5], 0x0
	s_load_dwordx2 s[10:11], s[4:5], 0x8
	s_load_dword s52, s[4:5], 0x10
	s_load_dwordx2 s[8:9], s[4:5], 0x18
	s_load_dword s33, s[4:5], 0x20
	v_or_b32_e32 v0, 0x180, v15
	s_waitcnt lgkmcnt(0)
	v_cmp_le_i32_e32 vcc, s48, v0
	s_mov_b64 s[6:7], 0
	s_mov_b64 s[0:1], 0
	s_and_saveexec_b64 s[2:3], vcc
	s_xor_b64 s[12:13], exec, s[2:3]
	s_cbranch_execz .LBB30_404
; %bb.1:
	s_xor_b32 s1, s8, s9
	s_flbit_i32 s0, s9
	s_ashr_i32 s1, s1, 31
	s_add_i32 s0, s0, -1
	s_add_i32 s1, s1, 32
	s_min_u32 s2, s0, s1
	s_lshl_b64 s[0:1], s[8:9], s2
	s_min_u32 s0, s0, 1
	s_or_b32 s0, s1, s0
	v_cvt_f32_i32_e32 v0, s0
	s_sub_i32 s0, 32, s2
	s_mov_b64 s[38:39], 0
	s_mov_b64 s[36:37], -1
	v_ldexp_f32 v4, v0, s0
	v_and_b32_e32 v2, 0x400000, v4
	v_bfe_u32 v1, v4, 23, 8
	s_movk_i32 s0, 0xff
	v_cmp_ne_u32_e32 vcc, 0, v2
	v_and_b32_e32 v2, 0x3fffff, v4
	v_cmp_eq_u32_e64 s[4:5], s0, v1
	v_or_b32_e32 v1, v1, v2
	v_cmp_ne_u32_e64 s[0:1], 0, v1
	v_readfirstlane_b32 s16, v4
	s_and_b64 s[0:1], vcc, s[0:1]
	s_and_b32 s30, s16, 0x7fffffff
	s_cmp_lt_u32 s30, 0x43800000
	s_cselect_b64 s[26:27], -1, 0
	s_cmp_gt_u32 s30, 0x3bffffff
	v_cndmask_b32_e64 v1, 0, 1, s[0:1]
	s_cselect_b64 s[2:3], -1, 0
	s_bfe_u32 s0, s16, 0x10014
	s_add_i32 s17, s16, s0
	s_add_i32 s0, s17, 0x487ffff
	s_lshr_b32 s60, s0, 20
	s_mov_b32 s0, 0x46000000
	v_add_f32_e64 v13, |v4|, s0
	v_readfirstlane_b32 s0, v13
	s_and_b32 s0, s0, 0xff
	s_cmp_lg_u32 s0, 0
	s_cselect_b64 s[28:29], -1, 0
	s_cmp_gt_u32 s30, 0x477fffff
	s_cselect_b64 s[14:15], -1, 0
	s_cmp_lt_u32 s30, 0x47800000
	s_movk_i32 s0, 0x80
	s_cselect_b64 s[22:23], -1, 0
	s_cmp_gt_u32 s30, 0x37ffffff
	v_and_b32_sdwa v10, v4, s0 dst_sel:DWORD dst_unused:UNUSED_PAD src0_sel:BYTE_3 src1_sel:DWORD
	s_cselect_b64 s[0:1], -1, 0
	s_bfe_u32 s18, s16, 0x10015
	s_add_i32 s31, s16, s18
	s_add_i32 s16, s31, 0x88fffff
	s_lshr_b32 s58, s16, 21
	s_mov_b32 s16, 0x42800000
	v_add_f32_e64 v12, |v4|, s16
	v_readfirstlane_b32 s16, v12
	s_and_b32 s16, s16, 0xff
	s_cmp_lg_u32 s16, 0
	s_cselect_b64 s[24:25], -1, 0
	s_cmp_gt_u32 s30, 0x43efffff
	s_cselect_b64 s[18:19], -1, 0
	s_cmp_lt_u32 s30, 0x3c800000
	s_cselect_b64 s[20:21], -1, 0
	s_add_i32 s17, s17, 0x407ffff
	s_lshr_b32 s16, s17, 20
	s_and_b32 s17, s17, 0xff00000
	s_cmp_lg_u32 s17, 0x7f00000
	v_lshrrev_b32_e32 v0, 23, v4
	s_cselect_b32 s56, s16, 0x7e
	s_mov_b32 s16, 0x46800000
	s_cmp_lt_u32 s30, 0x38800000
	v_add_u32_e32 v14, v0, v1
	v_add_f32_e64 v0, |v4|, s16
	s_cselect_b64 s[16:17], -1, 0
	s_add_i32 s31, s31, 0x80fffff
	s_lshr_b32 s53, s31, 21
	s_cmp_gt_u32 s30, 0x7f800000
	s_movk_i32 s30, 0x7f
	s_cselect_b32 s59, s30, 0x7e
	s_mov_b32 s30, 0x43000000
	v_readfirstlane_b32 s57, v0
	v_add_f32_e64 v0, |v4|, s30
	v_readfirstlane_b32 s54, v0
	v_bfe_u32 v0, v4, 16, 1
	v_add_u32_e32 v0, v4, v0
	s_movk_i32 s30, 0x7c
	v_add_u32_e32 v0, 0x7fff, v0
	v_cvt_f16_f32_e32 v8, v4
	s_cselect_b32 s55, 0x7f, s30
	v_lshrrev_b32_e32 v11, 16, v0
	s_cmp_lg_u64 s[8:9], 0
	v_cvt_f64_i32_e32 v[0:1], s9
	s_cselect_b64 s[30:31], -1, 0
	v_ldexp_f64 v[0:1], v[0:1], 32
	v_cvt_f64_u32_e32 v[2:3], s8
	v_cndmask_b32_e64 v9, 0, 1, s[30:31]
	v_add_f64 v[0:1], v[0:1], v[2:3]
	v_cmp_gt_i32_e32 vcc, s48, v15
	s_mov_b64 s[30:31], 0
	s_and_saveexec_b64 s[34:35], vcc
	s_cbranch_execz .LBB30_100
; %bb.2:
	v_mul_lo_u32 v2, v15, s52
	v_ashrrev_i32_e32 v3, 31, v2
	v_mov_b32_e32 v5, s11
	v_add_co_u32_e32 v6, vcc, s10, v2
	v_mov_b32_e32 v2, 11
	v_addc_co_u32_e32 v7, vcc, v5, v3, vcc
	v_cmp_lt_i16_sdwa s[30:31], s33, v2 src0_sel:BYTE_0 src1_sel:DWORD
	s_and_b64 vcc, exec, s[30:31]
	s_cbranch_vccnz .LBB30_9
; %bb.3:
	v_mov_b32_e32 v2, 25
	v_cmp_gt_i16_sdwa s[30:31], s33, v2 src0_sel:BYTE_0 src1_sel:DWORD
	s_and_b64 vcc, exec, s[30:31]
	s_cbranch_vccz .LBB30_12
; %bb.4:
	v_mov_b32_e32 v2, 28
	v_cmp_gt_i16_sdwa s[30:31], s33, v2 src0_sel:BYTE_0 src1_sel:DWORD
	s_and_b64 vcc, exec, s[30:31]
	s_cbranch_vccz .LBB30_13
	;; [unrolled: 5-line block ×4, first 2 shown]
; %bb.7:
	v_mov_b32_e32 v2, 46
	v_cmp_eq_u16_sdwa s[36:37], s33, v2 src0_sel:BYTE_0 src1_sel:DWORD
	s_mov_b64 s[40:41], 0
	s_mov_b64 s[30:31], -1
	s_and_b64 vcc, exec, s[36:37]
	s_mov_b64 s[36:37], 0
	s_cbranch_vccz .LBB30_16
; %bb.8:
	global_store_dword v[6:7], v11, off
	s_mov_b64 s[36:37], -1
	s_mov_b64 s[30:31], 0
	s_branch .LBB30_16
.LBB30_9:
	s_mov_b64 s[30:31], 0
	s_mov_b64 s[36:37], 0
	s_cbranch_execnz .LBB30_60
.LBB30_10:
	s_andn2_b64 vcc, exec, s[36:37]
	s_cbranch_vccnz .LBB30_98
.LBB30_11:
	v_add_u32_e32 v15, 0x80, v15
	s_mov_b64 s[36:37], -1
	s_branch .LBB30_99
.LBB30_12:
	s_mov_b64 s[30:31], 0
	s_mov_b64 s[36:37], 0
	s_cbranch_execnz .LBB30_38
	s_branch .LBB30_59
.LBB30_13:
	s_mov_b64 s[40:41], -1
	s_mov_b64 s[30:31], 0
	s_mov_b64 s[36:37], 0
	s_branch .LBB30_24
.LBB30_14:
	s_mov_b64 s[40:41], -1
	s_mov_b64 s[30:31], 0
	s_mov_b64 s[36:37], 0
	s_branch .LBB30_20
.LBB30_15:
	s_mov_b64 s[40:41], -1
	s_mov_b64 s[30:31], 0
	s_mov_b64 s[36:37], 0
.LBB30_16:
	s_and_b64 vcc, exec, s[40:41]
	s_cbranch_vccz .LBB30_19
; %bb.17:
	v_mov_b32_e32 v2, 44
	v_cmp_eq_u16_sdwa s[40:41], s33, v2 src0_sel:BYTE_0 src1_sel:DWORD
	s_mov_b64 s[30:31], -1
	s_and_b64 vcc, exec, s[40:41]
	s_cbranch_vccz .LBB30_19
; %bb.18:
	v_mov_b32_e32 v2, 0xff
	v_cndmask_b32_e64 v2, v14, v2, s[4:5]
	global_store_byte v[6:7], v2, off
	s_mov_b64 s[36:37], -1
	s_mov_b64 s[30:31], 0
.LBB30_19:
	s_mov_b64 s[40:41], 0
.LBB30_20:
	s_and_b64 vcc, exec, s[40:41]
	s_cbranch_vccz .LBB30_23
; %bb.21:
	v_mov_b32_e32 v2, 29
	v_cmp_eq_u16_sdwa s[40:41], s33, v2 src0_sel:BYTE_0 src1_sel:DWORD
	s_mov_b64 s[30:31], -1
	s_and_b64 vcc, exec, s[40:41]
	s_cbranch_vccz .LBB30_23
; %bb.22:
	v_pk_mov_b32 v[2:3], s[8:9], s[8:9] op_sel:[0,1]
	global_store_dwordx2 v[6:7], v[2:3], off
	s_mov_b64 s[36:37], -1
	s_mov_b64 s[30:31], 0
.LBB30_23:
	s_mov_b64 s[40:41], 0
.LBB30_24:
	s_and_b64 vcc, exec, s[40:41]
	s_cbranch_vccz .LBB30_37
; %bb.25:
	v_mov_b32_e32 v2, 27
	v_cmp_lt_i16_sdwa s[40:41], s33, v2 src0_sel:BYTE_0 src1_sel:DWORD
	s_mov_b64 s[36:37], -1
	s_and_b64 vcc, exec, s[40:41]
	s_cbranch_vccnz .LBB30_31
; %bb.26:
	v_cmp_gt_i16_sdwa s[40:41], s33, v2 src0_sel:BYTE_0 src1_sel:DWORD
	s_and_b64 vcc, exec, s[40:41]
	s_cbranch_vccz .LBB30_28
; %bb.27:
	v_mov_b32_e32 v2, s8
	s_mov_b64 s[36:37], 0
	global_store_dword v[6:7], v2, off
.LBB30_28:
	s_andn2_b64 vcc, exec, s[36:37]
	s_cbranch_vccnz .LBB30_30
; %bb.29:
	v_mov_b32_e32 v2, s8
	global_store_short v[6:7], v2, off
.LBB30_30:
	s_mov_b64 s[36:37], 0
.LBB30_31:
	s_andn2_b64 vcc, exec, s[36:37]
	s_cbranch_vccnz .LBB30_36
; %bb.32:
	s_andn2_b64 vcc, exec, s[26:27]
	v_mov_b32_e32 v2, 0x80
	s_cbranch_vccnz .LBB30_35
; %bb.33:
	s_or_b64 s[36:37], s[2:3], s[28:29]
	s_andn2_b64 vcc, exec, s[36:37]
	v_mov_b32_e32 v2, 0
	s_cbranch_vccnz .LBB30_35
; %bb.34:
	v_mov_b32_e32 v2, s60
	v_cndmask_b32_e64 v2, v13, v2, s[2:3]
	v_or_b32_e32 v2, v2, v10
.LBB30_35:
	global_store_byte v[6:7], v2, off
.LBB30_36:
	s_mov_b64 s[36:37], -1
.LBB30_37:
	s_branch .LBB30_59
.LBB30_38:
	v_mov_b32_e32 v2, 22
	v_cmp_gt_i16_sdwa s[42:43], s33, v2 src0_sel:BYTE_0 src1_sel:DWORD
	s_mov_b64 s[40:41], -1
	s_and_b64 vcc, exec, s[42:43]
	s_cbranch_vccz .LBB30_51
; %bb.39:
	v_mov_b32_e32 v2, 24
	v_cmp_lt_i16_sdwa s[40:41], s33, v2 src0_sel:BYTE_0 src1_sel:DWORD
	s_mov_b64 s[36:37], -1
	s_and_b64 vcc, exec, s[40:41]
	s_cbranch_vccnz .LBB30_48
; %bb.40:
	v_cmp_gt_i16_sdwa s[40:41], s33, v2 src0_sel:BYTE_0 src1_sel:DWORD
	s_and_b64 vcc, exec, s[40:41]
	s_cbranch_vccz .LBB30_45
; %bb.41:
	s_andn2_b64 vcc, exec, s[22:23]
	v_mov_b32_e32 v2, 0x80
	s_cbranch_vccnz .LBB30_44
; %bb.42:
	s_or_b64 s[36:37], s[0:1], s[24:25]
	s_andn2_b64 vcc, exec, s[36:37]
	v_mov_b32_e32 v2, 0
	s_cbranch_vccnz .LBB30_44
; %bb.43:
	v_mov_b32_e32 v2, s58
	v_cndmask_b32_e64 v2, v12, v2, s[0:1]
	v_or_b32_e32 v2, v2, v10
.LBB30_44:
	s_mov_b64 s[36:37], 0
	global_store_byte v[6:7], v2, off
.LBB30_45:
	s_and_b64 vcc, exec, s[36:37]
	s_cbranch_vccz .LBB30_47
; %bb.46:
	s_and_b64 s[36:37], s[20:21], exec
	s_cselect_b32 s40, s57, s56
	s_and_b64 s[36:37], s[18:19], exec
	s_cselect_b32 s36, s59, s40
	v_or_b32_e32 v2, s36, v10
	global_store_byte v[6:7], v2, off
.LBB30_47:
	s_mov_b64 s[36:37], 0
.LBB30_48:
	s_andn2_b64 vcc, exec, s[36:37]
	s_cbranch_vccnz .LBB30_50
; %bb.49:
	s_and_b64 s[36:37], s[16:17], exec
	s_cselect_b32 s40, s54, s53
	s_and_b64 s[36:37], s[14:15], exec
	s_cselect_b32 s36, s55, s40
	v_or_b32_e32 v2, s36, v10
	global_store_byte v[6:7], v2, off
.LBB30_50:
	s_mov_b64 s[40:41], 0
	s_mov_b64 s[36:37], -1
.LBB30_51:
	s_andn2_b64 vcc, exec, s[40:41]
	s_cbranch_vccnz .LBB30_59
; %bb.52:
	v_mov_b32_e32 v2, 14
	v_cmp_gt_i16_sdwa s[42:43], s33, v2 src0_sel:BYTE_0 src1_sel:DWORD
	s_mov_b64 s[40:41], -1
	s_and_b64 vcc, exec, s[42:43]
	s_cbranch_vccz .LBB30_56
; %bb.53:
	v_mov_b32_e32 v2, 15
	v_cmp_eq_u16_sdwa s[40:41], s33, v2 src0_sel:BYTE_0 src1_sel:DWORD
	s_mov_b64 s[30:31], -1
	s_and_b64 vcc, exec, s[40:41]
	s_cbranch_vccz .LBB30_55
; %bb.54:
	global_store_short v[6:7], v11, off
	s_mov_b64 s[36:37], -1
	s_mov_b64 s[30:31], 0
.LBB30_55:
	s_mov_b64 s[40:41], 0
.LBB30_56:
	s_and_b64 vcc, exec, s[40:41]
	s_cbranch_vccz .LBB30_59
; %bb.57:
	v_mov_b32_e32 v2, 11
	v_cmp_eq_u16_sdwa s[40:41], s33, v2 src0_sel:BYTE_0 src1_sel:DWORD
	s_mov_b64 s[30:31], -1
	s_and_b64 vcc, exec, s[40:41]
	s_cbranch_vccz .LBB30_59
; %bb.58:
	s_mov_b64 s[36:37], -1
	s_mov_b64 s[30:31], 0
	global_store_byte v[6:7], v9, off
.LBB30_59:
	s_branch .LBB30_10
.LBB30_60:
	v_mov_b32_e32 v2, 5
	v_cmp_lt_i16_sdwa s[40:41], s33, v2 src0_sel:BYTE_0 src1_sel:DWORD
	s_mov_b64 s[36:37], -1
	s_and_b64 vcc, exec, s[40:41]
	s_cbranch_vccnz .LBB30_81
; %bb.61:
	v_mov_b32_e32 v2, 8
	v_cmp_lt_i16_sdwa s[40:41], s33, v2 src0_sel:BYTE_0 src1_sel:DWORD
	s_and_b64 vcc, exec, s[40:41]
	s_cbranch_vccnz .LBB30_71
; %bb.62:
	v_mov_b32_e32 v2, 9
	v_cmp_lt_i16_sdwa s[40:41], s33, v2 src0_sel:BYTE_0 src1_sel:DWORD
	s_and_b64 vcc, exec, s[40:41]
	s_cbranch_vccnz .LBB30_68
; %bb.63:
	v_cmp_gt_i16_sdwa s[40:41], s33, v2 src0_sel:BYTE_0 src1_sel:DWORD
	s_and_b64 vcc, exec, s[40:41]
	s_cbranch_vccz .LBB30_65
; %bb.64:
	v_mov_b32_e32 v2, 0
	v_mov_b32_e32 v3, v2
	global_store_dwordx4 v[6:7], v[0:3], off
	s_mov_b64 s[36:37], 0
.LBB30_65:
	s_andn2_b64 vcc, exec, s[36:37]
	s_cbranch_vccnz .LBB30_67
; %bb.66:
	v_mov_b32_e32 v5, 0
	global_store_dwordx2 v[6:7], v[4:5], off
.LBB30_67:
	s_mov_b64 s[36:37], 0
.LBB30_68:
	s_andn2_b64 vcc, exec, s[36:37]
	s_cbranch_vccnz .LBB30_70
; %bb.69:
	global_store_dword v[6:7], v8, off
.LBB30_70:
	s_mov_b64 s[36:37], 0
.LBB30_71:
	s_andn2_b64 vcc, exec, s[36:37]
	s_cbranch_vccnz .LBB30_80
; %bb.72:
	v_mov_b32_e32 v2, 6
	v_cmp_lt_i16_sdwa s[40:41], s33, v2 src0_sel:BYTE_0 src1_sel:DWORD
	s_mov_b64 s[36:37], -1
	s_and_b64 vcc, exec, s[40:41]
	s_cbranch_vccnz .LBB30_78
; %bb.73:
	v_cmp_gt_i16_sdwa s[40:41], s33, v2 src0_sel:BYTE_0 src1_sel:DWORD
	s_and_b64 vcc, exec, s[40:41]
	s_cbranch_vccz .LBB30_75
; %bb.74:
	global_store_dwordx2 v[6:7], v[0:1], off
	s_mov_b64 s[36:37], 0
.LBB30_75:
	s_andn2_b64 vcc, exec, s[36:37]
	s_cbranch_vccnz .LBB30_77
; %bb.76:
	global_store_dword v[6:7], v4, off
.LBB30_77:
	s_mov_b64 s[36:37], 0
.LBB30_78:
	s_andn2_b64 vcc, exec, s[36:37]
	s_cbranch_vccnz .LBB30_80
; %bb.79:
	global_store_short v[6:7], v8, off
.LBB30_80:
	s_mov_b64 s[36:37], 0
.LBB30_81:
	s_andn2_b64 vcc, exec, s[36:37]
	s_cbranch_vccnz .LBB30_97
; %bb.82:
	v_mov_b32_e32 v2, 2
	v_cmp_lt_i16_sdwa s[40:41], s33, v2 src0_sel:BYTE_0 src1_sel:DWORD
	s_mov_b64 s[36:37], -1
	s_and_b64 vcc, exec, s[40:41]
	s_cbranch_vccnz .LBB30_92
; %bb.83:
	v_mov_b32_e32 v2, 3
	v_cmp_lt_i16_sdwa s[40:41], s33, v2 src0_sel:BYTE_0 src1_sel:DWORD
	s_and_b64 vcc, exec, s[40:41]
	s_cbranch_vccnz .LBB30_89
; %bb.84:
	v_cmp_gt_i16_sdwa s[40:41], s33, v2 src0_sel:BYTE_0 src1_sel:DWORD
	s_and_b64 vcc, exec, s[40:41]
	s_cbranch_vccz .LBB30_86
; %bb.85:
	v_pk_mov_b32 v[2:3], s[8:9], s[8:9] op_sel:[0,1]
	global_store_dwordx2 v[6:7], v[2:3], off
	s_mov_b64 s[36:37], 0
.LBB30_86:
	s_andn2_b64 vcc, exec, s[36:37]
	s_cbranch_vccnz .LBB30_88
; %bb.87:
	v_mov_b32_e32 v2, s8
	global_store_dword v[6:7], v2, off
.LBB30_88:
	s_mov_b64 s[36:37], 0
.LBB30_89:
	s_andn2_b64 vcc, exec, s[36:37]
	s_cbranch_vccnz .LBB30_91
; %bb.90:
	v_mov_b32_e32 v2, s8
	global_store_short v[6:7], v2, off
.LBB30_91:
	s_mov_b64 s[36:37], 0
.LBB30_92:
	s_andn2_b64 vcc, exec, s[36:37]
	s_cbranch_vccnz .LBB30_97
; %bb.93:
	v_mov_b32_e32 v2, 0
	v_cmp_gt_i16_sdwa s[40:41], s33, v2 src0_sel:BYTE_0 src1_sel:DWORD
	s_mov_b64 s[36:37], -1
	s_and_b64 vcc, exec, s[40:41]
	s_cbranch_vccz .LBB30_95
; %bb.94:
	v_mov_b32_e32 v2, s8
	global_store_byte v[6:7], v2, off
	s_mov_b64 s[36:37], 0
.LBB30_95:
	s_andn2_b64 vcc, exec, s[36:37]
	s_cbranch_vccnz .LBB30_97
; %bb.96:
	v_mov_b32_e32 v2, s8
	global_store_byte v[6:7], v2, off
.LBB30_97:
	s_branch .LBB30_11
.LBB30_98:
	s_mov_b64 s[36:37], 0
                                        ; implicit-def: $vgpr15
.LBB30_99:
	s_and_b64 s[30:31], s[30:31], exec
	s_orn2_b64 s[36:37], s[36:37], exec
.LBB30_100:
	s_or_b64 exec, exec, s[34:35]
	s_mov_b64 s[40:41], 0
                                        ; implicit-def: $vgpr16
                                        ; implicit-def: $vgpr6_vgpr7
	s_and_saveexec_b64 s[34:35], s[36:37]
	s_cbranch_execz .LBB30_109
; %bb.101:
	v_cmp_gt_i32_e32 vcc, s48, v15
	s_mov_b64 s[42:43], -1
	s_mov_b64 s[36:37], s[30:31]
	s_and_saveexec_b64 s[38:39], vcc
	s_cbranch_execz .LBB30_204
; %bb.102:
	v_mul_lo_u32 v2, v15, s52
	v_ashrrev_i32_e32 v3, 31, v2
	v_mov_b32_e32 v5, s11
	v_add_co_u32_e32 v6, vcc, s10, v2
	v_mov_b32_e32 v2, 11
	v_addc_co_u32_e32 v7, vcc, v5, v3, vcc
	v_cmp_lt_i16_sdwa s[36:37], s33, v2 src0_sel:BYTE_0 src1_sel:DWORD
	s_and_b64 vcc, exec, s[36:37]
	s_cbranch_vccnz .LBB30_112
; %bb.103:
	v_mov_b32_e32 v2, 25
	v_cmp_gt_i16_sdwa s[36:37], s33, v2 src0_sel:BYTE_0 src1_sel:DWORD
	s_and_b64 vcc, exec, s[36:37]
	s_cbranch_vccz .LBB30_115
; %bb.104:
	v_mov_b32_e32 v2, 28
	v_cmp_gt_i16_sdwa s[36:37], s33, v2 src0_sel:BYTE_0 src1_sel:DWORD
	s_and_b64 vcc, exec, s[36:37]
	s_cbranch_vccz .LBB30_116
	;; [unrolled: 5-line block ×4, first 2 shown]
; %bb.107:
	v_mov_b32_e32 v2, 46
	v_cmp_eq_u16_sdwa s[40:41], s33, v2 src0_sel:BYTE_0 src1_sel:DWORD
	s_mov_b64 s[42:43], 0
	s_mov_b64 s[36:37], -1
	s_and_b64 vcc, exec, s[40:41]
	s_mov_b64 s[40:41], 0
	s_cbranch_vccz .LBB30_119
; %bb.108:
	global_store_dword v[6:7], v11, off
	s_mov_b64 s[40:41], -1
	s_mov_b64 s[36:37], 0
	s_branch .LBB30_119
.LBB30_109:
	s_or_b64 exec, exec, s[34:35]
	s_mov_b64 s[0:1], 0
	s_and_saveexec_b64 s[2:3], s[30:31]
	s_cbranch_execnz .LBB30_364
.LBB30_110:
	s_or_b64 exec, exec, s[2:3]
	s_and_saveexec_b64 s[2:3], s[38:39]
	s_xor_b64 s[2:3], exec, s[2:3]
	s_cbranch_execz .LBB30_365
.LBB30_111:
	global_store_byte v[6:7], v9, off
	s_or_b64 exec, exec, s[2:3]
	s_and_saveexec_b64 s[2:3], s[40:41]
	s_xor_b64 s[2:3], exec, s[2:3]
	s_cbranch_execz .LBB30_403
	s_branch .LBB30_366
.LBB30_112:
	s_mov_b64 s[36:37], s[30:31]
	s_and_b64 vcc, exec, s[42:43]
	s_cbranch_vccnz .LBB30_164
.LBB30_113:
	s_andn2_b64 vcc, exec, s[40:41]
	s_cbranch_vccnz .LBB30_202
.LBB30_114:
	v_add_u32_e32 v15, 0x80, v15
	s_mov_b64 s[40:41], -1
	s_branch .LBB30_203
.LBB30_115:
	s_mov_b64 s[36:37], s[30:31]
	s_branch .LBB30_141
.LBB30_116:
	s_mov_b64 s[36:37], s[30:31]
	s_branch .LBB30_127
.LBB30_117:
	s_mov_b64 s[36:37], s[30:31]
	s_branch .LBB30_123
.LBB30_118:
	s_mov_b64 s[36:37], s[30:31]
.LBB30_119:
	s_and_b64 vcc, exec, s[42:43]
	s_cbranch_vccz .LBB30_122
; %bb.120:
	v_mov_b32_e32 v2, 44
	v_cmp_eq_u16_sdwa s[42:43], s33, v2 src0_sel:BYTE_0 src1_sel:DWORD
	s_mov_b64 s[36:37], -1
	s_and_b64 vcc, exec, s[42:43]
	s_cbranch_vccz .LBB30_122
; %bb.121:
	v_mov_b32_e32 v2, 0xff
	v_cndmask_b32_e64 v2, v14, v2, s[4:5]
	s_mov_b64 s[40:41], -1
	s_mov_b64 s[36:37], 0
	global_store_byte v[6:7], v2, off
.LBB30_122:
	s_mov_b64 s[42:43], 0
.LBB30_123:
	s_and_b64 vcc, exec, s[42:43]
	s_cbranch_vccz .LBB30_126
; %bb.124:
	v_mov_b32_e32 v2, 29
	v_cmp_eq_u16_sdwa s[42:43], s33, v2 src0_sel:BYTE_0 src1_sel:DWORD
	s_mov_b64 s[36:37], -1
	s_and_b64 vcc, exec, s[42:43]
	s_cbranch_vccz .LBB30_126
; %bb.125:
	v_pk_mov_b32 v[2:3], s[8:9], s[8:9] op_sel:[0,1]
	global_store_dwordx2 v[6:7], v[2:3], off
	s_mov_b64 s[40:41], -1
	s_mov_b64 s[36:37], 0
.LBB30_126:
	s_mov_b64 s[42:43], 0
.LBB30_127:
	s_and_b64 vcc, exec, s[42:43]
	s_cbranch_vccz .LBB30_140
; %bb.128:
	v_mov_b32_e32 v2, 27
	v_cmp_lt_i16_sdwa s[42:43], s33, v2 src0_sel:BYTE_0 src1_sel:DWORD
	s_mov_b64 s[40:41], -1
	s_and_b64 vcc, exec, s[42:43]
	s_cbranch_vccnz .LBB30_134
; %bb.129:
	v_cmp_gt_i16_sdwa s[42:43], s33, v2 src0_sel:BYTE_0 src1_sel:DWORD
	s_and_b64 vcc, exec, s[42:43]
	s_cbranch_vccz .LBB30_131
; %bb.130:
	v_mov_b32_e32 v2, s8
	s_mov_b64 s[40:41], 0
	global_store_dword v[6:7], v2, off
.LBB30_131:
	s_andn2_b64 vcc, exec, s[40:41]
	s_cbranch_vccnz .LBB30_133
; %bb.132:
	v_mov_b32_e32 v2, s8
	global_store_short v[6:7], v2, off
.LBB30_133:
	s_mov_b64 s[40:41], 0
.LBB30_134:
	s_andn2_b64 vcc, exec, s[40:41]
	s_cbranch_vccnz .LBB30_139
; %bb.135:
	s_andn2_b64 vcc, exec, s[26:27]
	v_mov_b32_e32 v2, 0x80
	s_cbranch_vccnz .LBB30_138
; %bb.136:
	s_or_b64 s[40:41], s[2:3], s[28:29]
	s_andn2_b64 vcc, exec, s[40:41]
	v_mov_b32_e32 v2, 0
	s_cbranch_vccnz .LBB30_138
; %bb.137:
	v_mov_b32_e32 v2, s60
	v_cndmask_b32_e64 v2, v13, v2, s[2:3]
	v_or_b32_e32 v2, v2, v10
.LBB30_138:
	global_store_byte v[6:7], v2, off
.LBB30_139:
	s_mov_b64 s[40:41], -1
.LBB30_140:
	s_mov_b64 s[42:43], 0
.LBB30_141:
	s_and_b64 vcc, exec, s[42:43]
	s_cbranch_vccz .LBB30_163
; %bb.142:
	v_mov_b32_e32 v2, 22
	v_cmp_gt_i16_sdwa s[44:45], s33, v2 src0_sel:BYTE_0 src1_sel:DWORD
	s_mov_b64 s[42:43], -1
	s_and_b64 vcc, exec, s[44:45]
	s_cbranch_vccz .LBB30_155
; %bb.143:
	v_mov_b32_e32 v2, 24
	v_cmp_lt_i16_sdwa s[42:43], s33, v2 src0_sel:BYTE_0 src1_sel:DWORD
	s_mov_b64 s[40:41], -1
	s_and_b64 vcc, exec, s[42:43]
	s_cbranch_vccnz .LBB30_152
; %bb.144:
	v_cmp_gt_i16_sdwa s[42:43], s33, v2 src0_sel:BYTE_0 src1_sel:DWORD
	s_and_b64 vcc, exec, s[42:43]
	s_cbranch_vccz .LBB30_149
; %bb.145:
	s_andn2_b64 vcc, exec, s[22:23]
	v_mov_b32_e32 v2, 0x80
	s_cbranch_vccnz .LBB30_148
; %bb.146:
	s_or_b64 s[40:41], s[0:1], s[24:25]
	s_andn2_b64 vcc, exec, s[40:41]
	v_mov_b32_e32 v2, 0
	s_cbranch_vccnz .LBB30_148
; %bb.147:
	v_mov_b32_e32 v2, s58
	v_cndmask_b32_e64 v2, v12, v2, s[0:1]
	v_or_b32_e32 v2, v2, v10
.LBB30_148:
	s_mov_b64 s[40:41], 0
	global_store_byte v[6:7], v2, off
.LBB30_149:
	s_and_b64 vcc, exec, s[40:41]
	s_cbranch_vccz .LBB30_151
; %bb.150:
	s_and_b64 s[40:41], s[20:21], exec
	s_cselect_b32 s42, s57, s56
	s_and_b64 s[40:41], s[18:19], exec
	s_cselect_b32 s40, s59, s42
	v_or_b32_e32 v2, s40, v10
	global_store_byte v[6:7], v2, off
.LBB30_151:
	s_mov_b64 s[40:41], 0
.LBB30_152:
	s_andn2_b64 vcc, exec, s[40:41]
	s_cbranch_vccnz .LBB30_154
; %bb.153:
	s_and_b64 s[40:41], s[16:17], exec
	s_cselect_b32 s42, s54, s53
	s_and_b64 s[40:41], s[14:15], exec
	s_cselect_b32 s40, s55, s42
	v_or_b32_e32 v2, s40, v10
	global_store_byte v[6:7], v2, off
.LBB30_154:
	s_mov_b64 s[42:43], 0
	s_mov_b64 s[40:41], -1
.LBB30_155:
	s_andn2_b64 vcc, exec, s[42:43]
	s_cbranch_vccnz .LBB30_163
; %bb.156:
	v_mov_b32_e32 v2, 14
	v_cmp_gt_i16_sdwa s[44:45], s33, v2 src0_sel:BYTE_0 src1_sel:DWORD
	s_mov_b64 s[42:43], -1
	s_and_b64 vcc, exec, s[44:45]
	s_cbranch_vccz .LBB30_160
; %bb.157:
	v_mov_b32_e32 v2, 15
	v_cmp_eq_u16_sdwa s[42:43], s33, v2 src0_sel:BYTE_0 src1_sel:DWORD
	s_mov_b64 s[36:37], -1
	s_and_b64 vcc, exec, s[42:43]
	s_cbranch_vccz .LBB30_159
; %bb.158:
	global_store_short v[6:7], v11, off
	s_mov_b64 s[40:41], -1
	s_mov_b64 s[36:37], 0
.LBB30_159:
	s_mov_b64 s[42:43], 0
.LBB30_160:
	s_and_b64 vcc, exec, s[42:43]
	s_cbranch_vccz .LBB30_163
; %bb.161:
	v_mov_b32_e32 v2, 11
	v_cmp_eq_u16_sdwa s[42:43], s33, v2 src0_sel:BYTE_0 src1_sel:DWORD
	s_mov_b64 s[36:37], -1
	s_and_b64 vcc, exec, s[42:43]
	s_cbranch_vccz .LBB30_163
; %bb.162:
	s_mov_b64 s[40:41], -1
	s_mov_b64 s[36:37], 0
	global_store_byte v[6:7], v9, off
.LBB30_163:
	s_branch .LBB30_113
.LBB30_164:
	v_mov_b32_e32 v2, 5
	v_cmp_lt_i16_sdwa s[42:43], s33, v2 src0_sel:BYTE_0 src1_sel:DWORD
	s_mov_b64 s[40:41], -1
	s_and_b64 vcc, exec, s[42:43]
	s_cbranch_vccnz .LBB30_185
; %bb.165:
	v_mov_b32_e32 v2, 8
	v_cmp_lt_i16_sdwa s[42:43], s33, v2 src0_sel:BYTE_0 src1_sel:DWORD
	s_and_b64 vcc, exec, s[42:43]
	s_cbranch_vccnz .LBB30_175
; %bb.166:
	v_mov_b32_e32 v2, 9
	v_cmp_lt_i16_sdwa s[42:43], s33, v2 src0_sel:BYTE_0 src1_sel:DWORD
	s_and_b64 vcc, exec, s[42:43]
	s_cbranch_vccnz .LBB30_172
; %bb.167:
	v_cmp_gt_i16_sdwa s[42:43], s33, v2 src0_sel:BYTE_0 src1_sel:DWORD
	s_and_b64 vcc, exec, s[42:43]
	s_cbranch_vccz .LBB30_169
; %bb.168:
	v_mov_b32_e32 v2, 0
	v_mov_b32_e32 v3, v2
	s_mov_b64 s[40:41], 0
	global_store_dwordx4 v[6:7], v[0:3], off
.LBB30_169:
	s_andn2_b64 vcc, exec, s[40:41]
	s_cbranch_vccnz .LBB30_171
; %bb.170:
	v_mov_b32_e32 v5, 0
	global_store_dwordx2 v[6:7], v[4:5], off
.LBB30_171:
	s_mov_b64 s[40:41], 0
.LBB30_172:
	s_andn2_b64 vcc, exec, s[40:41]
	s_cbranch_vccnz .LBB30_174
; %bb.173:
	global_store_dword v[6:7], v8, off
.LBB30_174:
	s_mov_b64 s[40:41], 0
.LBB30_175:
	s_andn2_b64 vcc, exec, s[40:41]
	s_cbranch_vccnz .LBB30_184
; %bb.176:
	v_mov_b32_e32 v2, 6
	v_cmp_lt_i16_sdwa s[42:43], s33, v2 src0_sel:BYTE_0 src1_sel:DWORD
	s_mov_b64 s[40:41], -1
	s_and_b64 vcc, exec, s[42:43]
	s_cbranch_vccnz .LBB30_182
; %bb.177:
	v_cmp_gt_i16_sdwa s[42:43], s33, v2 src0_sel:BYTE_0 src1_sel:DWORD
	s_and_b64 vcc, exec, s[42:43]
	s_cbranch_vccz .LBB30_179
; %bb.178:
	s_mov_b64 s[40:41], 0
	global_store_dwordx2 v[6:7], v[0:1], off
.LBB30_179:
	s_andn2_b64 vcc, exec, s[40:41]
	s_cbranch_vccnz .LBB30_181
; %bb.180:
	global_store_dword v[6:7], v4, off
.LBB30_181:
	s_mov_b64 s[40:41], 0
.LBB30_182:
	s_andn2_b64 vcc, exec, s[40:41]
	s_cbranch_vccnz .LBB30_184
; %bb.183:
	global_store_short v[6:7], v8, off
.LBB30_184:
	s_mov_b64 s[40:41], 0
.LBB30_185:
	s_andn2_b64 vcc, exec, s[40:41]
	s_cbranch_vccnz .LBB30_201
; %bb.186:
	v_mov_b32_e32 v2, 2
	v_cmp_lt_i16_sdwa s[42:43], s33, v2 src0_sel:BYTE_0 src1_sel:DWORD
	s_mov_b64 s[40:41], -1
	s_and_b64 vcc, exec, s[42:43]
	s_cbranch_vccnz .LBB30_196
; %bb.187:
	v_mov_b32_e32 v2, 3
	v_cmp_lt_i16_sdwa s[42:43], s33, v2 src0_sel:BYTE_0 src1_sel:DWORD
	s_and_b64 vcc, exec, s[42:43]
	s_cbranch_vccnz .LBB30_193
; %bb.188:
	v_cmp_gt_i16_sdwa s[42:43], s33, v2 src0_sel:BYTE_0 src1_sel:DWORD
	s_and_b64 vcc, exec, s[42:43]
	s_cbranch_vccz .LBB30_190
; %bb.189:
	v_pk_mov_b32 v[2:3], s[8:9], s[8:9] op_sel:[0,1]
	s_mov_b64 s[40:41], 0
	global_store_dwordx2 v[6:7], v[2:3], off
.LBB30_190:
	s_andn2_b64 vcc, exec, s[40:41]
	s_cbranch_vccnz .LBB30_192
; %bb.191:
	v_mov_b32_e32 v2, s8
	global_store_dword v[6:7], v2, off
.LBB30_192:
	s_mov_b64 s[40:41], 0
.LBB30_193:
	s_andn2_b64 vcc, exec, s[40:41]
	s_cbranch_vccnz .LBB30_195
; %bb.194:
	v_mov_b32_e32 v2, s8
	global_store_short v[6:7], v2, off
.LBB30_195:
	s_mov_b64 s[40:41], 0
.LBB30_196:
	s_andn2_b64 vcc, exec, s[40:41]
	s_cbranch_vccnz .LBB30_201
; %bb.197:
	v_mov_b32_e32 v2, 0
	v_cmp_gt_i16_sdwa s[42:43], s33, v2 src0_sel:BYTE_0 src1_sel:DWORD
	s_mov_b64 s[40:41], -1
	s_and_b64 vcc, exec, s[42:43]
	s_cbranch_vccz .LBB30_199
; %bb.198:
	v_mov_b32_e32 v2, s8
	s_mov_b64 s[40:41], 0
	global_store_byte v[6:7], v2, off
.LBB30_199:
	s_andn2_b64 vcc, exec, s[40:41]
	s_cbranch_vccnz .LBB30_201
; %bb.200:
	v_mov_b32_e32 v2, s8
	global_store_byte v[6:7], v2, off
.LBB30_201:
	s_branch .LBB30_114
.LBB30_202:
	s_mov_b64 s[40:41], 0
                                        ; implicit-def: $vgpr15
.LBB30_203:
	s_andn2_b64 s[42:43], s[30:31], exec
	s_and_b64 s[36:37], s[36:37], exec
	s_or_b64 s[36:37], s[42:43], s[36:37]
	s_orn2_b64 s[42:43], s[40:41], exec
.LBB30_204:
	s_or_b64 exec, exec, s[38:39]
	s_mov_b64 s[44:45], 0
	s_mov_b64 s[40:41], 0
                                        ; implicit-def: $vgpr16
                                        ; implicit-def: $vgpr6_vgpr7
	s_and_saveexec_b64 s[38:39], s[42:43]
	s_cbranch_execz .LBB30_363
; %bb.205:
	v_cmp_gt_i32_e32 vcc, s48, v15
	s_mov_b64 s[46:47], -1
	s_mov_b64 s[42:43], s[36:37]
	s_and_saveexec_b64 s[40:41], vcc
	s_cbranch_execz .LBB30_306
; %bb.206:
	v_mul_lo_u32 v2, v15, s52
	v_ashrrev_i32_e32 v3, 31, v2
	v_mov_b32_e32 v5, s11
	v_add_co_u32_e32 v6, vcc, s10, v2
	v_mov_b32_e32 v2, 11
	v_addc_co_u32_e32 v7, vcc, v5, v3, vcc
	v_cmp_lt_i16_sdwa s[42:43], s33, v2 src0_sel:BYTE_0 src1_sel:DWORD
	s_and_b64 vcc, exec, s[42:43]
	s_cbranch_vccnz .LBB30_213
; %bb.207:
	v_mov_b32_e32 v2, 25
	v_cmp_gt_i16_sdwa s[42:43], s33, v2 src0_sel:BYTE_0 src1_sel:DWORD
	s_and_b64 vcc, exec, s[42:43]
	s_cbranch_vccz .LBB30_214
; %bb.208:
	v_mov_b32_e32 v2, 28
	v_cmp_gt_i16_sdwa s[42:43], s33, v2 src0_sel:BYTE_0 src1_sel:DWORD
	s_and_b64 vcc, exec, s[42:43]
	s_cbranch_vccz .LBB30_215
	;; [unrolled: 5-line block ×4, first 2 shown]
; %bb.211:
	v_mov_b32_e32 v2, 46
	v_cmp_eq_u16_sdwa s[44:45], s33, v2 src0_sel:BYTE_0 src1_sel:DWORD
	s_mov_b64 s[46:47], 0
	s_mov_b64 s[42:43], -1
	s_and_b64 vcc, exec, s[44:45]
	s_mov_b64 s[44:45], 0
	s_cbranch_vccz .LBB30_218
; %bb.212:
	global_store_dword v[6:7], v11, off
	s_mov_b64 s[44:45], -1
	s_mov_b64 s[42:43], 0
	s_branch .LBB30_218
.LBB30_213:
	s_mov_b64 s[42:43], s[36:37]
	s_branch .LBB30_263
.LBB30_214:
	s_mov_b64 s[42:43], s[36:37]
	s_branch .LBB30_240
.LBB30_215:
	s_mov_b64 s[42:43], s[36:37]
	s_branch .LBB30_226
.LBB30_216:
	s_mov_b64 s[42:43], s[36:37]
	s_branch .LBB30_222
.LBB30_217:
	s_mov_b64 s[42:43], s[36:37]
.LBB30_218:
	s_and_b64 vcc, exec, s[46:47]
	s_cbranch_vccz .LBB30_221
; %bb.219:
	v_mov_b32_e32 v2, 44
	v_cmp_eq_u16_sdwa s[46:47], s33, v2 src0_sel:BYTE_0 src1_sel:DWORD
	s_mov_b64 s[42:43], -1
	s_and_b64 vcc, exec, s[46:47]
	s_cbranch_vccz .LBB30_221
; %bb.220:
	v_mov_b32_e32 v2, 0xff
	v_cndmask_b32_e64 v2, v14, v2, s[4:5]
	s_mov_b64 s[44:45], -1
	s_mov_b64 s[42:43], 0
	global_store_byte v[6:7], v2, off
.LBB30_221:
	s_mov_b64 s[46:47], 0
.LBB30_222:
	s_and_b64 vcc, exec, s[46:47]
	s_cbranch_vccz .LBB30_225
; %bb.223:
	v_mov_b32_e32 v2, 29
	v_cmp_eq_u16_sdwa s[46:47], s33, v2 src0_sel:BYTE_0 src1_sel:DWORD
	s_mov_b64 s[42:43], -1
	s_and_b64 vcc, exec, s[46:47]
	s_cbranch_vccz .LBB30_225
; %bb.224:
	v_pk_mov_b32 v[2:3], s[8:9], s[8:9] op_sel:[0,1]
	global_store_dwordx2 v[6:7], v[2:3], off
	s_mov_b64 s[44:45], -1
	s_mov_b64 s[42:43], 0
.LBB30_225:
	s_mov_b64 s[46:47], 0
.LBB30_226:
	s_and_b64 vcc, exec, s[46:47]
	s_cbranch_vccz .LBB30_239
; %bb.227:
	v_mov_b32_e32 v2, 27
	v_cmp_lt_i16_sdwa s[46:47], s33, v2 src0_sel:BYTE_0 src1_sel:DWORD
	s_mov_b64 s[44:45], -1
	s_and_b64 vcc, exec, s[46:47]
	s_cbranch_vccnz .LBB30_233
; %bb.228:
	v_cmp_gt_i16_sdwa s[46:47], s33, v2 src0_sel:BYTE_0 src1_sel:DWORD
	s_and_b64 vcc, exec, s[46:47]
	s_cbranch_vccz .LBB30_230
; %bb.229:
	v_mov_b32_e32 v2, s8
	s_mov_b64 s[44:45], 0
	global_store_dword v[6:7], v2, off
.LBB30_230:
	s_andn2_b64 vcc, exec, s[44:45]
	s_cbranch_vccnz .LBB30_232
; %bb.231:
	v_mov_b32_e32 v2, s8
	global_store_short v[6:7], v2, off
.LBB30_232:
	s_mov_b64 s[44:45], 0
.LBB30_233:
	s_andn2_b64 vcc, exec, s[44:45]
	s_cbranch_vccnz .LBB30_238
; %bb.234:
	s_andn2_b64 vcc, exec, s[26:27]
	v_mov_b32_e32 v2, 0x80
	s_cbranch_vccnz .LBB30_237
; %bb.235:
	s_or_b64 s[44:45], s[2:3], s[28:29]
	s_andn2_b64 vcc, exec, s[44:45]
	v_mov_b32_e32 v2, 0
	s_cbranch_vccnz .LBB30_237
; %bb.236:
	v_mov_b32_e32 v2, s60
	v_cndmask_b32_e64 v2, v13, v2, s[2:3]
	v_or_b32_e32 v2, v2, v10
.LBB30_237:
	global_store_byte v[6:7], v2, off
.LBB30_238:
	s_mov_b64 s[44:45], -1
.LBB30_239:
	s_mov_b64 s[46:47], 0
.LBB30_240:
	s_and_b64 vcc, exec, s[46:47]
	s_cbranch_vccz .LBB30_262
; %bb.241:
	v_mov_b32_e32 v2, 22
	v_cmp_gt_i16_sdwa s[50:51], s33, v2 src0_sel:BYTE_0 src1_sel:DWORD
	s_mov_b64 s[46:47], -1
	s_and_b64 vcc, exec, s[50:51]
	s_cbranch_vccz .LBB30_254
; %bb.242:
	v_mov_b32_e32 v2, 24
	v_cmp_lt_i16_sdwa s[46:47], s33, v2 src0_sel:BYTE_0 src1_sel:DWORD
	s_mov_b64 s[44:45], -1
	s_and_b64 vcc, exec, s[46:47]
	s_cbranch_vccnz .LBB30_251
; %bb.243:
	v_cmp_gt_i16_sdwa s[46:47], s33, v2 src0_sel:BYTE_0 src1_sel:DWORD
	s_and_b64 vcc, exec, s[46:47]
	s_cbranch_vccz .LBB30_248
; %bb.244:
	s_andn2_b64 vcc, exec, s[22:23]
	v_mov_b32_e32 v2, 0x80
	s_cbranch_vccnz .LBB30_247
; %bb.245:
	s_or_b64 s[44:45], s[0:1], s[24:25]
	s_andn2_b64 vcc, exec, s[44:45]
	v_mov_b32_e32 v2, 0
	s_cbranch_vccnz .LBB30_247
; %bb.246:
	v_mov_b32_e32 v2, s58
	v_cndmask_b32_e64 v2, v12, v2, s[0:1]
	v_or_b32_e32 v2, v2, v10
.LBB30_247:
	s_mov_b64 s[44:45], 0
	global_store_byte v[6:7], v2, off
.LBB30_248:
	s_and_b64 vcc, exec, s[44:45]
	s_cbranch_vccz .LBB30_250
; %bb.249:
	s_and_b64 s[44:45], s[20:21], exec
	s_cselect_b32 s46, s57, s56
	s_and_b64 s[44:45], s[18:19], exec
	s_cselect_b32 s44, s59, s46
	v_or_b32_e32 v2, s44, v10
	global_store_byte v[6:7], v2, off
.LBB30_250:
	s_mov_b64 s[44:45], 0
.LBB30_251:
	s_andn2_b64 vcc, exec, s[44:45]
	s_cbranch_vccnz .LBB30_253
; %bb.252:
	s_and_b64 s[44:45], s[16:17], exec
	s_cselect_b32 s46, s54, s53
	s_and_b64 s[44:45], s[14:15], exec
	s_cselect_b32 s44, s55, s46
	v_or_b32_e32 v2, s44, v10
	global_store_byte v[6:7], v2, off
.LBB30_253:
	s_mov_b64 s[46:47], 0
	s_mov_b64 s[44:45], -1
.LBB30_254:
	s_andn2_b64 vcc, exec, s[46:47]
	s_cbranch_vccnz .LBB30_262
; %bb.255:
	v_mov_b32_e32 v2, 14
	v_cmp_gt_i16_sdwa s[50:51], s33, v2 src0_sel:BYTE_0 src1_sel:DWORD
	s_mov_b64 s[46:47], -1
	s_and_b64 vcc, exec, s[50:51]
	s_cbranch_vccz .LBB30_259
; %bb.256:
	v_mov_b32_e32 v2, 15
	v_cmp_eq_u16_sdwa s[46:47], s33, v2 src0_sel:BYTE_0 src1_sel:DWORD
	s_mov_b64 s[42:43], -1
	s_and_b64 vcc, exec, s[46:47]
	s_cbranch_vccz .LBB30_258
; %bb.257:
	global_store_short v[6:7], v11, off
	s_mov_b64 s[44:45], -1
	s_mov_b64 s[42:43], 0
.LBB30_258:
	s_mov_b64 s[46:47], 0
.LBB30_259:
	s_and_b64 vcc, exec, s[46:47]
	s_cbranch_vccz .LBB30_262
; %bb.260:
	v_mov_b32_e32 v2, 11
	v_cmp_eq_u16_sdwa s[46:47], s33, v2 src0_sel:BYTE_0 src1_sel:DWORD
	s_mov_b64 s[42:43], -1
	s_and_b64 vcc, exec, s[46:47]
	s_cbranch_vccz .LBB30_262
; %bb.261:
	s_mov_b64 s[44:45], -1
	s_mov_b64 s[42:43], 0
	global_store_byte v[6:7], v9, off
.LBB30_262:
	s_mov_b64 s[46:47], 0
.LBB30_263:
	s_and_b64 vcc, exec, s[46:47]
	s_cbranch_vccz .LBB30_302
; %bb.264:
	v_mov_b32_e32 v2, 5
	v_cmp_lt_i16_sdwa s[46:47], s33, v2 src0_sel:BYTE_0 src1_sel:DWORD
	s_mov_b64 s[44:45], -1
	s_and_b64 vcc, exec, s[46:47]
	s_cbranch_vccnz .LBB30_285
; %bb.265:
	v_mov_b32_e32 v2, 8
	v_cmp_lt_i16_sdwa s[46:47], s33, v2 src0_sel:BYTE_0 src1_sel:DWORD
	s_and_b64 vcc, exec, s[46:47]
	s_cbranch_vccnz .LBB30_275
; %bb.266:
	v_mov_b32_e32 v2, 9
	v_cmp_lt_i16_sdwa s[46:47], s33, v2 src0_sel:BYTE_0 src1_sel:DWORD
	s_and_b64 vcc, exec, s[46:47]
	s_cbranch_vccnz .LBB30_272
; %bb.267:
	v_cmp_gt_i16_sdwa s[46:47], s33, v2 src0_sel:BYTE_0 src1_sel:DWORD
	s_and_b64 vcc, exec, s[46:47]
	s_cbranch_vccz .LBB30_269
; %bb.268:
	v_mov_b32_e32 v2, 0
	v_mov_b32_e32 v3, v2
	s_mov_b64 s[44:45], 0
	global_store_dwordx4 v[6:7], v[0:3], off
.LBB30_269:
	s_andn2_b64 vcc, exec, s[44:45]
	s_cbranch_vccnz .LBB30_271
; %bb.270:
	v_mov_b32_e32 v5, 0
	global_store_dwordx2 v[6:7], v[4:5], off
.LBB30_271:
	s_mov_b64 s[44:45], 0
.LBB30_272:
	s_andn2_b64 vcc, exec, s[44:45]
	s_cbranch_vccnz .LBB30_274
; %bb.273:
	global_store_dword v[6:7], v8, off
.LBB30_274:
	s_mov_b64 s[44:45], 0
.LBB30_275:
	s_andn2_b64 vcc, exec, s[44:45]
	s_cbranch_vccnz .LBB30_284
; %bb.276:
	v_mov_b32_e32 v2, 6
	v_cmp_lt_i16_sdwa s[46:47], s33, v2 src0_sel:BYTE_0 src1_sel:DWORD
	s_mov_b64 s[44:45], -1
	s_and_b64 vcc, exec, s[46:47]
	s_cbranch_vccnz .LBB30_282
; %bb.277:
	v_cmp_gt_i16_sdwa s[46:47], s33, v2 src0_sel:BYTE_0 src1_sel:DWORD
	s_and_b64 vcc, exec, s[46:47]
	s_cbranch_vccz .LBB30_279
; %bb.278:
	s_mov_b64 s[44:45], 0
	global_store_dwordx2 v[6:7], v[0:1], off
.LBB30_279:
	s_andn2_b64 vcc, exec, s[44:45]
	s_cbranch_vccnz .LBB30_281
; %bb.280:
	global_store_dword v[6:7], v4, off
.LBB30_281:
	s_mov_b64 s[44:45], 0
.LBB30_282:
	s_andn2_b64 vcc, exec, s[44:45]
	s_cbranch_vccnz .LBB30_284
; %bb.283:
	global_store_short v[6:7], v8, off
.LBB30_284:
	s_mov_b64 s[44:45], 0
.LBB30_285:
	s_andn2_b64 vcc, exec, s[44:45]
	s_cbranch_vccnz .LBB30_301
; %bb.286:
	v_mov_b32_e32 v2, 2
	v_cmp_lt_i16_sdwa s[46:47], s33, v2 src0_sel:BYTE_0 src1_sel:DWORD
	s_mov_b64 s[44:45], -1
	s_and_b64 vcc, exec, s[46:47]
	s_cbranch_vccnz .LBB30_296
; %bb.287:
	v_mov_b32_e32 v2, 3
	v_cmp_lt_i16_sdwa s[46:47], s33, v2 src0_sel:BYTE_0 src1_sel:DWORD
	s_and_b64 vcc, exec, s[46:47]
	s_cbranch_vccnz .LBB30_293
; %bb.288:
	v_cmp_gt_i16_sdwa s[46:47], s33, v2 src0_sel:BYTE_0 src1_sel:DWORD
	s_and_b64 vcc, exec, s[46:47]
	s_cbranch_vccz .LBB30_290
; %bb.289:
	v_pk_mov_b32 v[2:3], s[8:9], s[8:9] op_sel:[0,1]
	s_mov_b64 s[44:45], 0
	global_store_dwordx2 v[6:7], v[2:3], off
.LBB30_290:
	s_andn2_b64 vcc, exec, s[44:45]
	s_cbranch_vccnz .LBB30_292
; %bb.291:
	v_mov_b32_e32 v2, s8
	global_store_dword v[6:7], v2, off
.LBB30_292:
	s_mov_b64 s[44:45], 0
.LBB30_293:
	s_andn2_b64 vcc, exec, s[44:45]
	s_cbranch_vccnz .LBB30_295
; %bb.294:
	v_mov_b32_e32 v2, s8
	global_store_short v[6:7], v2, off
.LBB30_295:
	s_mov_b64 s[44:45], 0
.LBB30_296:
	s_andn2_b64 vcc, exec, s[44:45]
	s_cbranch_vccnz .LBB30_301
; %bb.297:
	v_mov_b32_e32 v2, 0
	v_cmp_gt_i16_sdwa s[46:47], s33, v2 src0_sel:BYTE_0 src1_sel:DWORD
	s_mov_b64 s[44:45], -1
	s_and_b64 vcc, exec, s[46:47]
	s_cbranch_vccz .LBB30_299
; %bb.298:
	v_mov_b32_e32 v2, s8
	s_mov_b64 s[44:45], 0
	global_store_byte v[6:7], v2, off
.LBB30_299:
	s_andn2_b64 vcc, exec, s[44:45]
	s_cbranch_vccnz .LBB30_301
; %bb.300:
	v_mov_b32_e32 v2, s8
	global_store_byte v[6:7], v2, off
.LBB30_301:
	s_mov_b64 s[44:45], -1
.LBB30_302:
	s_andn2_b64 vcc, exec, s[44:45]
	s_cbranch_vccnz .LBB30_304
; %bb.303:
	v_add_u32_e32 v15, 0x80, v15
	s_mov_b64 s[44:45], -1
	s_branch .LBB30_305
.LBB30_304:
	s_mov_b64 s[44:45], 0
                                        ; implicit-def: $vgpr15
.LBB30_305:
	s_andn2_b64 s[46:47], s[36:37], exec
	s_and_b64 s[42:43], s[42:43], exec
	s_or_b64 s[42:43], s[46:47], s[42:43]
	s_orn2_b64 s[46:47], s[44:45], exec
.LBB30_306:
	s_or_b64 exec, exec, s[40:41]
	s_mov_b64 s[44:45], 0
	s_mov_b64 s[50:51], 0
                                        ; implicit-def: $vgpr16
                                        ; implicit-def: $vgpr6_vgpr7
	s_and_saveexec_b64 s[40:41], s[46:47]
	s_cbranch_execz .LBB30_362
; %bb.307:
	v_cmp_gt_i32_e32 vcc, s48, v15
	s_mov_b64 s[48:49], 0
	s_mov_b64 s[46:47], s[42:43]
                                        ; implicit-def: $vgpr16
                                        ; implicit-def: $vgpr6_vgpr7
	s_and_saveexec_b64 s[44:45], vcc
	s_cbranch_execz .LBB30_361
; %bb.308:
	v_mul_lo_u32 v2, v15, s52
	v_ashrrev_i32_e32 v3, 31, v2
	v_mov_b32_e32 v5, s11
	v_add_co_u32_e32 v6, vcc, s10, v2
	v_mov_b32_e32 v2, 0xff
	v_addc_co_u32_e32 v7, vcc, v5, v3, vcc
	v_and_b32_e32 v16, s33, v2
	v_cmp_gt_i16_e32 vcc, 11, v16
	s_cbranch_vccnz .LBB30_358
; %bb.309:
	v_cmp_lt_i16_e32 vcc, 25, v16
	s_mov_b64 s[48:49], -1
	s_mov_b64 s[46:47], s[42:43]
	s_cbranch_vccz .LBB30_337
; %bb.310:
	v_cmp_lt_i16_e32 vcc, 28, v16
	s_mov_b64 s[46:47], s[42:43]
	s_cbranch_vccz .LBB30_324
; %bb.311:
	v_cmp_lt_i16_e32 vcc, 43, v16
	;; [unrolled: 4-line block ×3, first 2 shown]
	s_mov_b64 s[46:47], s[42:43]
	s_cbranch_vccz .LBB30_316
; %bb.313:
	v_cmp_eq_u16_e32 vcc, 46, v16
	s_mov_b64 s[46:47], -1
	s_cbranch_vccz .LBB30_315
; %bb.314:
	global_store_dword v[6:7], v11, off
	s_mov_b64 s[46:47], 0
.LBB30_315:
	s_mov_b64 s[48:49], 0
.LBB30_316:
	s_and_b64 vcc, exec, s[48:49]
	s_cbranch_vccz .LBB30_319
; %bb.317:
	v_cmp_eq_u16_e32 vcc, 44, v16
	s_mov_b64 s[46:47], -1
	s_cbranch_vccz .LBB30_319
; %bb.318:
	v_mov_b32_e32 v2, 0xff
	v_cndmask_b32_e64 v2, v14, v2, s[4:5]
	global_store_byte v[6:7], v2, off
	s_mov_b64 s[46:47], 0
.LBB30_319:
	s_mov_b64 s[48:49], 0
.LBB30_320:
	s_and_b64 vcc, exec, s[48:49]
	s_cbranch_vccz .LBB30_323
; %bb.321:
	v_cmp_eq_u16_e32 vcc, 29, v16
	s_mov_b64 s[46:47], -1
	s_cbranch_vccz .LBB30_323
; %bb.322:
	v_pk_mov_b32 v[2:3], s[8:9], s[8:9] op_sel:[0,1]
	global_store_dwordx2 v[6:7], v[2:3], off
	s_mov_b64 s[46:47], 0
.LBB30_323:
	s_mov_b64 s[48:49], 0
.LBB30_324:
	s_and_b64 vcc, exec, s[48:49]
	s_cbranch_vccz .LBB30_336
; %bb.325:
	v_cmp_gt_i16_e32 vcc, 27, v16
	s_mov_b64 s[4:5], -1
	s_cbranch_vccnz .LBB30_331
; %bb.326:
	v_cmp_lt_i16_e32 vcc, 27, v16
	s_cbranch_vccz .LBB30_328
; %bb.327:
	v_mov_b32_e32 v2, s8
	s_mov_b64 s[4:5], 0
	global_store_dword v[6:7], v2, off
.LBB30_328:
	s_andn2_b64 vcc, exec, s[4:5]
	s_cbranch_vccnz .LBB30_330
; %bb.329:
	v_mov_b32_e32 v2, s8
	global_store_short v[6:7], v2, off
.LBB30_330:
	s_mov_b64 s[4:5], 0
.LBB30_331:
	s_andn2_b64 vcc, exec, s[4:5]
	s_cbranch_vccnz .LBB30_336
; %bb.332:
	s_andn2_b64 vcc, exec, s[26:27]
	v_mov_b32_e32 v2, 0x80
	s_cbranch_vccnz .LBB30_335
; %bb.333:
	s_or_b64 s[4:5], s[2:3], s[28:29]
	s_andn2_b64 vcc, exec, s[4:5]
	v_mov_b32_e32 v2, 0
	s_cbranch_vccnz .LBB30_335
; %bb.334:
	v_mov_b32_e32 v2, s60
	v_cndmask_b32_e64 v2, v13, v2, s[2:3]
	v_or_b32_e32 v2, v2, v10
.LBB30_335:
	global_store_byte v[6:7], v2, off
.LBB30_336:
	s_mov_b64 s[48:49], 0
.LBB30_337:
	s_mov_b64 s[2:3], 0
	s_and_b64 vcc, exec, s[48:49]
	s_cbranch_vccz .LBB30_359
; %bb.338:
	v_cmp_lt_i16_e32 vcc, 22, v16
	s_mov_b64 s[4:5], -1
	s_cbranch_vccz .LBB30_351
; %bb.339:
	v_cmp_gt_i16_e32 vcc, 24, v16
	s_cbranch_vccnz .LBB30_348
; %bb.340:
	v_cmp_lt_i16_e32 vcc, 24, v16
	s_cbranch_vccz .LBB30_345
; %bb.341:
	s_andn2_b64 vcc, exec, s[22:23]
	v_mov_b32_e32 v2, 0x80
	s_cbranch_vccnz .LBB30_344
; %bb.342:
	s_or_b64 s[4:5], s[0:1], s[24:25]
	s_andn2_b64 vcc, exec, s[4:5]
	v_mov_b32_e32 v2, 0
	s_cbranch_vccnz .LBB30_344
; %bb.343:
	v_mov_b32_e32 v2, s58
	v_cndmask_b32_e64 v2, v12, v2, s[0:1]
	v_or_b32_e32 v2, v2, v10
.LBB30_344:
	s_mov_b64 s[4:5], 0
	global_store_byte v[6:7], v2, off
.LBB30_345:
	s_and_b64 vcc, exec, s[4:5]
	s_cbranch_vccz .LBB30_347
; %bb.346:
	s_and_b64 s[0:1], s[20:21], exec
	s_cselect_b32 s4, s57, s56
	s_and_b64 s[0:1], s[18:19], exec
	s_cselect_b32 s0, s59, s4
	v_or_b32_e32 v2, s0, v10
	global_store_byte v[6:7], v2, off
.LBB30_347:
	s_mov_b64 s[4:5], 0
.LBB30_348:
	s_andn2_b64 vcc, exec, s[4:5]
	s_cbranch_vccnz .LBB30_350
; %bb.349:
	s_and_b64 s[0:1], s[16:17], exec
	s_cselect_b32 s4, s54, s53
	s_and_b64 s[0:1], s[14:15], exec
	s_cselect_b32 s0, s55, s4
	v_or_b32_e32 v2, s0, v10
	global_store_byte v[6:7], v2, off
.LBB30_350:
	s_mov_b64 s[4:5], 0
.LBB30_351:
	s_andn2_b64 vcc, exec, s[4:5]
	s_mov_b64 s[0:1], 0
	s_cbranch_vccnz .LBB30_360
; %bb.352:
	v_cmp_lt_i16_e32 vcc, 14, v16
	s_mov_b64 s[4:5], -1
	s_cbranch_vccz .LBB30_356
; %bb.353:
	v_cmp_eq_u16_e32 vcc, 15, v16
	s_mov_b64 s[46:47], -1
	s_cbranch_vccz .LBB30_355
; %bb.354:
	global_store_short v[6:7], v11, off
	s_mov_b64 s[46:47], 0
.LBB30_355:
	s_mov_b64 s[4:5], 0
.LBB30_356:
	s_and_b64 vcc, exec, s[4:5]
	s_cbranch_vccz .LBB30_360
; %bb.357:
	v_cmp_ne_u16_e32 vcc, 11, v16
	s_andn2_b64 s[4:5], s[46:47], exec
	s_and_b64 s[14:15], vcc, exec
	s_mov_b64 s[0:1], -1
	s_or_b64 s[46:47], s[4:5], s[14:15]
	s_branch .LBB30_360
.LBB30_358:
	s_mov_b64 s[0:1], 0
	s_mov_b64 s[2:3], -1
	s_mov_b64 s[46:47], s[42:43]
	s_branch .LBB30_360
.LBB30_359:
	s_mov_b64 s[0:1], 0
.LBB30_360:
	s_and_b64 s[50:51], s[2:3], exec
	s_and_b64 s[48:49], s[0:1], exec
	s_andn2_b64 s[0:1], s[42:43], exec
	s_and_b64 s[2:3], s[46:47], exec
	s_or_b64 s[46:47], s[0:1], s[2:3]
.LBB30_361:
	s_or_b64 exec, exec, s[44:45]
	s_andn2_b64 s[0:1], s[42:43], exec
	s_and_b64 s[2:3], s[46:47], exec
	s_and_b64 s[50:51], s[50:51], exec
	;; [unrolled: 1-line block ×3, first 2 shown]
	s_or_b64 s[42:43], s[0:1], s[2:3]
.LBB30_362:
	s_or_b64 exec, exec, s[40:41]
	s_andn2_b64 s[0:1], s[36:37], exec
	s_and_b64 s[2:3], s[42:43], exec
	s_and_b64 s[40:41], s[50:51], exec
	;; [unrolled: 1-line block ×3, first 2 shown]
	s_or_b64 s[36:37], s[0:1], s[2:3]
.LBB30_363:
	s_or_b64 exec, exec, s[38:39]
	s_andn2_b64 s[0:1], s[30:31], exec
	s_and_b64 s[2:3], s[36:37], exec
	s_and_b64 s[40:41], s[40:41], exec
	;; [unrolled: 1-line block ×3, first 2 shown]
	s_or_b64 s[30:31], s[0:1], s[2:3]
	s_or_b64 exec, exec, s[34:35]
	s_mov_b64 s[0:1], 0
	s_and_saveexec_b64 s[2:3], s[30:31]
	s_cbranch_execz .LBB30_110
.LBB30_364:
	s_mov_b64 s[0:1], exec
	s_andn2_b64 s[38:39], s[38:39], exec
	s_trap 2
	s_or_b64 exec, exec, s[2:3]
	s_and_saveexec_b64 s[2:3], s[38:39]
	s_xor_b64 s[2:3], exec, s[2:3]
	s_cbranch_execnz .LBB30_111
.LBB30_365:
	s_or_b64 exec, exec, s[2:3]
	s_and_saveexec_b64 s[2:3], s[40:41]
	s_xor_b64 s[2:3], exec, s[2:3]
	s_cbranch_execz .LBB30_403
.LBB30_366:
	v_cmp_gt_i16_e32 vcc, 5, v16
	s_mov_b64 s[4:5], -1
	s_cbranch_vccnz .LBB30_387
; %bb.367:
	v_cmp_gt_i16_e32 vcc, 8, v16
	s_cbranch_vccnz .LBB30_377
; %bb.368:
	v_cmp_gt_i16_e32 vcc, 9, v16
	s_cbranch_vccnz .LBB30_374
; %bb.369:
	v_cmp_lt_i16_e32 vcc, 9, v16
	s_cbranch_vccz .LBB30_371
; %bb.370:
	v_mov_b32_e32 v2, 0
	v_mov_b32_e32 v3, v2
	s_mov_b64 s[4:5], 0
	global_store_dwordx4 v[6:7], v[0:3], off
.LBB30_371:
	s_andn2_b64 vcc, exec, s[4:5]
	s_cbranch_vccnz .LBB30_373
; %bb.372:
	v_mov_b32_e32 v5, 0
	global_store_dwordx2 v[6:7], v[4:5], off
.LBB30_373:
	s_mov_b64 s[4:5], 0
.LBB30_374:
	s_andn2_b64 vcc, exec, s[4:5]
	s_cbranch_vccnz .LBB30_376
; %bb.375:
	global_store_dword v[6:7], v8, off
.LBB30_376:
	s_mov_b64 s[4:5], 0
.LBB30_377:
	s_andn2_b64 vcc, exec, s[4:5]
	s_cbranch_vccnz .LBB30_386
; %bb.378:
	v_cmp_gt_i16_e32 vcc, 6, v16
	s_mov_b64 s[4:5], -1
	s_cbranch_vccnz .LBB30_384
; %bb.379:
	v_cmp_lt_i16_e32 vcc, 6, v16
	s_cbranch_vccz .LBB30_381
; %bb.380:
	s_mov_b64 s[4:5], 0
	global_store_dwordx2 v[6:7], v[0:1], off
.LBB30_381:
	s_andn2_b64 vcc, exec, s[4:5]
	s_cbranch_vccnz .LBB30_383
; %bb.382:
	global_store_dword v[6:7], v4, off
.LBB30_383:
	s_mov_b64 s[4:5], 0
.LBB30_384:
	s_andn2_b64 vcc, exec, s[4:5]
	s_cbranch_vccnz .LBB30_386
; %bb.385:
	global_store_short v[6:7], v8, off
.LBB30_386:
	s_mov_b64 s[4:5], 0
.LBB30_387:
	s_andn2_b64 vcc, exec, s[4:5]
	s_cbranch_vccnz .LBB30_403
; %bb.388:
	v_cmp_gt_i16_e32 vcc, 2, v16
	s_mov_b64 s[4:5], -1
	s_cbranch_vccnz .LBB30_398
; %bb.389:
	v_cmp_gt_i16_e32 vcc, 3, v16
	s_cbranch_vccnz .LBB30_395
; %bb.390:
	v_cmp_lt_i16_e32 vcc, 3, v16
	s_cbranch_vccz .LBB30_392
; %bb.391:
	v_pk_mov_b32 v[0:1], s[8:9], s[8:9] op_sel:[0,1]
	s_mov_b64 s[4:5], 0
	global_store_dwordx2 v[6:7], v[0:1], off
.LBB30_392:
	s_andn2_b64 vcc, exec, s[4:5]
	s_cbranch_vccnz .LBB30_394
; %bb.393:
	v_mov_b32_e32 v0, s8
	global_store_dword v[6:7], v0, off
.LBB30_394:
	s_mov_b64 s[4:5], 0
.LBB30_395:
	s_andn2_b64 vcc, exec, s[4:5]
	s_cbranch_vccnz .LBB30_397
; %bb.396:
	v_mov_b32_e32 v0, s8
	global_store_short v[6:7], v0, off
.LBB30_397:
	s_mov_b64 s[4:5], 0
.LBB30_398:
	s_andn2_b64 vcc, exec, s[4:5]
	s_cbranch_vccnz .LBB30_403
; %bb.399:
	v_cmp_lt_i16_e32 vcc, 0, v16
	s_mov_b64 s[4:5], -1
	s_cbranch_vccz .LBB30_401
; %bb.400:
	v_mov_b32_e32 v0, s8
	s_mov_b64 s[4:5], 0
	global_store_byte v[6:7], v0, off
.LBB30_401:
	s_andn2_b64 vcc, exec, s[4:5]
	s_cbranch_vccnz .LBB30_403
; %bb.402:
	v_mov_b32_e32 v0, s8
	global_store_byte v[6:7], v0, off
.LBB30_403:
	s_or_b64 exec, exec, s[2:3]
	s_and_b64 s[0:1], s[0:1], exec
                                        ; implicit-def: $vgpr15
.LBB30_404:
	s_or_saveexec_b64 s[2:3], s[12:13]
	s_mov_b64 s[12:13], 0
                                        ; implicit-def: $vgpr2
                                        ; implicit-def: $vgpr0_vgpr1
	s_xor_b64 exec, exec, s[2:3]
	s_cbranch_execz .LBB30_419
; %bb.405:
	v_mul_lo_u32 v2, s52, v15
	v_ashrrev_i32_e32 v1, 31, v2
	v_mov_b32_e32 v3, s11
	v_add_co_u32_e32 v0, vcc, s10, v2
	v_addc_co_u32_e32 v1, vcc, v3, v1, vcc
	v_mov_b32_e32 v3, 11
	v_cmp_lt_i16_sdwa s[4:5], s33, v3 src0_sel:BYTE_0 src1_sel:DWORD
	s_and_b64 vcc, exec, s[4:5]
	s_cbranch_vccnz .LBB30_422
; %bb.406:
	v_mov_b32_e32 v3, 25
	v_cmp_gt_i16_sdwa s[4:5], s33, v3 src0_sel:BYTE_0 src1_sel:DWORD
	s_mov_b64 s[14:15], -1
	s_and_b64 vcc, exec, s[4:5]
	s_mov_b64 s[4:5], 0
	s_cbranch_vccz .LBB30_447
; %bb.407:
	v_mov_b32_e32 v3, 28
	v_cmp_gt_i16_sdwa s[4:5], s33, v3 src0_sel:BYTE_0 src1_sel:DWORD
	s_and_b64 vcc, exec, s[4:5]
	s_cbranch_vccz .LBB30_424
; %bb.408:
	v_mov_b32_e32 v3, 43
	v_cmp_gt_i16_sdwa s[4:5], s33, v3 src0_sel:BYTE_0 src1_sel:DWORD
	s_and_b64 vcc, exec, s[4:5]
	;; [unrolled: 5-line block ×3, first 2 shown]
	s_cbranch_vccz .LBB30_412
; %bb.410:
	v_mov_b32_e32 v3, 46
	v_cmp_eq_u16_sdwa s[12:13], s33, v3 src0_sel:BYTE_0 src1_sel:DWORD
	s_mov_b64 s[4:5], -1
	s_mov_b64 s[14:15], 0
	s_and_b64 vcc, exec, s[12:13]
	s_mov_b64 s[12:13], 0
	s_cbranch_vccz .LBB30_413
; %bb.411:
	s_xor_b32 s5, s8, s9
	s_flbit_i32 s4, s9
	s_ashr_i32 s5, s5, 31
	s_add_i32 s4, s4, -1
	s_add_i32 s5, s5, 32
	s_min_u32 s12, s4, s5
	s_lshl_b64 s[4:5], s[8:9], s12
	s_min_u32 s4, s4, 1
	s_or_b32 s4, s5, s4
	v_cvt_f32_i32_e32 v3, s4
	s_sub_i32 s4, 32, s12
	s_mov_b64 s[12:13], -1
	v_ldexp_f32 v3, v3, s4
	v_bfe_u32 v4, v3, 16, 1
	v_add_u32_e32 v3, v3, v4
	v_add_u32_e32 v3, 0x7fff, v3
	v_lshrrev_b32_e32 v3, 16, v3
	global_store_dword v[0:1], v3, off
.LBB30_412:
	s_mov_b64 s[4:5], 0
.LBB30_413:
	s_and_b64 vcc, exec, s[14:15]
	s_cbranch_vccz .LBB30_418
; %bb.414:
	v_mov_b32_e32 v3, 44
	v_cmp_eq_u16_sdwa s[14:15], s33, v3 src0_sel:BYTE_0 src1_sel:DWORD
	s_mov_b64 s[4:5], -1
	s_and_b64 vcc, exec, s[14:15]
	s_cbranch_vccz .LBB30_418
; %bb.415:
	s_xor_b32 s5, s8, s9
	s_flbit_i32 s4, s9
	s_ashr_i32 s5, s5, 31
	s_add_i32 s4, s4, -1
	s_add_i32 s5, s5, 32
	s_min_u32 s12, s4, s5
	s_lshl_b64 s[4:5], s[8:9], s12
	s_min_u32 s4, s4, 1
	s_or_b32 s4, s5, s4
	v_cvt_f32_i32_e32 v3, s4
	s_sub_i32 s4, 32, s12
	v_mov_b32_e32 v4, 0xff
	v_ldexp_f32 v3, v3, s4
	v_readfirstlane_b32 s4, v3
	s_bfe_u32 s5, s4, 0x80017
	s_cmpk_eq_i32 s5, 0xff
	s_cbranch_scc1 .LBB30_417
; %bb.416:
	s_bitcmp1_b32 s4, 22
	s_cselect_b64 s[12:13], -1, 0
	s_and_b32 s4, s4, 0x3fffff
	s_or_b32 s4, s5, s4
	s_cmp_lg_u32 s4, 0
	s_cselect_b64 s[4:5], -1, 0
	s_and_b64 s[4:5], s[12:13], s[4:5]
	v_lshrrev_b32_e32 v3, 23, v3
	v_cndmask_b32_e64 v4, 0, 1, s[4:5]
	v_add_u32_e32 v4, v3, v4
.LBB30_417:
	s_mov_b64 s[4:5], 0
	s_mov_b64 s[12:13], -1
	global_store_byte v[0:1], v4, off
.LBB30_418:
	s_branch .LBB30_428
.LBB30_419:
	s_or_b64 exec, exec, s[2:3]
	s_and_saveexec_b64 s[2:3], s[0:1]
	s_cbranch_execz .LBB30_841
.LBB30_420:
	; divergent unreachable
	s_or_b64 exec, exec, s[2:3]
	s_and_saveexec_b64 s[0:1], s[6:7]
	s_xor_b64 s[0:1], exec, s[0:1]
	s_cbranch_execnz .LBB30_842
.LBB30_421:
	s_or_b64 exec, exec, s[0:1]
	s_and_saveexec_b64 s[0:1], s[12:13]
	s_cbranch_execnz .LBB30_843
	s_branch .LBB30_880
.LBB30_422:
	s_mov_b64 s[4:5], s[0:1]
	s_cbranch_execnz .LBB30_497
.LBB30_423:
	s_andn2_b64 vcc, exec, s[12:13]
	s_cbranch_vccz .LBB30_535
	s_branch .LBB30_839
.LBB30_424:
	s_mov_b64 s[4:5], 0
	s_and_b64 vcc, exec, s[14:15]
	s_cbranch_vccz .LBB30_446
	s_branch .LBB30_429
.LBB30_425:
	s_mov_b64 s[4:5], 0
	s_and_b64 vcc, exec, s[14:15]
	s_cbranch_vccz .LBB30_428
; %bb.426:
	v_mov_b32_e32 v3, 29
	v_cmp_eq_u16_sdwa s[14:15], s33, v3 src0_sel:BYTE_0 src1_sel:DWORD
	s_mov_b64 s[4:5], -1
	s_and_b64 vcc, exec, s[14:15]
	s_cbranch_vccz .LBB30_428
; %bb.427:
	v_pk_mov_b32 v[4:5], s[8:9], s[8:9] op_sel:[0,1]
	global_store_dwordx2 v[0:1], v[4:5], off
	s_mov_b64 s[4:5], 0
	s_mov_b64 s[12:13], -1
.LBB30_428:
	s_branch .LBB30_446
.LBB30_429:
	v_mov_b32_e32 v3, 27
	v_cmp_lt_i16_sdwa s[14:15], s33, v3 src0_sel:BYTE_0 src1_sel:DWORD
	s_mov_b64 s[12:13], -1
	s_and_b64 vcc, exec, s[14:15]
	s_cbranch_vccnz .LBB30_435
; %bb.430:
	v_cmp_gt_i16_sdwa s[14:15], s33, v3 src0_sel:BYTE_0 src1_sel:DWORD
	s_and_b64 vcc, exec, s[14:15]
	s_cbranch_vccz .LBB30_432
; %bb.431:
	v_mov_b32_e32 v3, s8
	s_mov_b64 s[12:13], 0
	global_store_dword v[0:1], v3, off
.LBB30_432:
	s_andn2_b64 vcc, exec, s[12:13]
	s_cbranch_vccnz .LBB30_434
; %bb.433:
	v_mov_b32_e32 v3, s8
	global_store_short v[0:1], v3, off
.LBB30_434:
	s_mov_b64 s[12:13], 0
.LBB30_435:
	s_andn2_b64 vcc, exec, s[12:13]
	s_cbranch_vccnz .LBB30_445
; %bb.436:
	s_xor_b32 s13, s8, s9
	s_flbit_i32 s12, s9
	s_ashr_i32 s13, s13, 31
	s_add_i32 s12, s12, -1
	s_add_i32 s13, s13, 32
	s_min_u32 s14, s12, s13
	s_lshl_b64 s[12:13], s[8:9], s14
	s_min_u32 s12, s12, 1
	s_or_b32 s12, s13, s12
	v_cvt_f32_i32_e32 v3, s12
	s_sub_i32 s12, 32, s14
	v_mov_b32_e32 v4, 0x80
	v_ldexp_f32 v3, v3, s12
	v_readfirstlane_b32 s16, v3
	s_and_b32 s12, s16, 0x7fffffff
	s_cmp_gt_u32 s12, 0x437fffff
	s_cbranch_scc1 .LBB30_444
; %bb.437:
	s_cmp_gt_u32 s12, 0x3bffffff
	s_cbranch_scc0 .LBB30_439
; %bb.438:
	s_bfe_u32 s12, s16, 0x10014
	s_add_i32 s12, s16, s12
	s_add_i32 s12, s12, 0x487ffff
	s_lshr_b32 s17, s12, 20
	s_mov_b64 s[14:15], 0
	s_mov_b64 s[12:13], -1
	s_branch .LBB30_440
.LBB30_439:
	s_mov_b64 s[14:15], -1
	s_mov_b64 s[12:13], 0
                                        ; implicit-def: $sgpr17
.LBB30_440:
	s_andn2_b64 vcc, exec, s[14:15]
	v_mov_b32_e32 v3, s17
                                        ; implicit-def: $sgpr14
	s_cbranch_vccnz .LBB30_442
; %bb.441:
	v_mov_b32_e32 v3, 0x46000000
	v_add_f32_e64 v3, |s16|, v3
	v_and_b32_e32 v3, 0xff, v3
	s_mov_b32 s14, 0
	v_cmp_ne_u32_e64 s[12:13], 0, v3
.LBB30_442:
	s_andn2_b64 vcc, exec, s[12:13]
	v_mov_b32_e32 v4, s14
	s_cbranch_vccnz .LBB30_444
; %bb.443:
	s_lshr_b32 s12, s16, 24
	s_and_b32 s12, s12, 0x80
	v_or_b32_e32 v4, s12, v3
.LBB30_444:
	global_store_byte v[0:1], v4, off
.LBB30_445:
	s_mov_b64 s[12:13], -1
.LBB30_446:
	s_mov_b64 s[14:15], 0
.LBB30_447:
	s_and_b64 vcc, exec, s[14:15]
	s_cbranch_vccz .LBB30_493
; %bb.448:
	v_mov_b32_e32 v3, 22
	v_cmp_gt_i16_sdwa s[14:15], s33, v3 src0_sel:BYTE_0 src1_sel:DWORD
	s_mov_b64 s[6:7], -1
	s_and_b64 vcc, exec, s[14:15]
	s_cbranch_vccz .LBB30_486
; %bb.449:
	v_mov_b32_e32 v3, 24
	v_cmp_lt_i16_sdwa s[12:13], s33, v3 src0_sel:BYTE_0 src1_sel:DWORD
	s_and_b64 vcc, exec, s[12:13]
	s_cbranch_vccnz .LBB30_473
; %bb.450:
	v_cmp_gt_i16_sdwa s[12:13], s33, v3 src0_sel:BYTE_0 src1_sel:DWORD
	s_and_b64 vcc, exec, s[12:13]
	s_cbranch_vccz .LBB30_460
; %bb.451:
	s_xor_b32 s7, s8, s9
	s_flbit_i32 s6, s9
	s_ashr_i32 s7, s7, 31
	s_add_i32 s6, s6, -1
	s_add_i32 s7, s7, 32
	s_min_u32 s12, s6, s7
	s_lshl_b64 s[6:7], s[8:9], s12
	s_min_u32 s6, s6, 1
	s_or_b32 s6, s7, s6
	v_cvt_f32_i32_e32 v3, s6
	s_sub_i32 s6, 32, s12
	v_mov_b32_e32 v4, 0x80
	v_ldexp_f32 v3, v3, s6
	v_readfirstlane_b32 s14, v3
	s_and_b32 s6, s14, 0x7fffffff
	s_cmp_gt_u32 s6, 0x477fffff
	s_cbranch_scc1 .LBB30_459
; %bb.452:
	s_cmp_gt_u32 s6, 0x37ffffff
	s_cbranch_scc0 .LBB30_454
; %bb.453:
	s_bfe_u32 s6, s14, 0x10015
	s_add_i32 s6, s14, s6
	s_add_i32 s6, s6, 0x88fffff
	s_lshr_b32 s15, s6, 21
	s_mov_b64 s[12:13], 0
	s_mov_b64 s[6:7], -1
	s_branch .LBB30_455
.LBB30_454:
	s_mov_b64 s[12:13], -1
	s_mov_b64 s[6:7], 0
                                        ; implicit-def: $sgpr15
.LBB30_455:
	s_andn2_b64 vcc, exec, s[12:13]
	v_mov_b32_e32 v3, s15
                                        ; implicit-def: $sgpr12
	s_cbranch_vccnz .LBB30_457
; %bb.456:
	v_mov_b32_e32 v3, 0x42800000
	v_add_f32_e64 v3, |s14|, v3
	v_and_b32_e32 v3, 0xff, v3
	s_mov_b32 s12, 0
	v_cmp_ne_u32_e64 s[6:7], 0, v3
.LBB30_457:
	s_andn2_b64 vcc, exec, s[6:7]
	v_mov_b32_e32 v4, s12
	s_cbranch_vccnz .LBB30_459
; %bb.458:
	s_lshr_b32 s6, s14, 24
	s_and_b32 s6, s6, 0x80
	v_or_b32_e32 v4, s6, v3
.LBB30_459:
	s_mov_b64 s[6:7], 0
	global_store_byte v[0:1], v4, off
.LBB30_460:
	s_and_b64 vcc, exec, s[6:7]
	s_cbranch_vccz .LBB30_472
; %bb.461:
	s_xor_b32 s7, s8, s9
	s_flbit_i32 s6, s9
	s_ashr_i32 s7, s7, 31
	s_add_i32 s6, s6, -1
	s_add_i32 s7, s7, 32
	s_min_u32 s12, s6, s7
	s_lshl_b64 s[6:7], s[8:9], s12
	s_min_u32 s6, s6, 1
	s_or_b32 s6, s7, s6
	v_cvt_f32_i32_e32 v3, s6
	s_sub_i32 s6, 32, s12
	v_ldexp_f32 v3, v3, s6
	v_readfirstlane_b32 s12, v3
	s_and_b32 s13, s12, 0x7fffffff
	s_cmp_lt_u32 s13, 0x43f00000
	s_cbranch_scc0 .LBB30_464
; %bb.462:
	s_cmp_gt_u32 s13, 0x3c7fffff
	s_cbranch_scc0 .LBB30_465
; %bb.463:
	s_bfe_u32 s6, s12, 0x10014
	s_add_i32 s6, s12, s6
	s_add_i32 s6, s6, 0x407ffff
	s_lshr_b32 s7, s6, 20
	s_and_b32 s6, s6, 0xff00000
	s_cmp_lg_u32 s6, 0x7f00000
	s_cselect_b32 s14, s7, 0x7e
	s_mov_b64 s[6:7], 0
	s_branch .LBB30_466
.LBB30_464:
	s_mov_b64 s[6:7], -1
                                        ; implicit-def: $vgpr4
	s_branch .LBB30_469
.LBB30_465:
	s_mov_b64 s[6:7], -1
                                        ; implicit-def: $sgpr14
.LBB30_466:
	s_andn2_b64 vcc, exec, s[6:7]
	v_mov_b32_e32 v4, s14
	s_cbranch_vccnz .LBB30_468
; %bb.467:
	s_mov_b32 s6, 0x46800000
	v_add_f32_e64 v4, |v3|, s6
.LBB30_468:
	s_mov_b64 s[6:7], 0
.LBB30_469:
	s_andn2_b64 vcc, exec, s[6:7]
	s_cbranch_vccnz .LBB30_471
; %bb.470:
	s_cmp_gt_u32 s13, 0x7f800000
	s_movk_i32 s6, 0x7f
	s_cselect_b32 s6, s6, 0x7e
	v_mov_b32_e32 v4, s6
.LBB30_471:
	s_lshr_b32 s6, s12, 24
	s_and_b32 s6, s6, 0x80
	v_or_b32_e32 v3, s6, v4
	global_store_byte v[0:1], v3, off
.LBB30_472:
	s_mov_b64 s[6:7], 0
.LBB30_473:
	s_andn2_b64 vcc, exec, s[6:7]
	s_cbranch_vccnz .LBB30_485
; %bb.474:
	s_xor_b32 s7, s8, s9
	s_flbit_i32 s6, s9
	s_ashr_i32 s7, s7, 31
	s_add_i32 s6, s6, -1
	s_add_i32 s7, s7, 32
	s_min_u32 s12, s6, s7
	s_lshl_b64 s[6:7], s[8:9], s12
	s_min_u32 s6, s6, 1
	s_or_b32 s6, s7, s6
	v_cvt_f32_i32_e32 v3, s6
	s_sub_i32 s6, 32, s12
	v_ldexp_f32 v3, v3, s6
	v_readfirstlane_b32 s12, v3
	s_and_b32 s13, s12, 0x7fffffff
	s_cmp_lt_u32 s13, 0x47800000
	s_cbranch_scc0 .LBB30_477
; %bb.475:
	s_cmp_gt_u32 s13, 0x387fffff
	s_cbranch_scc0 .LBB30_478
; %bb.476:
	s_bfe_u32 s6, s12, 0x10015
	s_add_i32 s6, s12, s6
	s_add_i32 s6, s6, 0x80fffff
	s_lshr_b32 s14, s6, 21
	s_mov_b64 s[6:7], 0
	s_branch .LBB30_479
.LBB30_477:
	s_mov_b64 s[6:7], -1
                                        ; implicit-def: $vgpr4
	s_branch .LBB30_482
.LBB30_478:
	s_mov_b64 s[6:7], -1
                                        ; implicit-def: $sgpr14
.LBB30_479:
	s_andn2_b64 vcc, exec, s[6:7]
	v_mov_b32_e32 v4, s14
	s_cbranch_vccnz .LBB30_481
; %bb.480:
	s_mov_b32 s6, 0x43000000
	v_add_f32_e64 v4, |v3|, s6
.LBB30_481:
	s_mov_b64 s[6:7], 0
.LBB30_482:
	s_andn2_b64 vcc, exec, s[6:7]
	s_cbranch_vccnz .LBB30_484
; %bb.483:
	s_cmp_gt_u32 s13, 0x7f800000
	s_movk_i32 s6, 0x7f
	s_cselect_b32 s6, s6, 0x7c
	v_mov_b32_e32 v4, s6
.LBB30_484:
	s_lshr_b32 s6, s12, 24
	s_and_b32 s6, s6, 0x80
	v_or_b32_e32 v3, s6, v4
	global_store_byte v[0:1], v3, off
.LBB30_485:
	s_mov_b64 s[6:7], 0
	s_mov_b64 s[12:13], -1
.LBB30_486:
	s_andn2_b64 vcc, exec, s[6:7]
	s_mov_b64 s[6:7], 0
	s_cbranch_vccnz .LBB30_493
; %bb.487:
	v_mov_b32_e32 v3, 14
	v_cmp_gt_i16_sdwa s[6:7], s33, v3 src0_sel:BYTE_0 src1_sel:DWORD
	s_mov_b64 s[14:15], -1
	s_and_b64 vcc, exec, s[6:7]
	s_cbranch_vccz .LBB30_491
; %bb.488:
	v_mov_b32_e32 v3, 15
	v_cmp_eq_u16_sdwa s[6:7], s33, v3 src0_sel:BYTE_0 src1_sel:DWORD
	s_mov_b64 s[4:5], -1
	s_and_b64 vcc, exec, s[6:7]
	s_cbranch_vccz .LBB30_490
; %bb.489:
	s_xor_b32 s5, s8, s9
	s_flbit_i32 s4, s9
	s_ashr_i32 s5, s5, 31
	s_add_i32 s4, s4, -1
	s_add_i32 s5, s5, 32
	s_min_u32 s6, s4, s5
	s_lshl_b64 s[4:5], s[8:9], s6
	s_min_u32 s4, s4, 1
	s_or_b32 s4, s5, s4
	v_cvt_f32_i32_e32 v3, s4
	s_sub_i32 s4, 32, s6
	s_mov_b64 s[12:13], -1
	v_ldexp_f32 v3, v3, s4
	v_bfe_u32 v4, v3, 16, 1
	v_add_u32_e32 v3, v3, v4
	v_add_u32_e32 v3, 0x7fff, v3
	global_store_short_d16_hi v[0:1], v3, off
	s_mov_b64 s[4:5], 0
.LBB30_490:
	s_mov_b64 s[14:15], 0
.LBB30_491:
	s_mov_b64 s[6:7], 0
	s_and_b64 vcc, exec, s[14:15]
	s_cbranch_vccz .LBB30_493
; %bb.492:
	v_mov_b32_e32 v3, 11
	v_cmp_ne_u16_sdwa s[4:5], s33, v3 src0_sel:BYTE_0 src1_sel:DWORD
	s_mov_b64 s[6:7], -1
.LBB30_493:
	s_and_b64 vcc, exec, s[4:5]
	s_mov_b64 s[4:5], s[0:1]
	s_cbranch_vccnz .LBB30_568
; %bb.494:
	s_andn2_b64 vcc, exec, s[6:7]
	s_cbranch_vccnz .LBB30_496
.LBB30_495:
	s_cmp_lg_u64 s[8:9], 0
	s_cselect_b64 s[6:7], -1, 0
	v_cndmask_b32_e64 v3, 0, 1, s[6:7]
	s_mov_b64 s[12:13], -1
	global_store_byte v[0:1], v3, off
.LBB30_496:
	s_branch .LBB30_423
.LBB30_497:
	v_mov_b32_e32 v3, 5
	v_cmp_lt_i16_sdwa s[12:13], s33, v3 src0_sel:BYTE_0 src1_sel:DWORD
	s_mov_b64 s[6:7], -1
	s_and_b64 vcc, exec, s[12:13]
	s_cbranch_vccnz .LBB30_518
; %bb.498:
	v_mov_b32_e32 v3, 8
	v_cmp_lt_i16_sdwa s[12:13], s33, v3 src0_sel:BYTE_0 src1_sel:DWORD
	s_and_b64 vcc, exec, s[12:13]
	s_cbranch_vccnz .LBB30_508
; %bb.499:
	v_mov_b32_e32 v3, 9
	v_cmp_lt_i16_sdwa s[12:13], s33, v3 src0_sel:BYTE_0 src1_sel:DWORD
	s_and_b64 vcc, exec, s[12:13]
	s_cbranch_vccnz .LBB30_505
; %bb.500:
	v_cmp_gt_i16_sdwa s[12:13], s33, v3 src0_sel:BYTE_0 src1_sel:DWORD
	s_and_b64 vcc, exec, s[12:13]
	s_cbranch_vccz .LBB30_502
; %bb.501:
	v_cvt_f64_i32_e32 v[4:5], s9
	v_ldexp_f64 v[4:5], v[4:5], 32
	v_cvt_f64_u32_e32 v[6:7], s8
	v_add_f64 v[4:5], v[4:5], v[6:7]
	v_mov_b32_e32 v6, 0
	v_mov_b32_e32 v7, v6
	global_store_dwordx4 v[0:1], v[4:7], off
	s_mov_b64 s[6:7], 0
.LBB30_502:
	s_andn2_b64 vcc, exec, s[6:7]
	s_cbranch_vccnz .LBB30_504
; %bb.503:
	s_xor_b32 s7, s8, s9
	s_flbit_i32 s6, s9
	s_ashr_i32 s7, s7, 31
	s_add_i32 s6, s6, -1
	s_add_i32 s7, s7, 32
	s_min_u32 s12, s6, s7
	s_lshl_b64 s[6:7], s[8:9], s12
	s_min_u32 s6, s6, 1
	s_or_b32 s6, s7, s6
	v_cvt_f32_i32_e32 v3, s6
	s_sub_i32 s6, 32, s12
	v_mov_b32_e32 v5, 0
	v_ldexp_f32 v4, v3, s6
	global_store_dwordx2 v[0:1], v[4:5], off
.LBB30_504:
	s_mov_b64 s[6:7], 0
.LBB30_505:
	s_andn2_b64 vcc, exec, s[6:7]
	s_cbranch_vccnz .LBB30_507
; %bb.506:
	s_xor_b32 s7, s8, s9
	s_flbit_i32 s6, s9
	s_ashr_i32 s7, s7, 31
	s_add_i32 s6, s6, -1
	s_add_i32 s7, s7, 32
	s_min_u32 s12, s6, s7
	s_lshl_b64 s[6:7], s[8:9], s12
	s_min_u32 s6, s6, 1
	s_or_b32 s6, s7, s6
	v_cvt_f32_i32_e32 v3, s6
	s_sub_i32 s6, 32, s12
	v_ldexp_f32 v3, v3, s6
	v_cvt_f16_f32_e32 v3, v3
	global_store_dword v[0:1], v3, off
.LBB30_507:
	s_mov_b64 s[6:7], 0
.LBB30_508:
	s_andn2_b64 vcc, exec, s[6:7]
	s_cbranch_vccnz .LBB30_517
; %bb.509:
	v_mov_b32_e32 v3, 6
	v_cmp_lt_i16_sdwa s[12:13], s33, v3 src0_sel:BYTE_0 src1_sel:DWORD
	s_mov_b64 s[6:7], -1
	s_and_b64 vcc, exec, s[12:13]
	s_cbranch_vccnz .LBB30_515
; %bb.510:
	v_cmp_gt_i16_sdwa s[12:13], s33, v3 src0_sel:BYTE_0 src1_sel:DWORD
	s_and_b64 vcc, exec, s[12:13]
	s_cbranch_vccz .LBB30_512
; %bb.511:
	v_cvt_f64_i32_e32 v[4:5], s9
	v_ldexp_f64 v[4:5], v[4:5], 32
	v_cvt_f64_u32_e32 v[6:7], s8
	v_add_f64 v[4:5], v[4:5], v[6:7]
	global_store_dwordx2 v[0:1], v[4:5], off
	s_mov_b64 s[6:7], 0
.LBB30_512:
	s_andn2_b64 vcc, exec, s[6:7]
	s_cbranch_vccnz .LBB30_514
; %bb.513:
	s_xor_b32 s7, s8, s9
	s_flbit_i32 s6, s9
	s_ashr_i32 s7, s7, 31
	s_add_i32 s6, s6, -1
	s_add_i32 s7, s7, 32
	s_min_u32 s12, s6, s7
	s_lshl_b64 s[6:7], s[8:9], s12
	s_min_u32 s6, s6, 1
	s_or_b32 s6, s7, s6
	v_cvt_f32_i32_e32 v3, s6
	s_sub_i32 s6, 32, s12
	v_ldexp_f32 v3, v3, s6
	global_store_dword v[0:1], v3, off
.LBB30_514:
	s_mov_b64 s[6:7], 0
.LBB30_515:
	s_andn2_b64 vcc, exec, s[6:7]
	s_cbranch_vccnz .LBB30_517
; %bb.516:
	s_xor_b32 s7, s8, s9
	s_flbit_i32 s6, s9
	s_ashr_i32 s7, s7, 31
	s_add_i32 s6, s6, -1
	s_add_i32 s7, s7, 32
	s_min_u32 s12, s6, s7
	s_lshl_b64 s[6:7], s[8:9], s12
	s_min_u32 s6, s6, 1
	s_or_b32 s6, s7, s6
	v_cvt_f32_i32_e32 v3, s6
	s_sub_i32 s6, 32, s12
	v_ldexp_f32 v3, v3, s6
	v_cvt_f16_f32_e32 v3, v3
	global_store_short v[0:1], v3, off
.LBB30_517:
	s_mov_b64 s[6:7], 0
.LBB30_518:
	s_andn2_b64 vcc, exec, s[6:7]
	s_cbranch_vccnz .LBB30_534
; %bb.519:
	v_mov_b32_e32 v3, 2
	v_cmp_lt_i16_sdwa s[12:13], s33, v3 src0_sel:BYTE_0 src1_sel:DWORD
	s_mov_b64 s[6:7], -1
	s_and_b64 vcc, exec, s[12:13]
	s_cbranch_vccnz .LBB30_529
; %bb.520:
	v_mov_b32_e32 v3, 3
	v_cmp_lt_i16_sdwa s[12:13], s33, v3 src0_sel:BYTE_0 src1_sel:DWORD
	s_and_b64 vcc, exec, s[12:13]
	s_cbranch_vccnz .LBB30_526
; %bb.521:
	v_cmp_gt_i16_sdwa s[12:13], s33, v3 src0_sel:BYTE_0 src1_sel:DWORD
	s_and_b64 vcc, exec, s[12:13]
	s_cbranch_vccz .LBB30_523
; %bb.522:
	v_pk_mov_b32 v[4:5], s[8:9], s[8:9] op_sel:[0,1]
	global_store_dwordx2 v[0:1], v[4:5], off
	s_mov_b64 s[6:7], 0
.LBB30_523:
	s_andn2_b64 vcc, exec, s[6:7]
	s_cbranch_vccnz .LBB30_525
; %bb.524:
	v_mov_b32_e32 v3, s8
	global_store_dword v[0:1], v3, off
.LBB30_525:
	s_mov_b64 s[6:7], 0
.LBB30_526:
	s_andn2_b64 vcc, exec, s[6:7]
	s_cbranch_vccnz .LBB30_528
; %bb.527:
	v_mov_b32_e32 v3, s8
	global_store_short v[0:1], v3, off
.LBB30_528:
	s_mov_b64 s[6:7], 0
.LBB30_529:
	s_andn2_b64 vcc, exec, s[6:7]
	s_cbranch_vccnz .LBB30_534
; %bb.530:
	v_mov_b32_e32 v3, 0
	v_cmp_gt_i16_sdwa s[12:13], s33, v3 src0_sel:BYTE_0 src1_sel:DWORD
	s_mov_b64 s[6:7], -1
	s_and_b64 vcc, exec, s[12:13]
	s_cbranch_vccz .LBB30_532
; %bb.531:
	v_mov_b32_e32 v3, s8
	global_store_byte v[0:1], v3, off
	s_mov_b64 s[6:7], 0
.LBB30_532:
	s_andn2_b64 vcc, exec, s[6:7]
	s_cbranch_vccnz .LBB30_534
; %bb.533:
	v_mov_b32_e32 v3, s8
	global_store_byte v[0:1], v3, off
.LBB30_534:
.LBB30_535:
	s_lshl_b32 s18, s52, 7
	v_add_u32_e32 v2, s18, v2
	v_ashrrev_i32_e32 v1, 31, v2
	v_mov_b32_e32 v3, s11
	v_add_co_u32_e32 v0, vcc, s10, v2
	v_addc_co_u32_e32 v1, vcc, v3, v1, vcc
	v_mov_b32_e32 v3, 11
	v_cmp_lt_i16_sdwa s[6:7], s33, v3 src0_sel:BYTE_0 src1_sel:DWORD
	s_and_b64 vcc, exec, s[6:7]
	s_cbranch_vccnz .LBB30_549
; %bb.536:
	v_mov_b32_e32 v3, 25
	v_cmp_gt_i16_sdwa s[6:7], s33, v3 src0_sel:BYTE_0 src1_sel:DWORD
	s_mov_b64 s[16:17], -1
	s_mov_b64 s[12:13], 0
	s_and_b64 vcc, exec, s[6:7]
	s_mov_b64 s[14:15], 0
	s_mov_b64 s[6:7], 0
	s_cbranch_vccz .LBB30_577
; %bb.537:
	v_mov_b32_e32 v3, 28
	v_cmp_gt_i16_sdwa s[6:7], s33, v3 src0_sel:BYTE_0 src1_sel:DWORD
	s_and_b64 vcc, exec, s[6:7]
	s_cbranch_vccz .LBB30_551
; %bb.538:
	v_mov_b32_e32 v3, 43
	v_cmp_gt_i16_sdwa s[6:7], s33, v3 src0_sel:BYTE_0 src1_sel:DWORD
	s_and_b64 vcc, exec, s[6:7]
	;; [unrolled: 5-line block ×3, first 2 shown]
	s_cbranch_vccz .LBB30_542
; %bb.540:
	v_mov_b32_e32 v3, 46
	v_cmp_eq_u16_sdwa s[14:15], s33, v3 src0_sel:BYTE_0 src1_sel:DWORD
	s_mov_b64 s[6:7], -1
	s_mov_b64 s[16:17], 0
	s_and_b64 vcc, exec, s[14:15]
	s_mov_b64 s[14:15], 0
	s_cbranch_vccz .LBB30_543
; %bb.541:
	s_xor_b32 s7, s8, s9
	s_flbit_i32 s6, s9
	s_ashr_i32 s7, s7, 31
	s_add_i32 s6, s6, -1
	s_add_i32 s7, s7, 32
	s_min_u32 s14, s6, s7
	s_lshl_b64 s[6:7], s[8:9], s14
	s_min_u32 s6, s6, 1
	s_or_b32 s6, s7, s6
	v_cvt_f32_i32_e32 v3, s6
	s_sub_i32 s6, 32, s14
	s_mov_b64 s[14:15], -1
	v_ldexp_f32 v3, v3, s6
	v_bfe_u32 v4, v3, 16, 1
	v_add_u32_e32 v3, v3, v4
	v_add_u32_e32 v3, 0x7fff, v3
	v_lshrrev_b32_e32 v3, 16, v3
	global_store_dword v[0:1], v3, off
.LBB30_542:
	s_mov_b64 s[6:7], 0
.LBB30_543:
	s_and_b64 vcc, exec, s[16:17]
	s_cbranch_vccz .LBB30_548
; %bb.544:
	v_mov_b32_e32 v3, 44
	v_cmp_eq_u16_sdwa s[16:17], s33, v3 src0_sel:BYTE_0 src1_sel:DWORD
	s_mov_b64 s[6:7], -1
	s_and_b64 vcc, exec, s[16:17]
	s_cbranch_vccz .LBB30_548
; %bb.545:
	s_xor_b32 s7, s8, s9
	s_flbit_i32 s6, s9
	s_ashr_i32 s7, s7, 31
	s_add_i32 s6, s6, -1
	s_add_i32 s7, s7, 32
	s_min_u32 s14, s6, s7
	s_lshl_b64 s[6:7], s[8:9], s14
	s_min_u32 s6, s6, 1
	s_or_b32 s6, s7, s6
	v_cvt_f32_i32_e32 v3, s6
	s_sub_i32 s6, 32, s14
	v_mov_b32_e32 v4, 0xff
	v_ldexp_f32 v3, v3, s6
	v_readfirstlane_b32 s6, v3
	s_bfe_u32 s7, s6, 0x80017
	s_cmpk_eq_i32 s7, 0xff
	s_cbranch_scc1 .LBB30_547
; %bb.546:
	s_bitcmp1_b32 s6, 22
	s_cselect_b64 s[14:15], -1, 0
	s_and_b32 s6, s6, 0x3fffff
	s_or_b32 s6, s7, s6
	s_cmp_lg_u32 s6, 0
	s_cselect_b64 s[6:7], -1, 0
	s_and_b64 s[6:7], s[14:15], s[6:7]
	v_lshrrev_b32_e32 v3, 23, v3
	v_cndmask_b32_e64 v4, 0, 1, s[6:7]
	v_add_u32_e32 v4, v3, v4
.LBB30_547:
	s_mov_b64 s[6:7], 0
	s_mov_b64 s[14:15], -1
	global_store_byte v[0:1], v4, off
.LBB30_548:
	s_mov_b64 s[16:17], 0
	s_branch .LBB30_553
.LBB30_549:
	s_mov_b64 s[14:15], 0
	s_cbranch_execnz .LBB30_627
.LBB30_550:
	s_andn2_b64 vcc, exec, s[14:15]
	s_cbranch_vccz .LBB30_665
	s_branch .LBB30_839
.LBB30_551:
	s_mov_b64 s[6:7], 0
	s_branch .LBB30_557
.LBB30_552:
	s_mov_b64 s[6:7], 0
.LBB30_553:
	s_and_b64 vcc, exec, s[16:17]
	s_cbranch_vccz .LBB30_556
; %bb.554:
	v_mov_b32_e32 v3, 29
	v_cmp_eq_u16_sdwa s[16:17], s33, v3 src0_sel:BYTE_0 src1_sel:DWORD
	s_mov_b64 s[6:7], -1
	s_and_b64 vcc, exec, s[16:17]
	s_cbranch_vccz .LBB30_556
; %bb.555:
	v_pk_mov_b32 v[4:5], s[8:9], s[8:9] op_sel:[0,1]
	global_store_dwordx2 v[0:1], v[4:5], off
	s_mov_b64 s[6:7], 0
	s_mov_b64 s[14:15], -1
.LBB30_556:
	s_mov_b64 s[16:17], 0
.LBB30_557:
	s_and_b64 vcc, exec, s[16:17]
	s_cbranch_vccz .LBB30_576
; %bb.558:
	v_mov_b32_e32 v3, 27
	v_cmp_lt_i16_sdwa s[16:17], s33, v3 src0_sel:BYTE_0 src1_sel:DWORD
	s_mov_b64 s[14:15], -1
	s_and_b64 vcc, exec, s[16:17]
	s_cbranch_vccnz .LBB30_564
; %bb.559:
	v_cmp_gt_i16_sdwa s[16:17], s33, v3 src0_sel:BYTE_0 src1_sel:DWORD
	s_and_b64 vcc, exec, s[16:17]
	s_cbranch_vccz .LBB30_561
; %bb.560:
	v_mov_b32_e32 v3, s8
	s_mov_b64 s[14:15], 0
	global_store_dword v[0:1], v3, off
.LBB30_561:
	s_andn2_b64 vcc, exec, s[14:15]
	s_cbranch_vccnz .LBB30_563
; %bb.562:
	v_mov_b32_e32 v3, s8
	global_store_short v[0:1], v3, off
.LBB30_563:
	s_mov_b64 s[14:15], 0
.LBB30_564:
	s_andn2_b64 vcc, exec, s[14:15]
	s_cbranch_vccnz .LBB30_575
; %bb.565:
	s_xor_b32 s15, s8, s9
	s_flbit_i32 s14, s9
	s_ashr_i32 s15, s15, 31
	s_add_i32 s14, s14, -1
	s_add_i32 s15, s15, 32
	s_min_u32 s16, s14, s15
	s_lshl_b64 s[14:15], s[8:9], s16
	s_min_u32 s14, s14, 1
	s_or_b32 s14, s15, s14
	v_cvt_f32_i32_e32 v3, s14
	s_sub_i32 s14, 32, s16
	v_mov_b32_e32 v4, 0x80
	v_ldexp_f32 v3, v3, s14
	v_readfirstlane_b32 s19, v3
	s_and_b32 s14, s19, 0x7fffffff
	s_cmp_gt_u32 s14, 0x437fffff
	s_cbranch_scc1 .LBB30_574
; %bb.566:
	s_cmp_gt_u32 s14, 0x3bffffff
	s_cbranch_scc0 .LBB30_569
; %bb.567:
	s_bfe_u32 s14, s19, 0x10014
	s_add_i32 s14, s19, s14
	s_add_i32 s14, s14, 0x487ffff
	s_lshr_b32 s20, s14, 20
	s_mov_b64 s[16:17], 0
	s_mov_b64 s[14:15], -1
	s_branch .LBB30_570
.LBB30_568:
	s_or_b64 s[4:5], s[0:1], exec
	s_trap 2
	s_cbranch_execz .LBB30_495
	s_branch .LBB30_496
.LBB30_569:
	s_mov_b64 s[16:17], -1
	s_mov_b64 s[14:15], 0
                                        ; implicit-def: $sgpr20
.LBB30_570:
	s_andn2_b64 vcc, exec, s[16:17]
	v_mov_b32_e32 v3, s20
                                        ; implicit-def: $sgpr16
	s_cbranch_vccnz .LBB30_572
; %bb.571:
	v_mov_b32_e32 v3, 0x46000000
	v_add_f32_e64 v3, |s19|, v3
	v_and_b32_e32 v3, 0xff, v3
	s_mov_b32 s16, 0
	v_cmp_ne_u32_e64 s[14:15], 0, v3
.LBB30_572:
	s_andn2_b64 vcc, exec, s[14:15]
	v_mov_b32_e32 v4, s16
	s_cbranch_vccnz .LBB30_574
; %bb.573:
	s_lshr_b32 s14, s19, 24
	s_and_b32 s14, s14, 0x80
	v_or_b32_e32 v4, s14, v3
.LBB30_574:
	global_store_byte v[0:1], v4, off
.LBB30_575:
	s_mov_b64 s[14:15], -1
.LBB30_576:
	s_mov_b64 s[16:17], 0
.LBB30_577:
	s_and_b64 vcc, exec, s[16:17]
	s_cbranch_vccz .LBB30_623
; %bb.578:
	v_mov_b32_e32 v3, 22
	v_cmp_gt_i16_sdwa s[16:17], s33, v3 src0_sel:BYTE_0 src1_sel:DWORD
	s_mov_b64 s[12:13], -1
	s_and_b64 vcc, exec, s[16:17]
	s_cbranch_vccz .LBB30_616
; %bb.579:
	v_mov_b32_e32 v3, 24
	v_cmp_lt_i16_sdwa s[14:15], s33, v3 src0_sel:BYTE_0 src1_sel:DWORD
	s_and_b64 vcc, exec, s[14:15]
	s_cbranch_vccnz .LBB30_603
; %bb.580:
	v_cmp_gt_i16_sdwa s[14:15], s33, v3 src0_sel:BYTE_0 src1_sel:DWORD
	s_and_b64 vcc, exec, s[14:15]
	s_cbranch_vccz .LBB30_590
; %bb.581:
	s_xor_b32 s13, s8, s9
	s_flbit_i32 s12, s9
	s_ashr_i32 s13, s13, 31
	s_add_i32 s12, s12, -1
	s_add_i32 s13, s13, 32
	s_min_u32 s14, s12, s13
	s_lshl_b64 s[12:13], s[8:9], s14
	s_min_u32 s12, s12, 1
	s_or_b32 s12, s13, s12
	v_cvt_f32_i32_e32 v3, s12
	s_sub_i32 s12, 32, s14
	v_mov_b32_e32 v4, 0x80
	v_ldexp_f32 v3, v3, s12
	v_readfirstlane_b32 s16, v3
	s_and_b32 s12, s16, 0x7fffffff
	s_cmp_gt_u32 s12, 0x477fffff
	s_cbranch_scc1 .LBB30_589
; %bb.582:
	s_cmp_gt_u32 s12, 0x37ffffff
	s_cbranch_scc0 .LBB30_584
; %bb.583:
	s_bfe_u32 s12, s16, 0x10015
	s_add_i32 s12, s16, s12
	s_add_i32 s12, s12, 0x88fffff
	s_lshr_b32 s17, s12, 21
	s_mov_b64 s[14:15], 0
	s_mov_b64 s[12:13], -1
	s_branch .LBB30_585
.LBB30_584:
	s_mov_b64 s[14:15], -1
	s_mov_b64 s[12:13], 0
                                        ; implicit-def: $sgpr17
.LBB30_585:
	s_andn2_b64 vcc, exec, s[14:15]
	v_mov_b32_e32 v3, s17
                                        ; implicit-def: $sgpr14
	s_cbranch_vccnz .LBB30_587
; %bb.586:
	v_mov_b32_e32 v3, 0x42800000
	v_add_f32_e64 v3, |s16|, v3
	v_and_b32_e32 v3, 0xff, v3
	s_mov_b32 s14, 0
	v_cmp_ne_u32_e64 s[12:13], 0, v3
.LBB30_587:
	s_andn2_b64 vcc, exec, s[12:13]
	v_mov_b32_e32 v4, s14
	s_cbranch_vccnz .LBB30_589
; %bb.588:
	s_lshr_b32 s12, s16, 24
	s_and_b32 s12, s12, 0x80
	v_or_b32_e32 v4, s12, v3
.LBB30_589:
	s_mov_b64 s[12:13], 0
	global_store_byte v[0:1], v4, off
.LBB30_590:
	s_and_b64 vcc, exec, s[12:13]
	s_cbranch_vccz .LBB30_602
; %bb.591:
	s_xor_b32 s13, s8, s9
	s_flbit_i32 s12, s9
	s_ashr_i32 s13, s13, 31
	s_add_i32 s12, s12, -1
	s_add_i32 s13, s13, 32
	s_min_u32 s14, s12, s13
	s_lshl_b64 s[12:13], s[8:9], s14
	s_min_u32 s12, s12, 1
	s_or_b32 s12, s13, s12
	v_cvt_f32_i32_e32 v3, s12
	s_sub_i32 s12, 32, s14
	v_ldexp_f32 v3, v3, s12
	v_readfirstlane_b32 s14, v3
	s_and_b32 s15, s14, 0x7fffffff
	s_cmp_lt_u32 s15, 0x43f00000
	s_cbranch_scc0 .LBB30_594
; %bb.592:
	s_cmp_gt_u32 s15, 0x3c7fffff
	s_cbranch_scc0 .LBB30_595
; %bb.593:
	s_bfe_u32 s12, s14, 0x10014
	s_add_i32 s12, s14, s12
	s_add_i32 s12, s12, 0x407ffff
	s_lshr_b32 s13, s12, 20
	s_and_b32 s12, s12, 0xff00000
	s_cmp_lg_u32 s12, 0x7f00000
	s_cselect_b32 s16, s13, 0x7e
	s_mov_b64 s[12:13], 0
	s_branch .LBB30_596
.LBB30_594:
	s_mov_b64 s[12:13], -1
                                        ; implicit-def: $vgpr4
	s_branch .LBB30_599
.LBB30_595:
	s_mov_b64 s[12:13], -1
                                        ; implicit-def: $sgpr16
.LBB30_596:
	s_andn2_b64 vcc, exec, s[12:13]
	v_mov_b32_e32 v4, s16
	s_cbranch_vccnz .LBB30_598
; %bb.597:
	s_mov_b32 s12, 0x46800000
	v_add_f32_e64 v4, |v3|, s12
.LBB30_598:
	s_mov_b64 s[12:13], 0
.LBB30_599:
	s_andn2_b64 vcc, exec, s[12:13]
	s_cbranch_vccnz .LBB30_601
; %bb.600:
	s_cmp_gt_u32 s15, 0x7f800000
	s_movk_i32 s12, 0x7f
	s_cselect_b32 s12, s12, 0x7e
	v_mov_b32_e32 v4, s12
.LBB30_601:
	s_lshr_b32 s12, s14, 24
	s_and_b32 s12, s12, 0x80
	v_or_b32_e32 v3, s12, v4
	global_store_byte v[0:1], v3, off
.LBB30_602:
	s_mov_b64 s[12:13], 0
.LBB30_603:
	s_andn2_b64 vcc, exec, s[12:13]
	s_cbranch_vccnz .LBB30_615
; %bb.604:
	s_xor_b32 s13, s8, s9
	s_flbit_i32 s12, s9
	s_ashr_i32 s13, s13, 31
	s_add_i32 s12, s12, -1
	s_add_i32 s13, s13, 32
	s_min_u32 s14, s12, s13
	s_lshl_b64 s[12:13], s[8:9], s14
	s_min_u32 s12, s12, 1
	s_or_b32 s12, s13, s12
	v_cvt_f32_i32_e32 v3, s12
	s_sub_i32 s12, 32, s14
	v_ldexp_f32 v3, v3, s12
	v_readfirstlane_b32 s14, v3
	s_and_b32 s15, s14, 0x7fffffff
	s_cmp_lt_u32 s15, 0x47800000
	s_cbranch_scc0 .LBB30_607
; %bb.605:
	s_cmp_gt_u32 s15, 0x387fffff
	s_cbranch_scc0 .LBB30_608
; %bb.606:
	s_bfe_u32 s12, s14, 0x10015
	s_add_i32 s12, s14, s12
	s_add_i32 s12, s12, 0x80fffff
	s_lshr_b32 s16, s12, 21
	s_mov_b64 s[12:13], 0
	s_branch .LBB30_609
.LBB30_607:
	s_mov_b64 s[12:13], -1
                                        ; implicit-def: $vgpr4
	s_branch .LBB30_612
.LBB30_608:
	s_mov_b64 s[12:13], -1
                                        ; implicit-def: $sgpr16
.LBB30_609:
	s_andn2_b64 vcc, exec, s[12:13]
	v_mov_b32_e32 v4, s16
	s_cbranch_vccnz .LBB30_611
; %bb.610:
	s_mov_b32 s12, 0x43000000
	v_add_f32_e64 v4, |v3|, s12
.LBB30_611:
	s_mov_b64 s[12:13], 0
.LBB30_612:
	s_andn2_b64 vcc, exec, s[12:13]
	s_cbranch_vccnz .LBB30_614
; %bb.613:
	s_cmp_gt_u32 s15, 0x7f800000
	s_movk_i32 s12, 0x7f
	s_cselect_b32 s12, s12, 0x7c
	v_mov_b32_e32 v4, s12
.LBB30_614:
	s_lshr_b32 s12, s14, 24
	s_and_b32 s12, s12, 0x80
	v_or_b32_e32 v3, s12, v4
	global_store_byte v[0:1], v3, off
.LBB30_615:
	s_mov_b64 s[12:13], 0
	s_mov_b64 s[14:15], -1
.LBB30_616:
	s_andn2_b64 vcc, exec, s[12:13]
	s_mov_b64 s[12:13], 0
	s_cbranch_vccnz .LBB30_623
; %bb.617:
	v_mov_b32_e32 v3, 14
	v_cmp_gt_i16_sdwa s[12:13], s33, v3 src0_sel:BYTE_0 src1_sel:DWORD
	s_mov_b64 s[16:17], -1
	s_and_b64 vcc, exec, s[12:13]
	s_cbranch_vccz .LBB30_621
; %bb.618:
	v_mov_b32_e32 v3, 15
	v_cmp_eq_u16_sdwa s[12:13], s33, v3 src0_sel:BYTE_0 src1_sel:DWORD
	s_mov_b64 s[6:7], -1
	s_and_b64 vcc, exec, s[12:13]
	s_cbranch_vccz .LBB30_620
; %bb.619:
	s_xor_b32 s7, s8, s9
	s_flbit_i32 s6, s9
	s_ashr_i32 s7, s7, 31
	s_add_i32 s6, s6, -1
	s_add_i32 s7, s7, 32
	s_min_u32 s12, s6, s7
	s_lshl_b64 s[6:7], s[8:9], s12
	s_min_u32 s6, s6, 1
	s_or_b32 s6, s7, s6
	v_cvt_f32_i32_e32 v3, s6
	s_sub_i32 s6, 32, s12
	s_mov_b64 s[14:15], -1
	v_ldexp_f32 v3, v3, s6
	v_bfe_u32 v4, v3, 16, 1
	v_add_u32_e32 v3, v3, v4
	v_add_u32_e32 v3, 0x7fff, v3
	global_store_short_d16_hi v[0:1], v3, off
	s_mov_b64 s[6:7], 0
.LBB30_620:
	s_mov_b64 s[16:17], 0
.LBB30_621:
	s_mov_b64 s[12:13], 0
	s_and_b64 vcc, exec, s[16:17]
	s_cbranch_vccz .LBB30_623
; %bb.622:
	v_mov_b32_e32 v3, 11
	v_cmp_ne_u16_sdwa s[6:7], s33, v3 src0_sel:BYTE_0 src1_sel:DWORD
	s_mov_b64 s[12:13], -1
.LBB30_623:
	s_and_b64 vcc, exec, s[6:7]
	s_cbranch_vccnz .LBB30_728
; %bb.624:
	s_andn2_b64 vcc, exec, s[12:13]
	s_cbranch_vccnz .LBB30_626
.LBB30_625:
	s_cmp_lg_u64 s[8:9], 0
	s_cselect_b64 s[6:7], -1, 0
	v_cndmask_b32_e64 v3, 0, 1, s[6:7]
	s_mov_b64 s[14:15], -1
	global_store_byte v[0:1], v3, off
.LBB30_626:
	s_branch .LBB30_550
.LBB30_627:
	v_mov_b32_e32 v3, 5
	v_cmp_lt_i16_sdwa s[12:13], s33, v3 src0_sel:BYTE_0 src1_sel:DWORD
	s_mov_b64 s[6:7], -1
	s_and_b64 vcc, exec, s[12:13]
	s_cbranch_vccnz .LBB30_648
; %bb.628:
	v_mov_b32_e32 v3, 8
	v_cmp_lt_i16_sdwa s[12:13], s33, v3 src0_sel:BYTE_0 src1_sel:DWORD
	s_and_b64 vcc, exec, s[12:13]
	s_cbranch_vccnz .LBB30_638
; %bb.629:
	v_mov_b32_e32 v3, 9
	v_cmp_lt_i16_sdwa s[12:13], s33, v3 src0_sel:BYTE_0 src1_sel:DWORD
	s_and_b64 vcc, exec, s[12:13]
	s_cbranch_vccnz .LBB30_635
; %bb.630:
	v_cmp_gt_i16_sdwa s[12:13], s33, v3 src0_sel:BYTE_0 src1_sel:DWORD
	s_and_b64 vcc, exec, s[12:13]
	s_cbranch_vccz .LBB30_632
; %bb.631:
	v_cvt_f64_i32_e32 v[4:5], s9
	v_ldexp_f64 v[4:5], v[4:5], 32
	v_cvt_f64_u32_e32 v[6:7], s8
	v_add_f64 v[4:5], v[4:5], v[6:7]
	v_mov_b32_e32 v6, 0
	v_mov_b32_e32 v7, v6
	global_store_dwordx4 v[0:1], v[4:7], off
	s_mov_b64 s[6:7], 0
.LBB30_632:
	s_andn2_b64 vcc, exec, s[6:7]
	s_cbranch_vccnz .LBB30_634
; %bb.633:
	s_xor_b32 s7, s8, s9
	s_flbit_i32 s6, s9
	s_ashr_i32 s7, s7, 31
	s_add_i32 s6, s6, -1
	s_add_i32 s7, s7, 32
	s_min_u32 s12, s6, s7
	s_lshl_b64 s[6:7], s[8:9], s12
	s_min_u32 s6, s6, 1
	s_or_b32 s6, s7, s6
	v_cvt_f32_i32_e32 v3, s6
	s_sub_i32 s6, 32, s12
	v_mov_b32_e32 v5, 0
	v_ldexp_f32 v4, v3, s6
	global_store_dwordx2 v[0:1], v[4:5], off
.LBB30_634:
	s_mov_b64 s[6:7], 0
.LBB30_635:
	s_andn2_b64 vcc, exec, s[6:7]
	s_cbranch_vccnz .LBB30_637
; %bb.636:
	s_xor_b32 s7, s8, s9
	s_flbit_i32 s6, s9
	s_ashr_i32 s7, s7, 31
	s_add_i32 s6, s6, -1
	s_add_i32 s7, s7, 32
	s_min_u32 s12, s6, s7
	s_lshl_b64 s[6:7], s[8:9], s12
	s_min_u32 s6, s6, 1
	s_or_b32 s6, s7, s6
	v_cvt_f32_i32_e32 v3, s6
	s_sub_i32 s6, 32, s12
	v_ldexp_f32 v3, v3, s6
	v_cvt_f16_f32_e32 v3, v3
	global_store_dword v[0:1], v3, off
.LBB30_637:
	s_mov_b64 s[6:7], 0
.LBB30_638:
	s_andn2_b64 vcc, exec, s[6:7]
	s_cbranch_vccnz .LBB30_647
; %bb.639:
	v_mov_b32_e32 v3, 6
	v_cmp_lt_i16_sdwa s[12:13], s33, v3 src0_sel:BYTE_0 src1_sel:DWORD
	s_mov_b64 s[6:7], -1
	s_and_b64 vcc, exec, s[12:13]
	s_cbranch_vccnz .LBB30_645
; %bb.640:
	v_cmp_gt_i16_sdwa s[12:13], s33, v3 src0_sel:BYTE_0 src1_sel:DWORD
	s_and_b64 vcc, exec, s[12:13]
	s_cbranch_vccz .LBB30_642
; %bb.641:
	v_cvt_f64_i32_e32 v[4:5], s9
	v_ldexp_f64 v[4:5], v[4:5], 32
	v_cvt_f64_u32_e32 v[6:7], s8
	v_add_f64 v[4:5], v[4:5], v[6:7]
	global_store_dwordx2 v[0:1], v[4:5], off
	s_mov_b64 s[6:7], 0
.LBB30_642:
	s_andn2_b64 vcc, exec, s[6:7]
	s_cbranch_vccnz .LBB30_644
; %bb.643:
	s_xor_b32 s7, s8, s9
	s_flbit_i32 s6, s9
	s_ashr_i32 s7, s7, 31
	s_add_i32 s6, s6, -1
	s_add_i32 s7, s7, 32
	s_min_u32 s12, s6, s7
	s_lshl_b64 s[6:7], s[8:9], s12
	s_min_u32 s6, s6, 1
	s_or_b32 s6, s7, s6
	v_cvt_f32_i32_e32 v3, s6
	s_sub_i32 s6, 32, s12
	v_ldexp_f32 v3, v3, s6
	global_store_dword v[0:1], v3, off
.LBB30_644:
	s_mov_b64 s[6:7], 0
.LBB30_645:
	s_andn2_b64 vcc, exec, s[6:7]
	s_cbranch_vccnz .LBB30_647
; %bb.646:
	s_xor_b32 s7, s8, s9
	s_flbit_i32 s6, s9
	s_ashr_i32 s7, s7, 31
	s_add_i32 s6, s6, -1
	s_add_i32 s7, s7, 32
	s_min_u32 s12, s6, s7
	s_lshl_b64 s[6:7], s[8:9], s12
	s_min_u32 s6, s6, 1
	s_or_b32 s6, s7, s6
	v_cvt_f32_i32_e32 v3, s6
	s_sub_i32 s6, 32, s12
	v_ldexp_f32 v3, v3, s6
	v_cvt_f16_f32_e32 v3, v3
	global_store_short v[0:1], v3, off
.LBB30_647:
	s_mov_b64 s[6:7], 0
.LBB30_648:
	s_andn2_b64 vcc, exec, s[6:7]
	s_cbranch_vccnz .LBB30_664
; %bb.649:
	v_mov_b32_e32 v3, 2
	v_cmp_lt_i16_sdwa s[12:13], s33, v3 src0_sel:BYTE_0 src1_sel:DWORD
	s_mov_b64 s[6:7], -1
	s_and_b64 vcc, exec, s[12:13]
	s_cbranch_vccnz .LBB30_659
; %bb.650:
	v_mov_b32_e32 v3, 3
	v_cmp_lt_i16_sdwa s[12:13], s33, v3 src0_sel:BYTE_0 src1_sel:DWORD
	s_and_b64 vcc, exec, s[12:13]
	s_cbranch_vccnz .LBB30_656
; %bb.651:
	v_cmp_gt_i16_sdwa s[12:13], s33, v3 src0_sel:BYTE_0 src1_sel:DWORD
	s_and_b64 vcc, exec, s[12:13]
	s_cbranch_vccz .LBB30_653
; %bb.652:
	v_pk_mov_b32 v[4:5], s[8:9], s[8:9] op_sel:[0,1]
	global_store_dwordx2 v[0:1], v[4:5], off
	s_mov_b64 s[6:7], 0
.LBB30_653:
	s_andn2_b64 vcc, exec, s[6:7]
	s_cbranch_vccnz .LBB30_655
; %bb.654:
	v_mov_b32_e32 v3, s8
	global_store_dword v[0:1], v3, off
.LBB30_655:
	s_mov_b64 s[6:7], 0
.LBB30_656:
	s_andn2_b64 vcc, exec, s[6:7]
	s_cbranch_vccnz .LBB30_658
; %bb.657:
	v_mov_b32_e32 v3, s8
	global_store_short v[0:1], v3, off
.LBB30_658:
	s_mov_b64 s[6:7], 0
.LBB30_659:
	s_andn2_b64 vcc, exec, s[6:7]
	s_cbranch_vccnz .LBB30_664
; %bb.660:
	v_mov_b32_e32 v3, 0
	v_cmp_gt_i16_sdwa s[12:13], s33, v3 src0_sel:BYTE_0 src1_sel:DWORD
	s_mov_b64 s[6:7], -1
	s_and_b64 vcc, exec, s[12:13]
	s_cbranch_vccz .LBB30_662
; %bb.661:
	v_mov_b32_e32 v3, s8
	global_store_byte v[0:1], v3, off
	s_mov_b64 s[6:7], 0
.LBB30_662:
	s_andn2_b64 vcc, exec, s[6:7]
	s_cbranch_vccnz .LBB30_664
; %bb.663:
	v_mov_b32_e32 v3, s8
	global_store_byte v[0:1], v3, off
.LBB30_664:
.LBB30_665:
	v_add_u32_e32 v2, s18, v2
	v_ashrrev_i32_e32 v1, 31, v2
	v_mov_b32_e32 v3, s11
	v_add_co_u32_e32 v0, vcc, s10, v2
	v_addc_co_u32_e32 v1, vcc, v3, v1, vcc
	v_mov_b32_e32 v3, 11
	v_cmp_lt_i16_sdwa s[6:7], s33, v3 src0_sel:BYTE_0 src1_sel:DWORD
	s_and_b64 vcc, exec, s[6:7]
	s_cbranch_vccnz .LBB30_679
; %bb.666:
	v_mov_b32_e32 v3, 25
	v_cmp_gt_i16_sdwa s[6:7], s33, v3 src0_sel:BYTE_0 src1_sel:DWORD
	s_mov_b64 s[16:17], -1
	s_mov_b64 s[12:13], 0
	s_and_b64 vcc, exec, s[6:7]
	s_mov_b64 s[14:15], 0
	s_mov_b64 s[6:7], 0
	s_cbranch_vccz .LBB30_737
; %bb.667:
	v_mov_b32_e32 v3, 28
	v_cmp_gt_i16_sdwa s[6:7], s33, v3 src0_sel:BYTE_0 src1_sel:DWORD
	s_and_b64 vcc, exec, s[6:7]
	s_cbranch_vccz .LBB30_711
; %bb.668:
	v_mov_b32_e32 v3, 43
	v_cmp_gt_i16_sdwa s[6:7], s33, v3 src0_sel:BYTE_0 src1_sel:DWORD
	s_and_b64 vcc, exec, s[6:7]
	;; [unrolled: 5-line block ×3, first 2 shown]
	s_cbranch_vccz .LBB30_672
; %bb.670:
	v_mov_b32_e32 v3, 46
	v_cmp_eq_u16_sdwa s[14:15], s33, v3 src0_sel:BYTE_0 src1_sel:DWORD
	s_mov_b64 s[6:7], -1
	s_mov_b64 s[16:17], 0
	s_and_b64 vcc, exec, s[14:15]
	s_mov_b64 s[14:15], 0
	s_cbranch_vccz .LBB30_673
; %bb.671:
	s_xor_b32 s7, s8, s9
	s_flbit_i32 s6, s9
	s_ashr_i32 s7, s7, 31
	s_add_i32 s6, s6, -1
	s_add_i32 s7, s7, 32
	s_min_u32 s14, s6, s7
	s_lshl_b64 s[6:7], s[8:9], s14
	s_min_u32 s6, s6, 1
	s_or_b32 s6, s7, s6
	v_cvt_f32_i32_e32 v3, s6
	s_sub_i32 s6, 32, s14
	s_mov_b64 s[14:15], -1
	v_ldexp_f32 v3, v3, s6
	v_bfe_u32 v4, v3, 16, 1
	v_add_u32_e32 v3, v3, v4
	v_add_u32_e32 v3, 0x7fff, v3
	v_lshrrev_b32_e32 v3, 16, v3
	global_store_dword v[0:1], v3, off
.LBB30_672:
	s_mov_b64 s[6:7], 0
.LBB30_673:
	s_and_b64 vcc, exec, s[16:17]
	s_cbranch_vccz .LBB30_678
; %bb.674:
	v_mov_b32_e32 v3, 44
	v_cmp_eq_u16_sdwa s[16:17], s33, v3 src0_sel:BYTE_0 src1_sel:DWORD
	s_mov_b64 s[6:7], -1
	s_and_b64 vcc, exec, s[16:17]
	s_cbranch_vccz .LBB30_678
; %bb.675:
	s_xor_b32 s7, s8, s9
	s_flbit_i32 s6, s9
	s_ashr_i32 s7, s7, 31
	s_add_i32 s6, s6, -1
	s_add_i32 s7, s7, 32
	s_min_u32 s14, s6, s7
	s_lshl_b64 s[6:7], s[8:9], s14
	s_min_u32 s6, s6, 1
	s_or_b32 s6, s7, s6
	v_cvt_f32_i32_e32 v3, s6
	s_sub_i32 s6, 32, s14
	v_mov_b32_e32 v4, 0xff
	v_ldexp_f32 v3, v3, s6
	v_readfirstlane_b32 s6, v3
	s_bfe_u32 s7, s6, 0x80017
	s_cmpk_eq_i32 s7, 0xff
	s_cbranch_scc1 .LBB30_677
; %bb.676:
	s_bitcmp1_b32 s6, 22
	s_cselect_b64 s[14:15], -1, 0
	s_and_b32 s6, s6, 0x3fffff
	s_or_b32 s6, s7, s6
	s_cmp_lg_u32 s6, 0
	s_cselect_b64 s[6:7], -1, 0
	s_and_b64 s[6:7], s[14:15], s[6:7]
	v_lshrrev_b32_e32 v3, 23, v3
	v_cndmask_b32_e64 v4, 0, 1, s[6:7]
	v_add_u32_e32 v4, v3, v4
.LBB30_677:
	s_mov_b64 s[6:7], 0
	s_mov_b64 s[14:15], -1
	global_store_byte v[0:1], v4, off
.LBB30_678:
	s_mov_b64 s[16:17], 0
	s_branch .LBB30_713
.LBB30_679:
	s_mov_b64 s[14:15], 0
	s_cbranch_execnz .LBB30_801
.LBB30_680:
	s_andn2_b64 vcc, exec, s[14:15]
	s_cbranch_vccnz .LBB30_839
.LBB30_681:
	v_add_u32_e32 v0, s18, v2
	v_ashrrev_i32_e32 v1, 31, v0
	v_mov_b32_e32 v2, s11
	v_add_co_u32_e32 v0, vcc, s10, v0
	v_addc_co_u32_e32 v1, vcc, v2, v1, vcc
	v_mov_b32_e32 v2, 0xff
	v_and_b32_e32 v2, s33, v2
	v_cmp_gt_i16_e32 vcc, 11, v2
	s_cbranch_vccnz .LBB30_710
; %bb.682:
	v_cmp_lt_i16_e32 vcc, 25, v2
	s_mov_b64 s[12:13], -1
	s_mov_b64 s[10:11], 0
	s_mov_b64 s[6:7], 0
	s_cbranch_vccz .LBB30_751
; %bb.683:
	v_cmp_lt_i16_e32 vcc, 28, v2
	s_cbranch_vccz .LBB30_699
; %bb.684:
	v_cmp_lt_i16_e32 vcc, 43, v2
	;; [unrolled: 3-line block ×3, first 2 shown]
	s_cbranch_vccz .LBB30_689
; %bb.686:
	v_cmp_eq_u16_e32 vcc, 46, v2
	s_mov_b64 s[6:7], -1
	s_cbranch_vccz .LBB30_688
; %bb.687:
	s_xor_b32 s7, s8, s9
	s_flbit_i32 s6, s9
	s_ashr_i32 s7, s7, 31
	s_add_i32 s6, s6, -1
	s_add_i32 s7, s7, 32
	s_min_u32 s12, s6, s7
	s_lshl_b64 s[6:7], s[8:9], s12
	s_min_u32 s6, s6, 1
	s_or_b32 s6, s7, s6
	v_cvt_f32_i32_e32 v3, s6
	s_sub_i32 s6, 32, s12
	v_ldexp_f32 v3, v3, s6
	v_bfe_u32 v4, v3, 16, 1
	v_add_u32_e32 v3, v3, v4
	v_add_u32_e32 v3, 0x7fff, v3
	v_lshrrev_b32_e32 v3, 16, v3
	global_store_dword v[0:1], v3, off
	s_mov_b64 s[6:7], 0
.LBB30_688:
	s_mov_b64 s[12:13], 0
.LBB30_689:
	s_and_b64 vcc, exec, s[12:13]
	s_cbranch_vccz .LBB30_694
; %bb.690:
	v_cmp_eq_u16_e32 vcc, 44, v2
	s_mov_b64 s[6:7], -1
	s_cbranch_vccz .LBB30_694
; %bb.691:
	s_xor_b32 s7, s8, s9
	s_flbit_i32 s6, s9
	s_ashr_i32 s7, s7, 31
	s_add_i32 s6, s6, -1
	s_add_i32 s7, s7, 32
	s_min_u32 s12, s6, s7
	s_lshl_b64 s[6:7], s[8:9], s12
	s_min_u32 s6, s6, 1
	s_or_b32 s6, s7, s6
	v_cvt_f32_i32_e32 v3, s6
	s_sub_i32 s6, 32, s12
	v_mov_b32_e32 v4, 0xff
	v_ldexp_f32 v3, v3, s6
	v_readfirstlane_b32 s6, v3
	s_bfe_u32 s7, s6, 0x80017
	s_cmpk_eq_i32 s7, 0xff
	s_cbranch_scc1 .LBB30_693
; %bb.692:
	s_bitcmp1_b32 s6, 22
	s_cselect_b64 s[12:13], -1, 0
	s_and_b32 s6, s6, 0x3fffff
	s_or_b32 s6, s7, s6
	s_cmp_lg_u32 s6, 0
	s_cselect_b64 s[6:7], -1, 0
	s_and_b64 s[6:7], s[12:13], s[6:7]
	v_lshrrev_b32_e32 v3, 23, v3
	v_cndmask_b32_e64 v4, 0, 1, s[6:7]
	v_add_u32_e32 v4, v3, v4
.LBB30_693:
	s_mov_b64 s[6:7], 0
	global_store_byte v[0:1], v4, off
.LBB30_694:
	s_mov_b64 s[12:13], 0
.LBB30_695:
	s_and_b64 vcc, exec, s[12:13]
	s_cbranch_vccz .LBB30_698
; %bb.696:
	v_cmp_eq_u16_e32 vcc, 29, v2
	s_mov_b64 s[6:7], -1
	s_cbranch_vccz .LBB30_698
; %bb.697:
	v_pk_mov_b32 v[4:5], s[8:9], s[8:9] op_sel:[0,1]
	global_store_dwordx2 v[0:1], v[4:5], off
	s_mov_b64 s[6:7], 0
.LBB30_698:
	s_mov_b64 s[12:13], 0
.LBB30_699:
	s_and_b64 vcc, exec, s[12:13]
	s_cbranch_vccz .LBB30_750
; %bb.700:
	v_cmp_gt_i16_e32 vcc, 27, v2
	s_mov_b64 s[12:13], -1
	s_cbranch_vccnz .LBB30_706
; %bb.701:
	v_cmp_lt_i16_e32 vcc, 27, v2
	s_cbranch_vccz .LBB30_703
; %bb.702:
	v_mov_b32_e32 v3, s8
	global_store_dword v[0:1], v3, off
	s_mov_b64 s[12:13], 0
.LBB30_703:
	s_andn2_b64 vcc, exec, s[12:13]
	s_cbranch_vccnz .LBB30_705
; %bb.704:
	v_mov_b32_e32 v3, s8
	global_store_short v[0:1], v3, off
.LBB30_705:
	s_mov_b64 s[12:13], 0
.LBB30_706:
	s_andn2_b64 vcc, exec, s[12:13]
	s_cbranch_vccnz .LBB30_750
; %bb.707:
	s_xor_b32 s13, s8, s9
	s_flbit_i32 s12, s9
	s_ashr_i32 s13, s13, 31
	s_add_i32 s12, s12, -1
	s_add_i32 s13, s13, 32
	s_min_u32 s14, s12, s13
	s_lshl_b64 s[12:13], s[8:9], s14
	s_min_u32 s12, s12, 1
	s_or_b32 s12, s13, s12
	v_cvt_f32_i32_e32 v3, s12
	s_sub_i32 s12, 32, s14
	v_mov_b32_e32 v4, 0x80
	v_ldexp_f32 v3, v3, s12
	v_readfirstlane_b32 s16, v3
	s_and_b32 s12, s16, 0x7fffffff
	s_cmp_gt_u32 s12, 0x437fffff
	s_cbranch_scc1 .LBB30_749
; %bb.708:
	s_cmp_gt_u32 s12, 0x3bffffff
	s_cbranch_scc0 .LBB30_744
; %bb.709:
	s_bfe_u32 s12, s16, 0x10014
	s_add_i32 s12, s16, s12
	s_add_i32 s12, s12, 0x487ffff
	s_lshr_b32 s17, s12, 20
	s_mov_b64 s[14:15], 0
	s_mov_b64 s[12:13], -1
	s_branch .LBB30_745
.LBB30_710:
	s_mov_b64 s[10:11], 0
	s_mov_b64 s[6:7], -1
	s_branch .LBB30_840
.LBB30_711:
	s_mov_b64 s[6:7], 0
	s_branch .LBB30_717
.LBB30_712:
	s_mov_b64 s[6:7], 0
.LBB30_713:
	s_and_b64 vcc, exec, s[16:17]
	s_cbranch_vccz .LBB30_716
; %bb.714:
	v_mov_b32_e32 v3, 29
	v_cmp_eq_u16_sdwa s[16:17], s33, v3 src0_sel:BYTE_0 src1_sel:DWORD
	s_mov_b64 s[6:7], -1
	s_and_b64 vcc, exec, s[16:17]
	s_cbranch_vccz .LBB30_716
; %bb.715:
	v_pk_mov_b32 v[4:5], s[8:9], s[8:9] op_sel:[0,1]
	global_store_dwordx2 v[0:1], v[4:5], off
	s_mov_b64 s[6:7], 0
	s_mov_b64 s[14:15], -1
.LBB30_716:
	s_mov_b64 s[16:17], 0
.LBB30_717:
	s_and_b64 vcc, exec, s[16:17]
	s_cbranch_vccz .LBB30_736
; %bb.718:
	v_mov_b32_e32 v3, 27
	v_cmp_lt_i16_sdwa s[16:17], s33, v3 src0_sel:BYTE_0 src1_sel:DWORD
	s_mov_b64 s[14:15], -1
	s_and_b64 vcc, exec, s[16:17]
	s_cbranch_vccnz .LBB30_724
; %bb.719:
	v_cmp_gt_i16_sdwa s[16:17], s33, v3 src0_sel:BYTE_0 src1_sel:DWORD
	s_and_b64 vcc, exec, s[16:17]
	s_cbranch_vccz .LBB30_721
; %bb.720:
	v_mov_b32_e32 v3, s8
	s_mov_b64 s[14:15], 0
	global_store_dword v[0:1], v3, off
.LBB30_721:
	s_andn2_b64 vcc, exec, s[14:15]
	s_cbranch_vccnz .LBB30_723
; %bb.722:
	v_mov_b32_e32 v3, s8
	global_store_short v[0:1], v3, off
.LBB30_723:
	s_mov_b64 s[14:15], 0
.LBB30_724:
	s_andn2_b64 vcc, exec, s[14:15]
	s_cbranch_vccnz .LBB30_735
; %bb.725:
	s_xor_b32 s15, s8, s9
	s_flbit_i32 s14, s9
	s_ashr_i32 s15, s15, 31
	s_add_i32 s14, s14, -1
	s_add_i32 s15, s15, 32
	s_min_u32 s16, s14, s15
	s_lshl_b64 s[14:15], s[8:9], s16
	s_min_u32 s14, s14, 1
	s_or_b32 s14, s15, s14
	v_cvt_f32_i32_e32 v3, s14
	s_sub_i32 s14, 32, s16
	v_mov_b32_e32 v4, 0x80
	v_ldexp_f32 v3, v3, s14
	v_readfirstlane_b32 s19, v3
	s_and_b32 s14, s19, 0x7fffffff
	s_cmp_gt_u32 s14, 0x437fffff
	s_cbranch_scc1 .LBB30_734
; %bb.726:
	s_cmp_gt_u32 s14, 0x3bffffff
	s_cbranch_scc0 .LBB30_729
; %bb.727:
	s_bfe_u32 s14, s19, 0x10014
	s_add_i32 s14, s19, s14
	s_add_i32 s14, s14, 0x487ffff
	s_lshr_b32 s20, s14, 20
	s_mov_b64 s[16:17], 0
	s_mov_b64 s[14:15], -1
	s_branch .LBB30_730
.LBB30_728:
	s_trap 2
	s_or_b64 s[4:5], s[4:5], exec
	s_cbranch_execz .LBB30_625
	s_branch .LBB30_626
.LBB30_729:
	s_mov_b64 s[16:17], -1
	s_mov_b64 s[14:15], 0
                                        ; implicit-def: $sgpr20
.LBB30_730:
	s_andn2_b64 vcc, exec, s[16:17]
	v_mov_b32_e32 v3, s20
                                        ; implicit-def: $sgpr16
	s_cbranch_vccnz .LBB30_732
; %bb.731:
	v_mov_b32_e32 v3, 0x46000000
	v_add_f32_e64 v3, |s19|, v3
	v_and_b32_e32 v3, 0xff, v3
	s_mov_b32 s16, 0
	v_cmp_ne_u32_e64 s[14:15], 0, v3
.LBB30_732:
	s_andn2_b64 vcc, exec, s[14:15]
	v_mov_b32_e32 v4, s16
	s_cbranch_vccnz .LBB30_734
; %bb.733:
	s_lshr_b32 s14, s19, 24
	s_and_b32 s14, s14, 0x80
	v_or_b32_e32 v4, s14, v3
.LBB30_734:
	global_store_byte v[0:1], v4, off
.LBB30_735:
	s_mov_b64 s[14:15], -1
.LBB30_736:
	s_mov_b64 s[16:17], 0
.LBB30_737:
	s_and_b64 vcc, exec, s[16:17]
	s_cbranch_vccz .LBB30_797
; %bb.738:
	v_mov_b32_e32 v3, 22
	v_cmp_gt_i16_sdwa s[16:17], s33, v3 src0_sel:BYTE_0 src1_sel:DWORD
	s_mov_b64 s[12:13], -1
	s_and_b64 vcc, exec, s[16:17]
	s_cbranch_vccz .LBB30_790
; %bb.739:
	v_mov_b32_e32 v3, 24
	v_cmp_lt_i16_sdwa s[14:15], s33, v3 src0_sel:BYTE_0 src1_sel:DWORD
	s_and_b64 vcc, exec, s[14:15]
	s_cbranch_vccnz .LBB30_777
; %bb.740:
	v_cmp_gt_i16_sdwa s[14:15], s33, v3 src0_sel:BYTE_0 src1_sel:DWORD
	s_and_b64 vcc, exec, s[14:15]
	s_cbranch_vccz .LBB30_764
; %bb.741:
	s_xor_b32 s13, s8, s9
	s_flbit_i32 s12, s9
	s_ashr_i32 s13, s13, 31
	s_add_i32 s12, s12, -1
	s_add_i32 s13, s13, 32
	s_min_u32 s14, s12, s13
	s_lshl_b64 s[12:13], s[8:9], s14
	s_min_u32 s12, s12, 1
	s_or_b32 s12, s13, s12
	v_cvt_f32_i32_e32 v3, s12
	s_sub_i32 s12, 32, s14
	v_mov_b32_e32 v4, 0x80
	v_ldexp_f32 v3, v3, s12
	v_readfirstlane_b32 s16, v3
	s_and_b32 s12, s16, 0x7fffffff
	s_cmp_gt_u32 s12, 0x477fffff
	s_cbranch_scc1 .LBB30_763
; %bb.742:
	s_cmp_gt_u32 s12, 0x37ffffff
	s_cbranch_scc0 .LBB30_758
; %bb.743:
	s_bfe_u32 s12, s16, 0x10015
	s_add_i32 s12, s16, s12
	s_add_i32 s12, s12, 0x88fffff
	s_lshr_b32 s17, s12, 21
	s_mov_b64 s[14:15], 0
	s_mov_b64 s[12:13], -1
	s_branch .LBB30_759
.LBB30_744:
	s_mov_b64 s[14:15], -1
	s_mov_b64 s[12:13], 0
                                        ; implicit-def: $sgpr17
.LBB30_745:
	s_andn2_b64 vcc, exec, s[14:15]
	v_mov_b32_e32 v3, s17
                                        ; implicit-def: $sgpr14
	s_cbranch_vccnz .LBB30_747
; %bb.746:
	v_mov_b32_e32 v3, 0x46000000
	v_add_f32_e64 v3, |s16|, v3
	v_and_b32_e32 v3, 0xff, v3
	s_mov_b32 s14, 0
	v_cmp_ne_u32_e64 s[12:13], 0, v3
.LBB30_747:
	s_andn2_b64 vcc, exec, s[12:13]
	v_mov_b32_e32 v4, s14
	s_cbranch_vccnz .LBB30_749
; %bb.748:
	s_lshr_b32 s12, s16, 24
	s_and_b32 s12, s12, 0x80
	v_or_b32_e32 v4, s12, v3
.LBB30_749:
	global_store_byte v[0:1], v4, off
.LBB30_750:
	s_mov_b64 s[12:13], 0
.LBB30_751:
	s_and_b64 vcc, exec, s[12:13]
	s_cbranch_vccz .LBB30_921
; %bb.752:
	v_cmp_lt_i16_e32 vcc, 22, v2
	s_mov_b64 s[10:11], -1
	s_cbranch_vccz .LBB30_914
; %bb.753:
	v_cmp_gt_i16_e32 vcc, 24, v2
	s_cbranch_vccnz .LBB30_901
; %bb.754:
	v_cmp_lt_i16_e32 vcc, 24, v2
	s_cbranch_vccz .LBB30_888
; %bb.755:
	s_xor_b32 s11, s8, s9
	s_flbit_i32 s10, s9
	s_ashr_i32 s11, s11, 31
	s_add_i32 s10, s10, -1
	s_add_i32 s11, s11, 32
	s_min_u32 s12, s10, s11
	s_lshl_b64 s[10:11], s[8:9], s12
	s_min_u32 s10, s10, 1
	s_or_b32 s10, s11, s10
	v_cvt_f32_i32_e32 v3, s10
	s_sub_i32 s10, 32, s12
	v_mov_b32_e32 v4, 0x80
	v_ldexp_f32 v3, v3, s10
	v_readfirstlane_b32 s14, v3
	s_and_b32 s10, s14, 0x7fffffff
	s_cmp_gt_u32 s10, 0x477fffff
	s_cbranch_scc1 .LBB30_887
; %bb.756:
	s_cmp_gt_u32 s10, 0x37ffffff
	s_cbranch_scc0 .LBB30_882
; %bb.757:
	s_bfe_u32 s10, s14, 0x10015
	s_add_i32 s10, s14, s10
	s_add_i32 s10, s10, 0x88fffff
	s_lshr_b32 s15, s10, 21
	s_mov_b64 s[12:13], 0
	s_mov_b64 s[10:11], -1
	s_branch .LBB30_883
.LBB30_758:
	s_mov_b64 s[14:15], -1
	s_mov_b64 s[12:13], 0
                                        ; implicit-def: $sgpr17
.LBB30_759:
	s_andn2_b64 vcc, exec, s[14:15]
	v_mov_b32_e32 v3, s17
                                        ; implicit-def: $sgpr14
	s_cbranch_vccnz .LBB30_761
; %bb.760:
	v_mov_b32_e32 v3, 0x42800000
	v_add_f32_e64 v3, |s16|, v3
	v_and_b32_e32 v3, 0xff, v3
	s_mov_b32 s14, 0
	v_cmp_ne_u32_e64 s[12:13], 0, v3
.LBB30_761:
	s_andn2_b64 vcc, exec, s[12:13]
	v_mov_b32_e32 v4, s14
	s_cbranch_vccnz .LBB30_763
; %bb.762:
	s_lshr_b32 s12, s16, 24
	s_and_b32 s12, s12, 0x80
	v_or_b32_e32 v4, s12, v3
.LBB30_763:
	s_mov_b64 s[12:13], 0
	global_store_byte v[0:1], v4, off
.LBB30_764:
	s_and_b64 vcc, exec, s[12:13]
	s_cbranch_vccz .LBB30_776
; %bb.765:
	s_xor_b32 s13, s8, s9
	s_flbit_i32 s12, s9
	s_ashr_i32 s13, s13, 31
	s_add_i32 s12, s12, -1
	s_add_i32 s13, s13, 32
	s_min_u32 s14, s12, s13
	s_lshl_b64 s[12:13], s[8:9], s14
	s_min_u32 s12, s12, 1
	s_or_b32 s12, s13, s12
	v_cvt_f32_i32_e32 v3, s12
	s_sub_i32 s12, 32, s14
	v_ldexp_f32 v3, v3, s12
	v_readfirstlane_b32 s14, v3
	s_and_b32 s15, s14, 0x7fffffff
	s_cmp_lt_u32 s15, 0x43f00000
	s_cbranch_scc0 .LBB30_768
; %bb.766:
	s_cmp_gt_u32 s15, 0x3c7fffff
	s_cbranch_scc0 .LBB30_769
; %bb.767:
	s_bfe_u32 s12, s14, 0x10014
	s_add_i32 s12, s14, s12
	s_add_i32 s12, s12, 0x407ffff
	s_lshr_b32 s13, s12, 20
	s_and_b32 s12, s12, 0xff00000
	s_cmp_lg_u32 s12, 0x7f00000
	s_cselect_b32 s16, s13, 0x7e
	s_mov_b64 s[12:13], 0
	s_branch .LBB30_770
.LBB30_768:
	s_mov_b64 s[12:13], -1
                                        ; implicit-def: $vgpr4
	s_branch .LBB30_773
.LBB30_769:
	s_mov_b64 s[12:13], -1
                                        ; implicit-def: $sgpr16
.LBB30_770:
	s_andn2_b64 vcc, exec, s[12:13]
	v_mov_b32_e32 v4, s16
	s_cbranch_vccnz .LBB30_772
; %bb.771:
	s_mov_b32 s12, 0x46800000
	v_add_f32_e64 v4, |v3|, s12
.LBB30_772:
	s_mov_b64 s[12:13], 0
.LBB30_773:
	s_andn2_b64 vcc, exec, s[12:13]
	s_cbranch_vccnz .LBB30_775
; %bb.774:
	s_cmp_gt_u32 s15, 0x7f800000
	s_movk_i32 s12, 0x7f
	s_cselect_b32 s12, s12, 0x7e
	v_mov_b32_e32 v4, s12
.LBB30_775:
	s_lshr_b32 s12, s14, 24
	s_and_b32 s12, s12, 0x80
	v_or_b32_e32 v3, s12, v4
	global_store_byte v[0:1], v3, off
.LBB30_776:
	s_mov_b64 s[12:13], 0
.LBB30_777:
	s_andn2_b64 vcc, exec, s[12:13]
	s_cbranch_vccnz .LBB30_789
; %bb.778:
	s_xor_b32 s13, s8, s9
	s_flbit_i32 s12, s9
	s_ashr_i32 s13, s13, 31
	s_add_i32 s12, s12, -1
	s_add_i32 s13, s13, 32
	s_min_u32 s14, s12, s13
	s_lshl_b64 s[12:13], s[8:9], s14
	s_min_u32 s12, s12, 1
	s_or_b32 s12, s13, s12
	v_cvt_f32_i32_e32 v3, s12
	s_sub_i32 s12, 32, s14
	v_ldexp_f32 v3, v3, s12
	v_readfirstlane_b32 s14, v3
	s_and_b32 s15, s14, 0x7fffffff
	s_cmp_lt_u32 s15, 0x47800000
	s_cbranch_scc0 .LBB30_781
; %bb.779:
	s_cmp_gt_u32 s15, 0x387fffff
	s_cbranch_scc0 .LBB30_782
; %bb.780:
	s_bfe_u32 s12, s14, 0x10015
	s_add_i32 s12, s14, s12
	s_add_i32 s12, s12, 0x80fffff
	s_lshr_b32 s16, s12, 21
	s_mov_b64 s[12:13], 0
	s_branch .LBB30_783
.LBB30_781:
	s_mov_b64 s[12:13], -1
                                        ; implicit-def: $vgpr4
	s_branch .LBB30_786
.LBB30_782:
	s_mov_b64 s[12:13], -1
                                        ; implicit-def: $sgpr16
.LBB30_783:
	s_andn2_b64 vcc, exec, s[12:13]
	v_mov_b32_e32 v4, s16
	s_cbranch_vccnz .LBB30_785
; %bb.784:
	s_mov_b32 s12, 0x43000000
	v_add_f32_e64 v4, |v3|, s12
.LBB30_785:
	s_mov_b64 s[12:13], 0
.LBB30_786:
	s_andn2_b64 vcc, exec, s[12:13]
	s_cbranch_vccnz .LBB30_788
; %bb.787:
	s_cmp_gt_u32 s15, 0x7f800000
	s_movk_i32 s12, 0x7f
	s_cselect_b32 s12, s12, 0x7c
	v_mov_b32_e32 v4, s12
.LBB30_788:
	s_lshr_b32 s12, s14, 24
	s_and_b32 s12, s12, 0x80
	v_or_b32_e32 v3, s12, v4
	global_store_byte v[0:1], v3, off
.LBB30_789:
	s_mov_b64 s[12:13], 0
	s_mov_b64 s[14:15], -1
.LBB30_790:
	s_andn2_b64 vcc, exec, s[12:13]
	s_mov_b64 s[12:13], 0
	s_cbranch_vccnz .LBB30_797
; %bb.791:
	v_mov_b32_e32 v3, 14
	v_cmp_gt_i16_sdwa s[12:13], s33, v3 src0_sel:BYTE_0 src1_sel:DWORD
	s_mov_b64 s[16:17], -1
	s_and_b64 vcc, exec, s[12:13]
	s_cbranch_vccz .LBB30_795
; %bb.792:
	v_mov_b32_e32 v3, 15
	v_cmp_eq_u16_sdwa s[12:13], s33, v3 src0_sel:BYTE_0 src1_sel:DWORD
	s_mov_b64 s[6:7], -1
	s_and_b64 vcc, exec, s[12:13]
	s_cbranch_vccz .LBB30_794
; %bb.793:
	s_xor_b32 s7, s8, s9
	s_flbit_i32 s6, s9
	s_ashr_i32 s7, s7, 31
	s_add_i32 s6, s6, -1
	s_add_i32 s7, s7, 32
	s_min_u32 s12, s6, s7
	s_lshl_b64 s[6:7], s[8:9], s12
	s_min_u32 s6, s6, 1
	s_or_b32 s6, s7, s6
	v_cvt_f32_i32_e32 v3, s6
	s_sub_i32 s6, 32, s12
	s_mov_b64 s[14:15], -1
	v_ldexp_f32 v3, v3, s6
	v_bfe_u32 v4, v3, 16, 1
	v_add_u32_e32 v3, v3, v4
	v_add_u32_e32 v3, 0x7fff, v3
	global_store_short_d16_hi v[0:1], v3, off
	s_mov_b64 s[6:7], 0
.LBB30_794:
	s_mov_b64 s[16:17], 0
.LBB30_795:
	s_mov_b64 s[12:13], 0
	s_and_b64 vcc, exec, s[16:17]
	s_cbranch_vccz .LBB30_797
; %bb.796:
	v_mov_b32_e32 v3, 11
	v_cmp_ne_u16_sdwa s[6:7], s33, v3 src0_sel:BYTE_0 src1_sel:DWORD
	s_mov_b64 s[12:13], -1
.LBB30_797:
	s_and_b64 vcc, exec, s[6:7]
	s_cbranch_vccnz .LBB30_881
; %bb.798:
	s_andn2_b64 vcc, exec, s[12:13]
	s_cbranch_vccnz .LBB30_800
.LBB30_799:
	s_cmp_lg_u64 s[8:9], 0
	s_cselect_b64 s[6:7], -1, 0
	v_cndmask_b32_e64 v3, 0, 1, s[6:7]
	s_mov_b64 s[14:15], -1
	global_store_byte v[0:1], v3, off
.LBB30_800:
	s_branch .LBB30_680
.LBB30_801:
	v_mov_b32_e32 v3, 5
	v_cmp_lt_i16_sdwa s[12:13], s33, v3 src0_sel:BYTE_0 src1_sel:DWORD
	s_mov_b64 s[6:7], -1
	s_and_b64 vcc, exec, s[12:13]
	s_cbranch_vccnz .LBB30_822
; %bb.802:
	v_mov_b32_e32 v3, 8
	v_cmp_lt_i16_sdwa s[12:13], s33, v3 src0_sel:BYTE_0 src1_sel:DWORD
	s_and_b64 vcc, exec, s[12:13]
	s_cbranch_vccnz .LBB30_812
; %bb.803:
	v_mov_b32_e32 v3, 9
	v_cmp_lt_i16_sdwa s[12:13], s33, v3 src0_sel:BYTE_0 src1_sel:DWORD
	s_and_b64 vcc, exec, s[12:13]
	s_cbranch_vccnz .LBB30_809
; %bb.804:
	v_cmp_gt_i16_sdwa s[12:13], s33, v3 src0_sel:BYTE_0 src1_sel:DWORD
	s_and_b64 vcc, exec, s[12:13]
	s_cbranch_vccz .LBB30_806
; %bb.805:
	v_cvt_f64_i32_e32 v[4:5], s9
	v_ldexp_f64 v[4:5], v[4:5], 32
	v_cvt_f64_u32_e32 v[6:7], s8
	v_add_f64 v[4:5], v[4:5], v[6:7]
	v_mov_b32_e32 v6, 0
	v_mov_b32_e32 v7, v6
	global_store_dwordx4 v[0:1], v[4:7], off
	s_mov_b64 s[6:7], 0
.LBB30_806:
	s_andn2_b64 vcc, exec, s[6:7]
	s_cbranch_vccnz .LBB30_808
; %bb.807:
	s_xor_b32 s7, s8, s9
	s_flbit_i32 s6, s9
	s_ashr_i32 s7, s7, 31
	s_add_i32 s6, s6, -1
	s_add_i32 s7, s7, 32
	s_min_u32 s12, s6, s7
	s_lshl_b64 s[6:7], s[8:9], s12
	s_min_u32 s6, s6, 1
	s_or_b32 s6, s7, s6
	v_cvt_f32_i32_e32 v3, s6
	s_sub_i32 s6, 32, s12
	v_mov_b32_e32 v5, 0
	v_ldexp_f32 v4, v3, s6
	global_store_dwordx2 v[0:1], v[4:5], off
.LBB30_808:
	s_mov_b64 s[6:7], 0
.LBB30_809:
	s_andn2_b64 vcc, exec, s[6:7]
	s_cbranch_vccnz .LBB30_811
; %bb.810:
	s_xor_b32 s7, s8, s9
	s_flbit_i32 s6, s9
	s_ashr_i32 s7, s7, 31
	s_add_i32 s6, s6, -1
	s_add_i32 s7, s7, 32
	s_min_u32 s12, s6, s7
	s_lshl_b64 s[6:7], s[8:9], s12
	s_min_u32 s6, s6, 1
	s_or_b32 s6, s7, s6
	v_cvt_f32_i32_e32 v3, s6
	s_sub_i32 s6, 32, s12
	v_ldexp_f32 v3, v3, s6
	v_cvt_f16_f32_e32 v3, v3
	global_store_dword v[0:1], v3, off
.LBB30_811:
	s_mov_b64 s[6:7], 0
.LBB30_812:
	s_andn2_b64 vcc, exec, s[6:7]
	s_cbranch_vccnz .LBB30_821
; %bb.813:
	v_mov_b32_e32 v3, 6
	v_cmp_lt_i16_sdwa s[12:13], s33, v3 src0_sel:BYTE_0 src1_sel:DWORD
	s_mov_b64 s[6:7], -1
	s_and_b64 vcc, exec, s[12:13]
	s_cbranch_vccnz .LBB30_819
; %bb.814:
	v_cmp_gt_i16_sdwa s[12:13], s33, v3 src0_sel:BYTE_0 src1_sel:DWORD
	s_and_b64 vcc, exec, s[12:13]
	s_cbranch_vccz .LBB30_816
; %bb.815:
	v_cvt_f64_i32_e32 v[4:5], s9
	v_ldexp_f64 v[4:5], v[4:5], 32
	v_cvt_f64_u32_e32 v[6:7], s8
	v_add_f64 v[4:5], v[4:5], v[6:7]
	global_store_dwordx2 v[0:1], v[4:5], off
	s_mov_b64 s[6:7], 0
.LBB30_816:
	s_andn2_b64 vcc, exec, s[6:7]
	s_cbranch_vccnz .LBB30_818
; %bb.817:
	s_xor_b32 s7, s8, s9
	s_flbit_i32 s6, s9
	s_ashr_i32 s7, s7, 31
	s_add_i32 s6, s6, -1
	s_add_i32 s7, s7, 32
	s_min_u32 s12, s6, s7
	s_lshl_b64 s[6:7], s[8:9], s12
	s_min_u32 s6, s6, 1
	s_or_b32 s6, s7, s6
	v_cvt_f32_i32_e32 v3, s6
	s_sub_i32 s6, 32, s12
	v_ldexp_f32 v3, v3, s6
	global_store_dword v[0:1], v3, off
.LBB30_818:
	s_mov_b64 s[6:7], 0
.LBB30_819:
	s_andn2_b64 vcc, exec, s[6:7]
	s_cbranch_vccnz .LBB30_821
; %bb.820:
	s_xor_b32 s7, s8, s9
	s_flbit_i32 s6, s9
	s_ashr_i32 s7, s7, 31
	s_add_i32 s6, s6, -1
	s_add_i32 s7, s7, 32
	s_min_u32 s12, s6, s7
	s_lshl_b64 s[6:7], s[8:9], s12
	s_min_u32 s6, s6, 1
	s_or_b32 s6, s7, s6
	v_cvt_f32_i32_e32 v3, s6
	s_sub_i32 s6, 32, s12
	v_ldexp_f32 v3, v3, s6
	v_cvt_f16_f32_e32 v3, v3
	global_store_short v[0:1], v3, off
.LBB30_821:
	s_mov_b64 s[6:7], 0
.LBB30_822:
	s_andn2_b64 vcc, exec, s[6:7]
	s_cbranch_vccnz .LBB30_838
; %bb.823:
	v_mov_b32_e32 v3, 2
	v_cmp_lt_i16_sdwa s[12:13], s33, v3 src0_sel:BYTE_0 src1_sel:DWORD
	s_mov_b64 s[6:7], -1
	s_and_b64 vcc, exec, s[12:13]
	s_cbranch_vccnz .LBB30_833
; %bb.824:
	v_mov_b32_e32 v3, 3
	v_cmp_lt_i16_sdwa s[12:13], s33, v3 src0_sel:BYTE_0 src1_sel:DWORD
	s_and_b64 vcc, exec, s[12:13]
	s_cbranch_vccnz .LBB30_830
; %bb.825:
	v_cmp_gt_i16_sdwa s[12:13], s33, v3 src0_sel:BYTE_0 src1_sel:DWORD
	s_and_b64 vcc, exec, s[12:13]
	s_cbranch_vccz .LBB30_827
; %bb.826:
	v_pk_mov_b32 v[4:5], s[8:9], s[8:9] op_sel:[0,1]
	global_store_dwordx2 v[0:1], v[4:5], off
	s_mov_b64 s[6:7], 0
.LBB30_827:
	s_andn2_b64 vcc, exec, s[6:7]
	s_cbranch_vccnz .LBB30_829
; %bb.828:
	v_mov_b32_e32 v3, s8
	global_store_dword v[0:1], v3, off
.LBB30_829:
	s_mov_b64 s[6:7], 0
.LBB30_830:
	s_andn2_b64 vcc, exec, s[6:7]
	s_cbranch_vccnz .LBB30_832
; %bb.831:
	v_mov_b32_e32 v3, s8
	global_store_short v[0:1], v3, off
.LBB30_832:
	s_mov_b64 s[6:7], 0
.LBB30_833:
	s_andn2_b64 vcc, exec, s[6:7]
	s_cbranch_vccnz .LBB30_838
; %bb.834:
	v_mov_b32_e32 v3, 0
	v_cmp_gt_i16_sdwa s[12:13], s33, v3 src0_sel:BYTE_0 src1_sel:DWORD
	s_mov_b64 s[6:7], -1
	s_and_b64 vcc, exec, s[12:13]
	s_cbranch_vccz .LBB30_836
; %bb.835:
	v_mov_b32_e32 v3, s8
	global_store_byte v[0:1], v3, off
	s_mov_b64 s[6:7], 0
.LBB30_836:
	s_andn2_b64 vcc, exec, s[6:7]
	s_cbranch_vccnz .LBB30_838
; %bb.837:
	v_mov_b32_e32 v3, s8
	global_store_byte v[0:1], v3, off
.LBB30_838:
	s_branch .LBB30_681
.LBB30_839:
	s_mov_b64 s[6:7], 0
	s_mov_b64 s[10:11], 0
                                        ; implicit-def: $vgpr2
                                        ; implicit-def: $vgpr0_vgpr1
.LBB30_840:
	s_andn2_b64 s[0:1], s[0:1], exec
	s_and_b64 s[4:5], s[4:5], exec
	s_and_b64 s[12:13], s[6:7], exec
	;; [unrolled: 1-line block ×3, first 2 shown]
	s_or_b64 s[0:1], s[0:1], s[4:5]
	s_or_b64 exec, exec, s[2:3]
	s_and_saveexec_b64 s[2:3], s[0:1]
	s_cbranch_execnz .LBB30_420
.LBB30_841:
	s_or_b64 exec, exec, s[2:3]
	s_and_saveexec_b64 s[0:1], s[6:7]
	s_xor_b64 s[0:1], exec, s[0:1]
	s_cbranch_execz .LBB30_421
.LBB30_842:
	s_cmp_lg_u64 s[8:9], 0
	s_cselect_b64 s[2:3], -1, 0
	v_cndmask_b32_e64 v3, 0, 1, s[2:3]
	global_store_byte v[0:1], v3, off
	s_or_b64 exec, exec, s[0:1]
	s_and_saveexec_b64 s[0:1], s[12:13]
	s_cbranch_execz .LBB30_880
.LBB30_843:
	v_cmp_gt_i16_e32 vcc, 5, v2
	s_mov_b64 s[0:1], -1
	s_cbranch_vccnz .LBB30_864
; %bb.844:
	v_cmp_gt_i16_e32 vcc, 8, v2
	s_cbranch_vccnz .LBB30_854
; %bb.845:
	v_cmp_gt_i16_e32 vcc, 9, v2
	s_cbranch_vccnz .LBB30_851
; %bb.846:
	v_cmp_lt_i16_e32 vcc, 9, v2
	s_cbranch_vccz .LBB30_848
; %bb.847:
	v_cvt_f64_i32_e32 v[4:5], s9
	v_ldexp_f64 v[4:5], v[4:5], 32
	v_cvt_f64_u32_e32 v[6:7], s8
	v_add_f64 v[4:5], v[4:5], v[6:7]
	v_mov_b32_e32 v6, 0
	v_mov_b32_e32 v7, v6
	global_store_dwordx4 v[0:1], v[4:7], off
	s_mov_b64 s[0:1], 0
.LBB30_848:
	s_andn2_b64 vcc, exec, s[0:1]
	s_cbranch_vccnz .LBB30_850
; %bb.849:
	s_xor_b32 s1, s8, s9
	s_flbit_i32 s0, s9
	s_ashr_i32 s1, s1, 31
	s_add_i32 s0, s0, -1
	s_add_i32 s1, s1, 32
	s_min_u32 s2, s0, s1
	s_lshl_b64 s[0:1], s[8:9], s2
	s_min_u32 s0, s0, 1
	s_or_b32 s0, s1, s0
	v_cvt_f32_i32_e32 v3, s0
	s_sub_i32 s0, 32, s2
	v_mov_b32_e32 v5, 0
	v_ldexp_f32 v4, v3, s0
	global_store_dwordx2 v[0:1], v[4:5], off
.LBB30_850:
	s_mov_b64 s[0:1], 0
.LBB30_851:
	s_andn2_b64 vcc, exec, s[0:1]
	s_cbranch_vccnz .LBB30_853
; %bb.852:
	s_xor_b32 s1, s8, s9
	s_flbit_i32 s0, s9
	s_ashr_i32 s1, s1, 31
	s_add_i32 s0, s0, -1
	s_add_i32 s1, s1, 32
	s_min_u32 s2, s0, s1
	s_lshl_b64 s[0:1], s[8:9], s2
	s_min_u32 s0, s0, 1
	s_or_b32 s0, s1, s0
	v_cvt_f32_i32_e32 v3, s0
	s_sub_i32 s0, 32, s2
	v_ldexp_f32 v3, v3, s0
	v_cvt_f16_f32_e32 v3, v3
	global_store_dword v[0:1], v3, off
.LBB30_853:
	s_mov_b64 s[0:1], 0
.LBB30_854:
	s_andn2_b64 vcc, exec, s[0:1]
	s_cbranch_vccnz .LBB30_863
; %bb.855:
	v_cmp_gt_i16_e32 vcc, 6, v2
	s_mov_b64 s[0:1], -1
	s_cbranch_vccnz .LBB30_861
; %bb.856:
	v_cmp_lt_i16_e32 vcc, 6, v2
	s_cbranch_vccz .LBB30_858
; %bb.857:
	v_cvt_f64_i32_e32 v[4:5], s9
	v_ldexp_f64 v[4:5], v[4:5], 32
	v_cvt_f64_u32_e32 v[6:7], s8
	v_add_f64 v[4:5], v[4:5], v[6:7]
	global_store_dwordx2 v[0:1], v[4:5], off
	s_mov_b64 s[0:1], 0
.LBB30_858:
	s_andn2_b64 vcc, exec, s[0:1]
	s_cbranch_vccnz .LBB30_860
; %bb.859:
	s_xor_b32 s1, s8, s9
	s_flbit_i32 s0, s9
	s_ashr_i32 s1, s1, 31
	s_add_i32 s0, s0, -1
	s_add_i32 s1, s1, 32
	s_min_u32 s2, s0, s1
	s_lshl_b64 s[0:1], s[8:9], s2
	s_min_u32 s0, s0, 1
	s_or_b32 s0, s1, s0
	v_cvt_f32_i32_e32 v3, s0
	s_sub_i32 s0, 32, s2
	v_ldexp_f32 v3, v3, s0
	global_store_dword v[0:1], v3, off
.LBB30_860:
	s_mov_b64 s[0:1], 0
.LBB30_861:
	s_andn2_b64 vcc, exec, s[0:1]
	s_cbranch_vccnz .LBB30_863
; %bb.862:
	s_xor_b32 s1, s8, s9
	s_flbit_i32 s0, s9
	s_ashr_i32 s1, s1, 31
	s_add_i32 s0, s0, -1
	s_add_i32 s1, s1, 32
	s_min_u32 s2, s0, s1
	s_lshl_b64 s[0:1], s[8:9], s2
	s_min_u32 s0, s0, 1
	s_or_b32 s0, s1, s0
	v_cvt_f32_i32_e32 v3, s0
	s_sub_i32 s0, 32, s2
	v_ldexp_f32 v3, v3, s0
	v_cvt_f16_f32_e32 v3, v3
	global_store_short v[0:1], v3, off
.LBB30_863:
	s_mov_b64 s[0:1], 0
.LBB30_864:
	s_andn2_b64 vcc, exec, s[0:1]
	s_cbranch_vccnz .LBB30_880
; %bb.865:
	v_cmp_gt_i16_e32 vcc, 2, v2
	s_mov_b64 s[0:1], -1
	s_cbranch_vccnz .LBB30_875
; %bb.866:
	v_cmp_gt_i16_e32 vcc, 3, v2
	s_cbranch_vccnz .LBB30_872
; %bb.867:
	v_cmp_lt_i16_e32 vcc, 3, v2
	s_cbranch_vccz .LBB30_869
; %bb.868:
	v_pk_mov_b32 v[4:5], s[8:9], s[8:9] op_sel:[0,1]
	global_store_dwordx2 v[0:1], v[4:5], off
	s_mov_b64 s[0:1], 0
.LBB30_869:
	s_andn2_b64 vcc, exec, s[0:1]
	s_cbranch_vccnz .LBB30_871
; %bb.870:
	v_mov_b32_e32 v3, s8
	global_store_dword v[0:1], v3, off
.LBB30_871:
	s_mov_b64 s[0:1], 0
.LBB30_872:
	s_andn2_b64 vcc, exec, s[0:1]
	s_cbranch_vccnz .LBB30_874
; %bb.873:
	v_mov_b32_e32 v3, s8
	global_store_short v[0:1], v3, off
.LBB30_874:
	s_mov_b64 s[0:1], 0
.LBB30_875:
	s_andn2_b64 vcc, exec, s[0:1]
	s_cbranch_vccnz .LBB30_880
; %bb.876:
	v_cmp_lt_i16_e32 vcc, 0, v2
	s_mov_b64 s[0:1], -1
	s_cbranch_vccz .LBB30_878
; %bb.877:
	v_mov_b32_e32 v2, s8
	global_store_byte v[0:1], v2, off
	s_mov_b64 s[0:1], 0
.LBB30_878:
	s_andn2_b64 vcc, exec, s[0:1]
	s_cbranch_vccnz .LBB30_880
; %bb.879:
	v_mov_b32_e32 v2, s8
	global_store_byte v[0:1], v2, off
	s_endpgm
.LBB30_880:
	s_endpgm
.LBB30_881:
	s_trap 2
	s_or_b64 s[4:5], s[4:5], exec
	s_cbranch_execz .LBB30_799
	s_branch .LBB30_800
.LBB30_882:
	s_mov_b64 s[12:13], -1
	s_mov_b64 s[10:11], 0
                                        ; implicit-def: $sgpr15
.LBB30_883:
	s_andn2_b64 vcc, exec, s[12:13]
	v_mov_b32_e32 v3, s15
                                        ; implicit-def: $sgpr12
	s_cbranch_vccnz .LBB30_885
; %bb.884:
	v_mov_b32_e32 v3, 0x42800000
	v_add_f32_e64 v3, |s14|, v3
	v_and_b32_e32 v3, 0xff, v3
	s_mov_b32 s12, 0
	v_cmp_ne_u32_e64 s[10:11], 0, v3
.LBB30_885:
	s_andn2_b64 vcc, exec, s[10:11]
	v_mov_b32_e32 v4, s12
	s_cbranch_vccnz .LBB30_887
; %bb.886:
	s_lshr_b32 s10, s14, 24
	s_and_b32 s10, s10, 0x80
	v_or_b32_e32 v4, s10, v3
.LBB30_887:
	s_mov_b64 s[10:11], 0
	global_store_byte v[0:1], v4, off
.LBB30_888:
	s_and_b64 vcc, exec, s[10:11]
	s_cbranch_vccz .LBB30_900
; %bb.889:
	s_xor_b32 s11, s8, s9
	s_flbit_i32 s10, s9
	s_ashr_i32 s11, s11, 31
	s_add_i32 s10, s10, -1
	s_add_i32 s11, s11, 32
	s_min_u32 s12, s10, s11
	s_lshl_b64 s[10:11], s[8:9], s12
	s_min_u32 s10, s10, 1
	s_or_b32 s10, s11, s10
	v_cvt_f32_i32_e32 v3, s10
	s_sub_i32 s10, 32, s12
	v_ldexp_f32 v3, v3, s10
	v_readfirstlane_b32 s12, v3
	s_and_b32 s13, s12, 0x7fffffff
	s_cmp_lt_u32 s13, 0x43f00000
	s_cbranch_scc0 .LBB30_892
; %bb.890:
	s_cmp_gt_u32 s13, 0x3c7fffff
	s_cbranch_scc0 .LBB30_893
; %bb.891:
	s_bfe_u32 s10, s12, 0x10014
	s_add_i32 s10, s12, s10
	s_add_i32 s10, s10, 0x407ffff
	s_lshr_b32 s11, s10, 20
	s_and_b32 s10, s10, 0xff00000
	s_cmp_lg_u32 s10, 0x7f00000
	s_cselect_b32 s14, s11, 0x7e
	s_mov_b64 s[10:11], 0
	s_branch .LBB30_894
.LBB30_892:
	s_mov_b64 s[10:11], -1
                                        ; implicit-def: $vgpr4
	s_branch .LBB30_897
.LBB30_893:
	s_mov_b64 s[10:11], -1
                                        ; implicit-def: $sgpr14
.LBB30_894:
	s_andn2_b64 vcc, exec, s[10:11]
	v_mov_b32_e32 v4, s14
	s_cbranch_vccnz .LBB30_896
; %bb.895:
	s_mov_b32 s10, 0x46800000
	v_add_f32_e64 v4, |v3|, s10
.LBB30_896:
	s_mov_b64 s[10:11], 0
.LBB30_897:
	s_andn2_b64 vcc, exec, s[10:11]
	s_cbranch_vccnz .LBB30_899
; %bb.898:
	s_cmp_gt_u32 s13, 0x7f800000
	s_movk_i32 s10, 0x7f
	s_cselect_b32 s10, s10, 0x7e
	v_mov_b32_e32 v4, s10
.LBB30_899:
	s_lshr_b32 s10, s12, 24
	s_and_b32 s10, s10, 0x80
	v_or_b32_e32 v3, s10, v4
	global_store_byte v[0:1], v3, off
.LBB30_900:
	s_mov_b64 s[10:11], 0
.LBB30_901:
	s_andn2_b64 vcc, exec, s[10:11]
	s_cbranch_vccnz .LBB30_913
; %bb.902:
	s_xor_b32 s11, s8, s9
	s_flbit_i32 s10, s9
	s_ashr_i32 s11, s11, 31
	s_add_i32 s10, s10, -1
	s_add_i32 s11, s11, 32
	s_min_u32 s12, s10, s11
	s_lshl_b64 s[10:11], s[8:9], s12
	s_min_u32 s10, s10, 1
	s_or_b32 s10, s11, s10
	v_cvt_f32_i32_e32 v3, s10
	s_sub_i32 s10, 32, s12
	v_ldexp_f32 v3, v3, s10
	v_readfirstlane_b32 s12, v3
	s_and_b32 s13, s12, 0x7fffffff
	s_cmp_lt_u32 s13, 0x47800000
	s_cbranch_scc0 .LBB30_905
; %bb.903:
	s_cmp_gt_u32 s13, 0x387fffff
	s_cbranch_scc0 .LBB30_906
; %bb.904:
	s_bfe_u32 s10, s12, 0x10015
	s_add_i32 s10, s12, s10
	s_add_i32 s10, s10, 0x80fffff
	s_lshr_b32 s14, s10, 21
	s_mov_b64 s[10:11], 0
	s_branch .LBB30_907
.LBB30_905:
	s_mov_b64 s[10:11], -1
                                        ; implicit-def: $vgpr4
	s_branch .LBB30_910
.LBB30_906:
	s_mov_b64 s[10:11], -1
                                        ; implicit-def: $sgpr14
.LBB30_907:
	s_andn2_b64 vcc, exec, s[10:11]
	v_mov_b32_e32 v4, s14
	s_cbranch_vccnz .LBB30_909
; %bb.908:
	s_mov_b32 s10, 0x43000000
	v_add_f32_e64 v4, |v3|, s10
.LBB30_909:
	s_mov_b64 s[10:11], 0
.LBB30_910:
	s_andn2_b64 vcc, exec, s[10:11]
	s_cbranch_vccnz .LBB30_912
; %bb.911:
	s_cmp_gt_u32 s13, 0x7f800000
	s_movk_i32 s10, 0x7f
	s_cselect_b32 s10, s10, 0x7c
	v_mov_b32_e32 v4, s10
.LBB30_912:
	s_lshr_b32 s10, s12, 24
	s_and_b32 s10, s10, 0x80
	v_or_b32_e32 v3, s10, v4
	global_store_byte v[0:1], v3, off
.LBB30_913:
	s_mov_b64 s[10:11], 0
.LBB30_914:
	s_andn2_b64 vcc, exec, s[10:11]
	s_mov_b64 s[10:11], 0
	s_cbranch_vccnz .LBB30_921
; %bb.915:
	v_cmp_lt_i16_e32 vcc, 14, v2
	s_mov_b64 s[12:13], -1
	s_cbranch_vccz .LBB30_919
; %bb.916:
	v_cmp_eq_u16_e32 vcc, 15, v2
	s_mov_b64 s[6:7], -1
	s_cbranch_vccz .LBB30_918
; %bb.917:
	s_xor_b32 s7, s8, s9
	s_flbit_i32 s6, s9
	s_ashr_i32 s7, s7, 31
	s_add_i32 s6, s6, -1
	s_add_i32 s7, s7, 32
	s_min_u32 s10, s6, s7
	s_lshl_b64 s[6:7], s[8:9], s10
	s_min_u32 s6, s6, 1
	s_or_b32 s6, s7, s6
	v_cvt_f32_i32_e32 v3, s6
	s_sub_i32 s6, 32, s10
	v_ldexp_f32 v3, v3, s6
	v_bfe_u32 v4, v3, 16, 1
	v_add_u32_e32 v3, v3, v4
	v_add_u32_e32 v3, 0x7fff, v3
	global_store_short_d16_hi v[0:1], v3, off
	s_mov_b64 s[6:7], 0
.LBB30_918:
	s_mov_b64 s[12:13], 0
.LBB30_919:
	s_mov_b64 s[10:11], 0
	s_and_b64 vcc, exec, s[12:13]
	s_cbranch_vccz .LBB30_921
; %bb.920:
	v_cmp_ne_u16_e64 s[6:7], 11, v2
	s_mov_b64 s[10:11], -1
.LBB30_921:
	s_and_b64 vcc, exec, s[6:7]
	s_cbranch_vccnz .LBB30_923
.LBB30_922:
	s_mov_b64 s[6:7], 0
	s_branch .LBB30_840
.LBB30_923:
	s_mov_b64 s[10:11], 0
	s_or_b64 s[4:5], s[4:5], exec
	s_trap 2
	s_branch .LBB30_922
	.section	.rodata,"a",@progbits
	.p2align	6, 0x0
	.amdhsa_kernel _ZN2at6native32elementwise_kernel_manual_unrollILi128ELi4EZNS0_15gpu_kernel_implINS0_11FillFunctorIlEEEEvRNS_18TensorIteratorBaseERKT_EUlibE_EEviT1_
		.amdhsa_group_segment_fixed_size 0
		.amdhsa_private_segment_fixed_size 0
		.amdhsa_kernarg_size 40
		.amdhsa_user_sgpr_count 6
		.amdhsa_user_sgpr_private_segment_buffer 1
		.amdhsa_user_sgpr_dispatch_ptr 0
		.amdhsa_user_sgpr_queue_ptr 0
		.amdhsa_user_sgpr_kernarg_segment_ptr 1
		.amdhsa_user_sgpr_dispatch_id 0
		.amdhsa_user_sgpr_flat_scratch_init 0
		.amdhsa_user_sgpr_kernarg_preload_length 0
		.amdhsa_user_sgpr_kernarg_preload_offset 0
		.amdhsa_user_sgpr_private_segment_size 0
		.amdhsa_uses_dynamic_stack 0
		.amdhsa_system_sgpr_private_segment_wavefront_offset 0
		.amdhsa_system_sgpr_workgroup_id_x 1
		.amdhsa_system_sgpr_workgroup_id_y 0
		.amdhsa_system_sgpr_workgroup_id_z 0
		.amdhsa_system_sgpr_workgroup_info 0
		.amdhsa_system_vgpr_workitem_id 0
		.amdhsa_next_free_vgpr 17
		.amdhsa_next_free_sgpr 61
		.amdhsa_accum_offset 20
		.amdhsa_reserve_vcc 1
		.amdhsa_reserve_flat_scratch 0
		.amdhsa_float_round_mode_32 0
		.amdhsa_float_round_mode_16_64 0
		.amdhsa_float_denorm_mode_32 3
		.amdhsa_float_denorm_mode_16_64 3
		.amdhsa_dx10_clamp 1
		.amdhsa_ieee_mode 1
		.amdhsa_fp16_overflow 0
		.amdhsa_tg_split 0
		.amdhsa_exception_fp_ieee_invalid_op 0
		.amdhsa_exception_fp_denorm_src 0
		.amdhsa_exception_fp_ieee_div_zero 0
		.amdhsa_exception_fp_ieee_overflow 0
		.amdhsa_exception_fp_ieee_underflow 0
		.amdhsa_exception_fp_ieee_inexact 0
		.amdhsa_exception_int_div_zero 0
	.end_amdhsa_kernel
	.section	.text._ZN2at6native32elementwise_kernel_manual_unrollILi128ELi4EZNS0_15gpu_kernel_implINS0_11FillFunctorIlEEEEvRNS_18TensorIteratorBaseERKT_EUlibE_EEviT1_,"axG",@progbits,_ZN2at6native32elementwise_kernel_manual_unrollILi128ELi4EZNS0_15gpu_kernel_implINS0_11FillFunctorIlEEEEvRNS_18TensorIteratorBaseERKT_EUlibE_EEviT1_,comdat
.Lfunc_end30:
	.size	_ZN2at6native32elementwise_kernel_manual_unrollILi128ELi4EZNS0_15gpu_kernel_implINS0_11FillFunctorIlEEEEvRNS_18TensorIteratorBaseERKT_EUlibE_EEviT1_, .Lfunc_end30-_ZN2at6native32elementwise_kernel_manual_unrollILi128ELi4EZNS0_15gpu_kernel_implINS0_11FillFunctorIlEEEEvRNS_18TensorIteratorBaseERKT_EUlibE_EEviT1_
                                        ; -- End function
	.section	.AMDGPU.csdata,"",@progbits
; Kernel info:
; codeLenInByte = 16260
; NumSgprs: 65
; NumVgprs: 17
; NumAgprs: 0
; TotalNumVgprs: 17
; ScratchSize: 0
; MemoryBound: 0
; FloatMode: 240
; IeeeMode: 1
; LDSByteSize: 0 bytes/workgroup (compile time only)
; SGPRBlocks: 8
; VGPRBlocks: 2
; NumSGPRsForWavesPerEU: 65
; NumVGPRsForWavesPerEU: 17
; AccumOffset: 20
; Occupancy: 8
; WaveLimiterHint : 0
; COMPUTE_PGM_RSRC2:SCRATCH_EN: 0
; COMPUTE_PGM_RSRC2:USER_SGPR: 6
; COMPUTE_PGM_RSRC2:TRAP_HANDLER: 0
; COMPUTE_PGM_RSRC2:TGID_X_EN: 1
; COMPUTE_PGM_RSRC2:TGID_Y_EN: 0
; COMPUTE_PGM_RSRC2:TGID_Z_EN: 0
; COMPUTE_PGM_RSRC2:TIDIG_COMP_CNT: 0
; COMPUTE_PGM_RSRC3_GFX90A:ACCUM_OFFSET: 4
; COMPUTE_PGM_RSRC3_GFX90A:TG_SPLIT: 0
	.section	.text._ZN2at6native32elementwise_kernel_manual_unrollILi128ELi4EZNS0_15gpu_kernel_implINS0_11FillFunctorIlEEEEvRNS_18TensorIteratorBaseERKT_EUlibE0_EEviT1_,"axG",@progbits,_ZN2at6native32elementwise_kernel_manual_unrollILi128ELi4EZNS0_15gpu_kernel_implINS0_11FillFunctorIlEEEEvRNS_18TensorIteratorBaseERKT_EUlibE0_EEviT1_,comdat
	.protected	_ZN2at6native32elementwise_kernel_manual_unrollILi128ELi4EZNS0_15gpu_kernel_implINS0_11FillFunctorIlEEEEvRNS_18TensorIteratorBaseERKT_EUlibE0_EEviT1_ ; -- Begin function _ZN2at6native32elementwise_kernel_manual_unrollILi128ELi4EZNS0_15gpu_kernel_implINS0_11FillFunctorIlEEEEvRNS_18TensorIteratorBaseERKT_EUlibE0_EEviT1_
	.globl	_ZN2at6native32elementwise_kernel_manual_unrollILi128ELi4EZNS0_15gpu_kernel_implINS0_11FillFunctorIlEEEEvRNS_18TensorIteratorBaseERKT_EUlibE0_EEviT1_
	.p2align	8
	.type	_ZN2at6native32elementwise_kernel_manual_unrollILi128ELi4EZNS0_15gpu_kernel_implINS0_11FillFunctorIlEEEEvRNS_18TensorIteratorBaseERKT_EUlibE0_EEviT1_,@function
_ZN2at6native32elementwise_kernel_manual_unrollILi128ELi4EZNS0_15gpu_kernel_implINS0_11FillFunctorIlEEEEvRNS_18TensorIteratorBaseERKT_EUlibE0_EEviT1_: ; @_ZN2at6native32elementwise_kernel_manual_unrollILi128ELi4EZNS0_15gpu_kernel_implINS0_11FillFunctorIlEEEEvRNS_18TensorIteratorBaseERKT_EUlibE0_EEviT1_
; %bb.0:
	s_load_dword s90, s[4:5], 0x0
	s_load_dword s33, s[4:5], 0x8
	s_or_b32 s4, s4, 8
	v_lshl_or_b32 v9, s6, 9, v0
	v_or_b32_e32 v8, 0x180, v9
	s_waitcnt lgkmcnt(0)
	v_cmp_le_i32_e32 vcc, s90, v8
	s_add_i32 s80, s33, -1
	s_cmp_gt_u32 s80, 1
	s_cselect_b64 s[36:37], -1, 0
	s_mov_b64 s[34:35], 0
	s_mov_b64 s[6:7], 0
	s_and_saveexec_b64 s[0:1], vcc
	s_xor_b64 s[38:39], exec, s[0:1]
	s_cbranch_execz .LBB31_462
; %bb.1:
	s_load_dwordx2 s[56:57], s[4:5], 0xc4
	s_load_dwordx4 s[16:19], s[4:5], 0x108
	s_cmp_lg_u32 s33, 0
	s_cselect_b64 s[64:65], -1, 0
	s_add_u32 s62, s4, 0xc4
	s_addc_u32 s63, s5, 0
	s_min_u32 s91, s80, 15
	s_cmp_gt_u32 s33, 1
	s_cselect_b64 s[58:59], -1, 0
	s_waitcnt lgkmcnt(0)
	s_xor_b32 s1, s18, s19
	s_flbit_i32 s0, s19
	s_ashr_i32 s1, s1, 31
	s_add_i32 s0, s0, -1
	s_add_i32 s1, s1, 32
	s_min_u32 s2, s0, s1
	s_lshl_b64 s[0:1], s[18:19], s2
	s_min_u32 s0, s0, 1
	s_or_b32 s0, s1, s0
	v_cvt_f32_i32_e32 v0, s0
	s_sub_i32 s0, 32, s2
	s_load_dwordx4 s[20:23], s[4:5], 0x4
	s_load_dwordx2 s[60:61], s[4:5], 0x14
	s_load_dword s89, s[4:5], 0x118
	s_mov_b64 s[72:73], 0
	v_ldexp_f32 v4, v0, s0
	v_and_b32_e32 v2, 0x400000, v4
	v_bfe_u32 v1, v4, 23, 8
	s_movk_i32 s0, 0xff
	v_cmp_ne_u32_e32 vcc, 0, v2
	v_and_b32_e32 v2, 0x3fffff, v4
	v_cmp_eq_u32_e64 s[6:7], s0, v1
	v_or_b32_e32 v1, v1, v2
	v_cmp_ne_u32_e64 s[0:1], 0, v1
	v_readfirstlane_b32 s8, v4
	s_and_b64 s[0:1], vcc, s[0:1]
	s_and_b32 s9, s8, 0x7fffffff
	s_cmp_lt_u32 s9, 0x43800000
	s_cselect_b64 s[52:53], -1, 0
	s_cmp_gt_u32 s9, 0x3bffffff
	v_cndmask_b32_e64 v1, 0, 1, s[0:1]
	s_cselect_b64 s[2:3], -1, 0
	s_bfe_u32 s0, s8, 0x10014
	s_add_i32 s10, s8, s0
	s_add_i32 s0, s10, 0x487ffff
	s_lshr_b32 s88, s0, 20
	s_mov_b32 s0, 0x46000000
	v_add_f32_e64 v14, |v4|, s0
	v_readfirstlane_b32 s0, v14
	s_and_b32 s0, s0, 0xff
	s_cmp_lg_u32 s0, 0
	s_cselect_b64 s[54:55], -1, 0
	s_cmp_gt_u32 s9, 0x477fffff
	s_cselect_b64 s[40:41], -1, 0
	s_cmp_lt_u32 s9, 0x47800000
	s_movk_i32 s0, 0x80
	s_cselect_b64 s[48:49], -1, 0
	s_cmp_gt_u32 s9, 0x37ffffff
	v_and_b32_sdwa v11, v4, s0 dst_sel:DWORD dst_unused:UNUSED_PAD src0_sel:BYTE_3 src1_sel:DWORD
	s_cselect_b64 s[0:1], -1, 0
	s_bfe_u32 s11, s8, 0x10015
	s_add_i32 s8, s8, s11
	s_add_i32 s11, s8, 0x88fffff
	s_lshr_b32 s86, s11, 21
	s_mov_b32 s11, 0x42800000
	v_add_f32_e64 v13, |v4|, s11
	v_readfirstlane_b32 s11, v13
	s_and_b32 s11, s11, 0xff
	s_cmp_lg_u32 s11, 0
	s_cselect_b64 s[50:51], -1, 0
	s_cmp_gt_u32 s9, 0x43efffff
	s_cselect_b64 s[44:45], -1, 0
	s_cmp_lt_u32 s9, 0x3c800000
	s_cselect_b64 s[46:47], -1, 0
	s_add_i32 s10, s10, 0x407ffff
	s_lshr_b32 s11, s10, 20
	s_and_b32 s10, s10, 0xff00000
	s_cmp_lg_u32 s10, 0x7f00000
	s_cselect_b32 s84, s11, 0x7e
	s_cmp_lt_u32 s9, 0x38800000
	s_cselect_b64 s[42:43], -1, 0
	s_add_i32 s8, s8, 0x80fffff
	s_lshr_b32 s81, s8, 21
	v_lshrrev_b32_e32 v0, 23, v4
	s_mov_b32 s10, 0x46800000
	s_cmp_gt_u32 s9, 0x7f800000
	s_movk_i32 s8, 0x7f
	v_add_u32_e32 v15, v0, v1
	v_add_f32_e64 v0, |v4|, s10
	s_cselect_b32 s87, s8, 0x7e
	s_mov_b32 s8, 0x43000000
	v_readfirstlane_b32 s85, v0
	v_add_f32_e64 v0, |v4|, s8
	v_readfirstlane_b32 s82, v0
	v_bfe_u32 v0, v4, 16, 1
	v_add_u32_e32 v0, v4, v0
	s_movk_i32 s8, 0x7c
	v_add_u32_e32 v0, 0x7fff, v0
	v_cvt_f16_f32_e32 v8, v4
	s_cselect_b32 s83, 0x7f, s8
	v_lshrrev_b32_e32 v12, 16, v0
	s_cmp_lg_u64 s[18:19], 0
	v_cvt_f64_i32_e32 v[0:1], s19
	s_cselect_b64 s[8:9], -1, 0
	v_ldexp_f64 v[0:1], v[0:1], 32
	v_cvt_f64_u32_e32 v[2:3], s18
	v_cndmask_b32_e64 v10, 0, 1, s[8:9]
	v_add_f64 v[0:1], v[0:1], v[2:3]
	v_cmp_gt_i32_e32 vcc, s90, v9
	s_mov_b64 s[10:11], -1
	s_mov_b64 s[66:67], 0
	s_and_saveexec_b64 s[68:69], vcc
	s_cbranch_execz .LBB31_114
; %bb.2:
	s_andn2_b64 vcc, exec, s[36:37]
	s_cbranch_vccnz .LBB31_7
; %bb.3:
	s_andn2_b64 vcc, exec, s[64:65]
	s_cbranch_vccnz .LBB31_8
; %bb.4:
	s_add_i32 s75, s91, 1
	s_mov_b32 s74, 0
	s_cmp_eq_u32 s80, 2
	v_mov_b32_e32 v2, 0
	s_cbranch_scc1 .LBB31_9
; %bb.5:
	s_and_b32 s74, s75, 28
	s_mov_b32 s76, 0
	v_mov_b32_e32 v2, 0
	s_mov_b64 s[66:67], s[4:5]
	s_mov_b64 s[70:71], s[62:63]
	v_mov_b32_e32 v5, v9
.LBB31_6:                               ; =>This Inner Loop Header: Depth=1
	s_load_dwordx8 s[8:15], s[66:67], 0x4
	s_load_dwordx4 s[24:27], s[66:67], 0x24
	s_load_dwordx4 s[28:31], s[70:71], 0x0
	s_add_u32 s66, s66, 48
	s_addc_u32 s67, s67, 0
	s_waitcnt lgkmcnt(0)
	v_mul_hi_u32 v3, s9, v5
	v_add_u32_e32 v3, v5, v3
	v_lshrrev_b32_e32 v3, s10, v3
	v_mul_lo_u32 v6, v3, s8
	v_mul_hi_u32 v7, s12, v3
	v_sub_u32_e32 v5, v5, v6
	v_add_u32_e32 v6, v3, v7
	v_lshrrev_b32_e32 v6, s13, v6
	v_mul_lo_u32 v7, v6, s11
	v_mul_hi_u32 v16, s15, v6
	v_sub_u32_e32 v3, v3, v7
	v_add_u32_e32 v7, v6, v16
	v_mul_lo_u32 v5, v5, s28
	v_mul_lo_u32 v3, v3, s29
	v_lshrrev_b32_e32 v7, s24, v7
	v_add3_u32 v2, v5, v2, v3
	v_mul_hi_u32 v5, s26, v7
	v_add_u32_e32 v5, v7, v5
	v_mul_lo_u32 v3, v7, s14
	v_lshrrev_b32_e32 v5, s27, v5
	s_add_i32 s76, s76, 4
	v_sub_u32_e32 v3, v6, v3
	v_mul_lo_u32 v6, v5, s25
	s_add_u32 s70, s70, 16
	v_sub_u32_e32 v6, v7, v6
	s_addc_u32 s71, s71, 0
	v_mul_lo_u32 v3, v3, s30
	v_mul_lo_u32 v6, v6, s31
	s_cmp_lg_u32 s74, s76
	v_add3_u32 v2, v3, v2, v6
	s_cbranch_scc1 .LBB31_6
	s_branch .LBB31_10
.LBB31_7:
                                        ; implicit-def: $vgpr2
	s_branch .LBB31_14
.LBB31_8:
	v_mov_b32_e32 v2, 0
	s_branch .LBB31_13
.LBB31_9:
	v_mov_b32_e32 v5, v9
.LBB31_10:
	s_and_b32 s12, s75, 3
	s_cmp_eq_u32 s12, 0
	s_cbranch_scc1 .LBB31_13
; %bb.11:
	s_lshl_b32 s8, s74, 2
	s_add_u32 s8, s8, s4
	s_addc_u32 s9, s5, 0
	s_add_u32 s8, s8, 0xc4
	s_addc_u32 s9, s9, 0
	s_mul_i32 s10, s74, 12
	s_add_u32 s10, s4, s10
	s_addc_u32 s11, s5, 0
.LBB31_12:                              ; =>This Inner Loop Header: Depth=1
	s_load_dwordx2 s[14:15], s[10:11], 0x4
	s_load_dword s13, s[10:11], 0xc
	s_load_dword s24, s[8:9], 0x0
	s_add_u32 s10, s10, 12
	s_addc_u32 s11, s11, 0
	s_waitcnt lgkmcnt(0)
	v_mul_hi_u32 v3, s15, v5
	v_add_u32_e32 v3, v5, v3
	v_lshrrev_b32_e32 v3, s13, v3
	s_add_u32 s8, s8, 4
	v_mul_lo_u32 v6, v3, s14
	s_addc_u32 s9, s9, 0
	s_add_i32 s12, s12, -1
	v_sub_u32_e32 v6, v5, v6
	s_cmp_lg_u32 s12, 0
	v_mov_b32_e32 v5, v3
	v_mad_u64_u32 v[2:3], s[14:15], v6, s24, v[2:3]
	s_cbranch_scc1 .LBB31_12
.LBB31_13:
	s_cbranch_execnz .LBB31_16
.LBB31_14:
	s_waitcnt lgkmcnt(0)
	v_mul_hi_u32 v2, s21, v9
	v_add_u32_e32 v2, v9, v2
	v_lshrrev_b32_e32 v3, s22, v2
	v_mul_lo_u32 v2, v3, s20
	v_sub_u32_e32 v2, v9, v2
	s_andn2_b64 vcc, exec, s[58:59]
	v_mul_lo_u32 v2, v2, s56
	s_cbranch_vccnz .LBB31_16
; %bb.15:
	v_mul_hi_u32 v5, s60, v3
	v_add_u32_e32 v5, v3, v5
	v_lshrrev_b32_e32 v5, s61, v5
	v_mul_lo_u32 v5, v5, s23
	v_sub_u32_e32 v3, v3, v5
	v_mad_u64_u32 v[2:3], s[8:9], v3, s57, v[2:3]
.LBB31_16:
	v_mov_b32_e32 v3, s17
	v_add_co_u32_e32 v6, vcc, s16, v2
	v_mov_b32_e32 v2, 11
	v_addc_co_u32_e32 v7, vcc, 0, v3, vcc
	s_waitcnt lgkmcnt(0)
	v_cmp_lt_i16_sdwa s[8:9], s89, v2 src0_sel:BYTE_0 src1_sel:DWORD
	s_and_b64 vcc, exec, s[8:9]
	s_cbranch_vccnz .LBB31_23
; %bb.17:
	v_mov_b32_e32 v2, 25
	v_cmp_gt_i16_sdwa s[8:9], s89, v2 src0_sel:BYTE_0 src1_sel:DWORD
	s_and_b64 vcc, exec, s[8:9]
	s_cbranch_vccz .LBB31_26
; %bb.18:
	v_mov_b32_e32 v2, 28
	v_cmp_gt_i16_sdwa s[8:9], s89, v2 src0_sel:BYTE_0 src1_sel:DWORD
	s_and_b64 vcc, exec, s[8:9]
	s_cbranch_vccz .LBB31_27
	;; [unrolled: 5-line block ×4, first 2 shown]
; %bb.21:
	v_mov_b32_e32 v2, 46
	v_cmp_eq_u16_sdwa s[10:11], s89, v2 src0_sel:BYTE_0 src1_sel:DWORD
	s_mov_b64 s[12:13], 0
	s_mov_b64 s[8:9], -1
	s_and_b64 vcc, exec, s[10:11]
	s_mov_b64 s[10:11], 0
	s_cbranch_vccz .LBB31_30
; %bb.22:
	global_store_dword v[6:7], v12, off
	s_mov_b64 s[10:11], -1
	s_mov_b64 s[8:9], 0
	s_branch .LBB31_30
.LBB31_23:
	s_mov_b64 s[8:9], 0
	s_mov_b64 s[10:11], 0
	s_cbranch_execnz .LBB31_74
.LBB31_24:
	s_andn2_b64 vcc, exec, s[10:11]
	s_cbranch_vccnz .LBB31_112
.LBB31_25:
	v_add_u32_e32 v9, 0x80, v9
	s_mov_b64 s[10:11], -1
	s_branch .LBB31_113
.LBB31_26:
	s_mov_b64 s[8:9], 0
	s_mov_b64 s[10:11], 0
	s_cbranch_execnz .LBB31_52
	s_branch .LBB31_73
.LBB31_27:
	s_mov_b64 s[12:13], -1
	s_mov_b64 s[8:9], 0
	s_mov_b64 s[10:11], 0
	s_branch .LBB31_38
.LBB31_28:
	s_mov_b64 s[12:13], -1
	s_mov_b64 s[8:9], 0
	s_mov_b64 s[10:11], 0
	s_branch .LBB31_34
.LBB31_29:
	s_mov_b64 s[12:13], -1
	s_mov_b64 s[8:9], 0
	s_mov_b64 s[10:11], 0
.LBB31_30:
	s_and_b64 vcc, exec, s[12:13]
	s_cbranch_vccz .LBB31_33
; %bb.31:
	v_mov_b32_e32 v2, 44
	v_cmp_eq_u16_sdwa s[12:13], s89, v2 src0_sel:BYTE_0 src1_sel:DWORD
	s_mov_b64 s[8:9], -1
	s_and_b64 vcc, exec, s[12:13]
	s_cbranch_vccz .LBB31_33
; %bb.32:
	v_mov_b32_e32 v2, 0xff
	v_cndmask_b32_e64 v2, v15, v2, s[6:7]
	global_store_byte v[6:7], v2, off
	s_mov_b64 s[10:11], -1
	s_mov_b64 s[8:9], 0
.LBB31_33:
	s_mov_b64 s[12:13], 0
.LBB31_34:
	s_and_b64 vcc, exec, s[12:13]
	s_cbranch_vccz .LBB31_37
; %bb.35:
	v_mov_b32_e32 v2, 29
	v_cmp_eq_u16_sdwa s[12:13], s89, v2 src0_sel:BYTE_0 src1_sel:DWORD
	s_mov_b64 s[8:9], -1
	s_and_b64 vcc, exec, s[12:13]
	s_cbranch_vccz .LBB31_37
; %bb.36:
	v_pk_mov_b32 v[2:3], s[18:19], s[18:19] op_sel:[0,1]
	global_store_dwordx2 v[6:7], v[2:3], off
	s_mov_b64 s[10:11], -1
	s_mov_b64 s[8:9], 0
.LBB31_37:
	s_mov_b64 s[12:13], 0
.LBB31_38:
	s_and_b64 vcc, exec, s[12:13]
	s_cbranch_vccz .LBB31_51
; %bb.39:
	v_mov_b32_e32 v2, 27
	v_cmp_lt_i16_sdwa s[12:13], s89, v2 src0_sel:BYTE_0 src1_sel:DWORD
	s_mov_b64 s[10:11], -1
	s_and_b64 vcc, exec, s[12:13]
	s_cbranch_vccnz .LBB31_45
; %bb.40:
	v_cmp_gt_i16_sdwa s[12:13], s89, v2 src0_sel:BYTE_0 src1_sel:DWORD
	s_and_b64 vcc, exec, s[12:13]
	s_cbranch_vccz .LBB31_42
; %bb.41:
	v_mov_b32_e32 v2, s18
	s_mov_b64 s[10:11], 0
	global_store_dword v[6:7], v2, off
.LBB31_42:
	s_andn2_b64 vcc, exec, s[10:11]
	s_cbranch_vccnz .LBB31_44
; %bb.43:
	v_mov_b32_e32 v2, s18
	global_store_short v[6:7], v2, off
.LBB31_44:
	s_mov_b64 s[10:11], 0
.LBB31_45:
	s_andn2_b64 vcc, exec, s[10:11]
	s_cbranch_vccnz .LBB31_50
; %bb.46:
	s_andn2_b64 vcc, exec, s[52:53]
	v_mov_b32_e32 v2, 0x80
	s_cbranch_vccnz .LBB31_49
; %bb.47:
	s_or_b64 s[10:11], s[2:3], s[54:55]
	s_andn2_b64 vcc, exec, s[10:11]
	v_mov_b32_e32 v2, 0
	s_cbranch_vccnz .LBB31_49
; %bb.48:
	v_mov_b32_e32 v2, s88
	v_cndmask_b32_e64 v2, v14, v2, s[2:3]
	v_or_b32_e32 v2, v2, v11
.LBB31_49:
	global_store_byte v[6:7], v2, off
.LBB31_50:
	s_mov_b64 s[10:11], -1
.LBB31_51:
	s_branch .LBB31_73
.LBB31_52:
	v_mov_b32_e32 v2, 22
	v_cmp_gt_i16_sdwa s[14:15], s89, v2 src0_sel:BYTE_0 src1_sel:DWORD
	s_mov_b64 s[12:13], -1
	s_and_b64 vcc, exec, s[14:15]
	s_cbranch_vccz .LBB31_65
; %bb.53:
	v_mov_b32_e32 v2, 24
	v_cmp_lt_i16_sdwa s[12:13], s89, v2 src0_sel:BYTE_0 src1_sel:DWORD
	s_mov_b64 s[10:11], -1
	s_and_b64 vcc, exec, s[12:13]
	s_cbranch_vccnz .LBB31_62
; %bb.54:
	v_cmp_gt_i16_sdwa s[12:13], s89, v2 src0_sel:BYTE_0 src1_sel:DWORD
	s_and_b64 vcc, exec, s[12:13]
	s_cbranch_vccz .LBB31_59
; %bb.55:
	s_andn2_b64 vcc, exec, s[48:49]
	v_mov_b32_e32 v2, 0x80
	s_cbranch_vccnz .LBB31_58
; %bb.56:
	s_or_b64 s[10:11], s[0:1], s[50:51]
	s_andn2_b64 vcc, exec, s[10:11]
	v_mov_b32_e32 v2, 0
	s_cbranch_vccnz .LBB31_58
; %bb.57:
	v_mov_b32_e32 v2, s86
	v_cndmask_b32_e64 v2, v13, v2, s[0:1]
	v_or_b32_e32 v2, v2, v11
.LBB31_58:
	s_mov_b64 s[10:11], 0
	global_store_byte v[6:7], v2, off
.LBB31_59:
	s_and_b64 vcc, exec, s[10:11]
	s_cbranch_vccz .LBB31_61
; %bb.60:
	s_and_b64 s[10:11], s[46:47], exec
	s_cselect_b32 s12, s85, s84
	s_and_b64 s[10:11], s[44:45], exec
	s_cselect_b32 s10, s87, s12
	v_or_b32_e32 v2, s10, v11
	global_store_byte v[6:7], v2, off
.LBB31_61:
	s_mov_b64 s[10:11], 0
.LBB31_62:
	s_andn2_b64 vcc, exec, s[10:11]
	s_cbranch_vccnz .LBB31_64
; %bb.63:
	s_and_b64 s[10:11], s[42:43], exec
	s_cselect_b32 s12, s82, s81
	s_and_b64 s[10:11], s[40:41], exec
	s_cselect_b32 s10, s83, s12
	v_or_b32_e32 v2, s10, v11
	global_store_byte v[6:7], v2, off
.LBB31_64:
	s_mov_b64 s[12:13], 0
	s_mov_b64 s[10:11], -1
.LBB31_65:
	s_andn2_b64 vcc, exec, s[12:13]
	s_cbranch_vccnz .LBB31_73
; %bb.66:
	v_mov_b32_e32 v2, 14
	v_cmp_gt_i16_sdwa s[14:15], s89, v2 src0_sel:BYTE_0 src1_sel:DWORD
	s_mov_b64 s[12:13], -1
	s_and_b64 vcc, exec, s[14:15]
	s_cbranch_vccz .LBB31_70
; %bb.67:
	v_mov_b32_e32 v2, 15
	v_cmp_eq_u16_sdwa s[12:13], s89, v2 src0_sel:BYTE_0 src1_sel:DWORD
	s_mov_b64 s[8:9], -1
	s_and_b64 vcc, exec, s[12:13]
	s_cbranch_vccz .LBB31_69
; %bb.68:
	global_store_short v[6:7], v12, off
	s_mov_b64 s[10:11], -1
	s_mov_b64 s[8:9], 0
.LBB31_69:
	s_mov_b64 s[12:13], 0
.LBB31_70:
	s_and_b64 vcc, exec, s[12:13]
	s_cbranch_vccz .LBB31_73
; %bb.71:
	v_mov_b32_e32 v2, 11
	v_cmp_eq_u16_sdwa s[12:13], s89, v2 src0_sel:BYTE_0 src1_sel:DWORD
	s_mov_b64 s[8:9], -1
	s_and_b64 vcc, exec, s[12:13]
	s_cbranch_vccz .LBB31_73
; %bb.72:
	s_mov_b64 s[10:11], -1
	s_mov_b64 s[8:9], 0
	global_store_byte v[6:7], v10, off
.LBB31_73:
	s_branch .LBB31_24
.LBB31_74:
	v_mov_b32_e32 v2, 5
	v_cmp_lt_i16_sdwa s[12:13], s89, v2 src0_sel:BYTE_0 src1_sel:DWORD
	s_mov_b64 s[10:11], -1
	s_and_b64 vcc, exec, s[12:13]
	s_cbranch_vccnz .LBB31_95
; %bb.75:
	v_mov_b32_e32 v2, 8
	v_cmp_lt_i16_sdwa s[12:13], s89, v2 src0_sel:BYTE_0 src1_sel:DWORD
	s_and_b64 vcc, exec, s[12:13]
	s_cbranch_vccnz .LBB31_85
; %bb.76:
	v_mov_b32_e32 v2, 9
	v_cmp_lt_i16_sdwa s[12:13], s89, v2 src0_sel:BYTE_0 src1_sel:DWORD
	s_and_b64 vcc, exec, s[12:13]
	s_cbranch_vccnz .LBB31_82
; %bb.77:
	v_cmp_gt_i16_sdwa s[12:13], s89, v2 src0_sel:BYTE_0 src1_sel:DWORD
	s_and_b64 vcc, exec, s[12:13]
	s_cbranch_vccz .LBB31_79
; %bb.78:
	v_mov_b32_e32 v2, 0
	v_mov_b32_e32 v3, v2
	global_store_dwordx4 v[6:7], v[0:3], off
	s_mov_b64 s[10:11], 0
.LBB31_79:
	s_andn2_b64 vcc, exec, s[10:11]
	s_cbranch_vccnz .LBB31_81
; %bb.80:
	v_mov_b32_e32 v5, 0
	global_store_dwordx2 v[6:7], v[4:5], off
.LBB31_81:
	s_mov_b64 s[10:11], 0
.LBB31_82:
	s_andn2_b64 vcc, exec, s[10:11]
	s_cbranch_vccnz .LBB31_84
; %bb.83:
	global_store_dword v[6:7], v8, off
.LBB31_84:
	s_mov_b64 s[10:11], 0
.LBB31_85:
	s_andn2_b64 vcc, exec, s[10:11]
	s_cbranch_vccnz .LBB31_94
; %bb.86:
	v_mov_b32_e32 v2, 6
	v_cmp_lt_i16_sdwa s[12:13], s89, v2 src0_sel:BYTE_0 src1_sel:DWORD
	s_mov_b64 s[10:11], -1
	s_and_b64 vcc, exec, s[12:13]
	s_cbranch_vccnz .LBB31_92
; %bb.87:
	v_cmp_gt_i16_sdwa s[12:13], s89, v2 src0_sel:BYTE_0 src1_sel:DWORD
	s_and_b64 vcc, exec, s[12:13]
	s_cbranch_vccz .LBB31_89
; %bb.88:
	global_store_dwordx2 v[6:7], v[0:1], off
	s_mov_b64 s[10:11], 0
.LBB31_89:
	s_andn2_b64 vcc, exec, s[10:11]
	s_cbranch_vccnz .LBB31_91
; %bb.90:
	global_store_dword v[6:7], v4, off
.LBB31_91:
	s_mov_b64 s[10:11], 0
.LBB31_92:
	s_andn2_b64 vcc, exec, s[10:11]
	s_cbranch_vccnz .LBB31_94
; %bb.93:
	global_store_short v[6:7], v8, off
.LBB31_94:
	s_mov_b64 s[10:11], 0
.LBB31_95:
	s_andn2_b64 vcc, exec, s[10:11]
	s_cbranch_vccnz .LBB31_111
; %bb.96:
	v_mov_b32_e32 v2, 2
	v_cmp_lt_i16_sdwa s[12:13], s89, v2 src0_sel:BYTE_0 src1_sel:DWORD
	s_mov_b64 s[10:11], -1
	s_and_b64 vcc, exec, s[12:13]
	s_cbranch_vccnz .LBB31_106
; %bb.97:
	v_mov_b32_e32 v2, 3
	v_cmp_lt_i16_sdwa s[12:13], s89, v2 src0_sel:BYTE_0 src1_sel:DWORD
	s_and_b64 vcc, exec, s[12:13]
	s_cbranch_vccnz .LBB31_103
; %bb.98:
	v_cmp_gt_i16_sdwa s[12:13], s89, v2 src0_sel:BYTE_0 src1_sel:DWORD
	s_and_b64 vcc, exec, s[12:13]
	s_cbranch_vccz .LBB31_100
; %bb.99:
	v_pk_mov_b32 v[2:3], s[18:19], s[18:19] op_sel:[0,1]
	global_store_dwordx2 v[6:7], v[2:3], off
	s_mov_b64 s[10:11], 0
.LBB31_100:
	s_andn2_b64 vcc, exec, s[10:11]
	s_cbranch_vccnz .LBB31_102
; %bb.101:
	v_mov_b32_e32 v2, s18
	global_store_dword v[6:7], v2, off
.LBB31_102:
	s_mov_b64 s[10:11], 0
.LBB31_103:
	s_andn2_b64 vcc, exec, s[10:11]
	s_cbranch_vccnz .LBB31_105
; %bb.104:
	v_mov_b32_e32 v2, s18
	global_store_short v[6:7], v2, off
.LBB31_105:
	s_mov_b64 s[10:11], 0
.LBB31_106:
	s_andn2_b64 vcc, exec, s[10:11]
	s_cbranch_vccnz .LBB31_111
; %bb.107:
	v_mov_b32_e32 v2, 0
	v_cmp_gt_i16_sdwa s[12:13], s89, v2 src0_sel:BYTE_0 src1_sel:DWORD
	s_mov_b64 s[10:11], -1
	s_and_b64 vcc, exec, s[12:13]
	s_cbranch_vccz .LBB31_109
; %bb.108:
	v_mov_b32_e32 v2, s18
	global_store_byte v[6:7], v2, off
	s_mov_b64 s[10:11], 0
.LBB31_109:
	s_andn2_b64 vcc, exec, s[10:11]
	s_cbranch_vccnz .LBB31_111
; %bb.110:
	v_mov_b32_e32 v2, s18
	global_store_byte v[6:7], v2, off
.LBB31_111:
	s_branch .LBB31_25
.LBB31_112:
	s_mov_b64 s[10:11], 0
                                        ; implicit-def: $vgpr9
.LBB31_113:
	s_and_b64 s[66:67], s[8:9], exec
	s_orn2_b64 s[10:11], s[10:11], exec
.LBB31_114:
	s_or_b64 exec, exec, s[68:69]
	s_mov_b64 s[8:9], 0
                                        ; implicit-def: $vgpr16
                                        ; implicit-def: $vgpr6_vgpr7
	s_and_saveexec_b64 s[68:69], s[10:11]
	s_cbranch_execz .LBB31_121
; %bb.115:
	v_cmp_gt_i32_e32 vcc, s90, v9
	s_mov_b64 s[8:9], -1
	s_mov_b64 s[70:71], s[66:67]
	s_and_saveexec_b64 s[72:73], vcc
	s_cbranch_execz .LBB31_232
; %bb.116:
	s_andn2_b64 vcc, exec, s[36:37]
	s_cbranch_vccnz .LBB31_124
; %bb.117:
	s_andn2_b64 vcc, exec, s[64:65]
	s_cbranch_vccnz .LBB31_125
; %bb.118:
	s_add_i32 s77, s91, 1
	s_mov_b32 s76, 0
	s_cmp_eq_u32 s80, 2
	v_mov_b32_e32 v2, 0
	s_cbranch_scc1 .LBB31_126
; %bb.119:
	s_and_b32 s76, s77, 28
	s_mov_b32 s78, 0
	v_mov_b32_e32 v2, 0
	s_mov_b64 s[70:71], s[4:5]
	s_mov_b64 s[74:75], s[62:63]
	v_mov_b32_e32 v5, v9
.LBB31_120:                             ; =>This Inner Loop Header: Depth=1
	s_load_dwordx8 s[8:15], s[70:71], 0x4
	s_load_dwordx4 s[24:27], s[70:71], 0x24
	s_load_dwordx4 s[28:31], s[74:75], 0x0
	s_add_u32 s70, s70, 48
	s_addc_u32 s71, s71, 0
	s_waitcnt lgkmcnt(0)
	v_mul_hi_u32 v3, s9, v5
	v_add_u32_e32 v3, v5, v3
	v_lshrrev_b32_e32 v3, s10, v3
	v_mul_lo_u32 v6, v3, s8
	v_mul_hi_u32 v7, s12, v3
	v_sub_u32_e32 v5, v5, v6
	v_add_u32_e32 v6, v3, v7
	v_lshrrev_b32_e32 v6, s13, v6
	v_mul_lo_u32 v7, v6, s11
	v_mul_hi_u32 v16, s15, v6
	v_sub_u32_e32 v3, v3, v7
	v_add_u32_e32 v7, v6, v16
	v_mul_lo_u32 v5, v5, s28
	v_mul_lo_u32 v3, v3, s29
	v_lshrrev_b32_e32 v7, s24, v7
	v_add3_u32 v2, v5, v2, v3
	v_mul_hi_u32 v5, s26, v7
	v_add_u32_e32 v5, v7, v5
	v_mul_lo_u32 v3, v7, s14
	v_lshrrev_b32_e32 v5, s27, v5
	s_add_i32 s78, s78, 4
	v_sub_u32_e32 v3, v6, v3
	v_mul_lo_u32 v6, v5, s25
	s_add_u32 s74, s74, 16
	v_sub_u32_e32 v6, v7, v6
	s_addc_u32 s75, s75, 0
	v_mul_lo_u32 v3, v3, s30
	v_mul_lo_u32 v6, v6, s31
	s_cmp_eq_u32 s76, s78
	v_add3_u32 v2, v3, v2, v6
	s_cbranch_scc0 .LBB31_120
	s_branch .LBB31_127
.LBB31_121:
	s_or_b64 exec, exec, s[68:69]
	s_mov_b64 s[0:1], 0
	s_and_saveexec_b64 s[2:3], s[66:67]
	s_cbranch_execnz .LBB31_422
.LBB31_122:
	s_or_b64 exec, exec, s[2:3]
	s_and_saveexec_b64 s[2:3], s[72:73]
	s_xor_b64 s[2:3], exec, s[2:3]
	s_cbranch_execz .LBB31_423
.LBB31_123:
	global_store_byte v[6:7], v10, off
	s_or_b64 exec, exec, s[2:3]
	s_and_saveexec_b64 s[2:3], s[8:9]
	s_xor_b64 s[2:3], exec, s[2:3]
	s_cbranch_execz .LBB31_461
	s_branch .LBB31_424
.LBB31_124:
                                        ; implicit-def: $vgpr2
	s_andn2_b64 vcc, exec, s[8:9]
	s_cbranch_vccz .LBB31_131
	s_branch .LBB31_133
.LBB31_125:
	v_mov_b32_e32 v2, 0
	s_branch .LBB31_130
.LBB31_126:
	v_mov_b32_e32 v5, v9
.LBB31_127:
	s_and_b32 s12, s77, 3
	s_cmp_eq_u32 s12, 0
	s_cbranch_scc1 .LBB31_130
; %bb.128:
	s_lshl_b32 s8, s76, 2
	s_add_u32 s8, s8, s4
	s_addc_u32 s9, s5, 0
	s_add_u32 s8, s8, 0xc4
	s_addc_u32 s9, s9, 0
	s_mul_i32 s10, s76, 12
	s_add_u32 s10, s4, s10
	s_addc_u32 s11, s5, 0
.LBB31_129:                             ; =>This Inner Loop Header: Depth=1
	s_load_dwordx2 s[14:15], s[10:11], 0x4
	s_load_dword s13, s[10:11], 0xc
	s_load_dword s24, s[8:9], 0x0
	s_add_u32 s10, s10, 12
	s_addc_u32 s11, s11, 0
	s_waitcnt lgkmcnt(0)
	v_mul_hi_u32 v3, s15, v5
	v_add_u32_e32 v3, v5, v3
	v_lshrrev_b32_e32 v3, s13, v3
	s_add_u32 s8, s8, 4
	v_mul_lo_u32 v6, v3, s14
	s_addc_u32 s9, s9, 0
	s_add_i32 s12, s12, -1
	v_sub_u32_e32 v6, v5, v6
	s_cmp_lg_u32 s12, 0
	v_mov_b32_e32 v5, v3
	v_mad_u64_u32 v[2:3], s[14:15], v6, s24, v[2:3]
	s_cbranch_scc1 .LBB31_129
.LBB31_130:
	s_cbranch_execnz .LBB31_133
.LBB31_131:
	s_waitcnt lgkmcnt(0)
	v_mul_hi_u32 v2, s21, v9
	v_add_u32_e32 v2, v9, v2
	v_lshrrev_b32_e32 v3, s22, v2
	v_mul_lo_u32 v2, v3, s20
	v_sub_u32_e32 v2, v9, v2
	s_andn2_b64 vcc, exec, s[58:59]
	v_mul_lo_u32 v2, v2, s56
	s_cbranch_vccnz .LBB31_133
; %bb.132:
	v_mul_hi_u32 v5, s60, v3
	v_add_u32_e32 v5, v3, v5
	v_lshrrev_b32_e32 v5, s61, v5
	v_mul_lo_u32 v5, v5, s23
	v_sub_u32_e32 v3, v3, v5
	v_mad_u64_u32 v[2:3], s[8:9], v3, s57, v[2:3]
.LBB31_133:
	v_mov_b32_e32 v3, s17
	v_add_co_u32_e32 v6, vcc, s16, v2
	v_mov_b32_e32 v2, 11
	v_addc_co_u32_e32 v7, vcc, 0, v3, vcc
	s_waitcnt lgkmcnt(0)
	v_cmp_lt_i16_sdwa s[8:9], s89, v2 src0_sel:BYTE_0 src1_sel:DWORD
	s_and_b64 vcc, exec, s[8:9]
	s_cbranch_vccnz .LBB31_140
; %bb.134:
	v_mov_b32_e32 v2, 25
	v_cmp_gt_i16_sdwa s[8:9], s89, v2 src0_sel:BYTE_0 src1_sel:DWORD
	s_and_b64 vcc, exec, s[8:9]
	s_cbranch_vccz .LBB31_143
; %bb.135:
	v_mov_b32_e32 v2, 28
	v_cmp_gt_i16_sdwa s[8:9], s89, v2 src0_sel:BYTE_0 src1_sel:DWORD
	s_and_b64 vcc, exec, s[8:9]
	s_cbranch_vccz .LBB31_144
	;; [unrolled: 5-line block ×4, first 2 shown]
; %bb.138:
	v_mov_b32_e32 v2, 46
	v_cmp_eq_u16_sdwa s[10:11], s89, v2 src0_sel:BYTE_0 src1_sel:DWORD
	s_mov_b64 s[12:13], 0
	s_mov_b64 s[8:9], -1
	s_and_b64 vcc, exec, s[10:11]
	s_mov_b64 s[10:11], 0
	s_cbranch_vccz .LBB31_147
; %bb.139:
	global_store_dword v[6:7], v12, off
	s_mov_b64 s[10:11], -1
	s_mov_b64 s[8:9], 0
	s_branch .LBB31_147
.LBB31_140:
	s_mov_b64 s[10:11], 0
	s_mov_b64 s[8:9], s[66:67]
	s_cbranch_execnz .LBB31_192
.LBB31_141:
	s_andn2_b64 vcc, exec, s[10:11]
	s_cbranch_vccnz .LBB31_230
.LBB31_142:
	v_add_u32_e32 v9, 0x80, v9
	s_mov_b64 s[10:11], -1
	s_branch .LBB31_231
.LBB31_143:
	s_mov_b64 s[12:13], -1
	s_mov_b64 s[10:11], 0
	s_mov_b64 s[8:9], s[66:67]
	s_branch .LBB31_169
.LBB31_144:
	s_mov_b64 s[12:13], -1
	s_mov_b64 s[10:11], 0
	s_mov_b64 s[8:9], s[66:67]
	s_branch .LBB31_155
.LBB31_145:
	s_mov_b64 s[12:13], -1
	s_mov_b64 s[10:11], 0
	s_mov_b64 s[8:9], s[66:67]
	s_branch .LBB31_151
.LBB31_146:
	s_mov_b64 s[12:13], -1
	s_mov_b64 s[10:11], 0
	s_mov_b64 s[8:9], s[66:67]
.LBB31_147:
	s_and_b64 vcc, exec, s[12:13]
	s_cbranch_vccz .LBB31_150
; %bb.148:
	v_mov_b32_e32 v2, 44
	v_cmp_eq_u16_sdwa s[12:13], s89, v2 src0_sel:BYTE_0 src1_sel:DWORD
	s_mov_b64 s[8:9], -1
	s_and_b64 vcc, exec, s[12:13]
	s_cbranch_vccz .LBB31_150
; %bb.149:
	v_mov_b32_e32 v2, 0xff
	v_cndmask_b32_e64 v2, v15, v2, s[6:7]
	s_mov_b64 s[10:11], -1
	s_mov_b64 s[8:9], 0
	global_store_byte v[6:7], v2, off
.LBB31_150:
	s_mov_b64 s[12:13], 0
.LBB31_151:
	s_and_b64 vcc, exec, s[12:13]
	s_cbranch_vccz .LBB31_154
; %bb.152:
	v_mov_b32_e32 v2, 29
	v_cmp_eq_u16_sdwa s[12:13], s89, v2 src0_sel:BYTE_0 src1_sel:DWORD
	s_mov_b64 s[8:9], -1
	s_and_b64 vcc, exec, s[12:13]
	s_cbranch_vccz .LBB31_154
; %bb.153:
	v_pk_mov_b32 v[2:3], s[18:19], s[18:19] op_sel:[0,1]
	global_store_dwordx2 v[6:7], v[2:3], off
	s_mov_b64 s[10:11], -1
	s_mov_b64 s[8:9], 0
.LBB31_154:
	s_mov_b64 s[12:13], 0
.LBB31_155:
	s_and_b64 vcc, exec, s[12:13]
	s_cbranch_vccz .LBB31_168
; %bb.156:
	v_mov_b32_e32 v2, 27
	v_cmp_lt_i16_sdwa s[12:13], s89, v2 src0_sel:BYTE_0 src1_sel:DWORD
	s_mov_b64 s[10:11], -1
	s_and_b64 vcc, exec, s[12:13]
	s_cbranch_vccnz .LBB31_162
; %bb.157:
	v_cmp_gt_i16_sdwa s[12:13], s89, v2 src0_sel:BYTE_0 src1_sel:DWORD
	s_and_b64 vcc, exec, s[12:13]
	s_cbranch_vccz .LBB31_159
; %bb.158:
	v_mov_b32_e32 v2, s18
	s_mov_b64 s[10:11], 0
	global_store_dword v[6:7], v2, off
.LBB31_159:
	s_andn2_b64 vcc, exec, s[10:11]
	s_cbranch_vccnz .LBB31_161
; %bb.160:
	v_mov_b32_e32 v2, s18
	global_store_short v[6:7], v2, off
.LBB31_161:
	s_mov_b64 s[10:11], 0
.LBB31_162:
	s_andn2_b64 vcc, exec, s[10:11]
	s_cbranch_vccnz .LBB31_167
; %bb.163:
	s_andn2_b64 vcc, exec, s[52:53]
	v_mov_b32_e32 v2, 0x80
	s_cbranch_vccnz .LBB31_166
; %bb.164:
	s_or_b64 s[10:11], s[2:3], s[54:55]
	s_andn2_b64 vcc, exec, s[10:11]
	v_mov_b32_e32 v2, 0
	s_cbranch_vccnz .LBB31_166
; %bb.165:
	v_mov_b32_e32 v2, s88
	v_cndmask_b32_e64 v2, v14, v2, s[2:3]
	v_or_b32_e32 v2, v2, v11
.LBB31_166:
	global_store_byte v[6:7], v2, off
.LBB31_167:
	s_mov_b64 s[10:11], -1
.LBB31_168:
	s_mov_b64 s[12:13], 0
.LBB31_169:
	s_and_b64 vcc, exec, s[12:13]
	s_cbranch_vccz .LBB31_191
; %bb.170:
	v_mov_b32_e32 v2, 22
	v_cmp_gt_i16_sdwa s[14:15], s89, v2 src0_sel:BYTE_0 src1_sel:DWORD
	s_mov_b64 s[12:13], -1
	s_and_b64 vcc, exec, s[14:15]
	s_cbranch_vccz .LBB31_183
; %bb.171:
	v_mov_b32_e32 v2, 24
	v_cmp_lt_i16_sdwa s[12:13], s89, v2 src0_sel:BYTE_0 src1_sel:DWORD
	s_mov_b64 s[10:11], -1
	s_and_b64 vcc, exec, s[12:13]
	s_cbranch_vccnz .LBB31_180
; %bb.172:
	v_cmp_gt_i16_sdwa s[12:13], s89, v2 src0_sel:BYTE_0 src1_sel:DWORD
	s_and_b64 vcc, exec, s[12:13]
	s_cbranch_vccz .LBB31_177
; %bb.173:
	s_andn2_b64 vcc, exec, s[48:49]
	v_mov_b32_e32 v2, 0x80
	s_cbranch_vccnz .LBB31_176
; %bb.174:
	s_or_b64 s[10:11], s[0:1], s[50:51]
	s_andn2_b64 vcc, exec, s[10:11]
	v_mov_b32_e32 v2, 0
	s_cbranch_vccnz .LBB31_176
; %bb.175:
	v_mov_b32_e32 v2, s86
	v_cndmask_b32_e64 v2, v13, v2, s[0:1]
	v_or_b32_e32 v2, v2, v11
.LBB31_176:
	s_mov_b64 s[10:11], 0
	global_store_byte v[6:7], v2, off
.LBB31_177:
	s_and_b64 vcc, exec, s[10:11]
	s_cbranch_vccz .LBB31_179
; %bb.178:
	s_and_b64 s[10:11], s[46:47], exec
	s_cselect_b32 s12, s85, s84
	s_and_b64 s[10:11], s[44:45], exec
	s_cselect_b32 s10, s87, s12
	v_or_b32_e32 v2, s10, v11
	global_store_byte v[6:7], v2, off
.LBB31_179:
	s_mov_b64 s[10:11], 0
.LBB31_180:
	s_andn2_b64 vcc, exec, s[10:11]
	s_cbranch_vccnz .LBB31_182
; %bb.181:
	s_and_b64 s[10:11], s[42:43], exec
	s_cselect_b32 s12, s82, s81
	s_and_b64 s[10:11], s[40:41], exec
	s_cselect_b32 s10, s83, s12
	v_or_b32_e32 v2, s10, v11
	global_store_byte v[6:7], v2, off
.LBB31_182:
	s_mov_b64 s[12:13], 0
	s_mov_b64 s[10:11], -1
.LBB31_183:
	s_andn2_b64 vcc, exec, s[12:13]
	s_cbranch_vccnz .LBB31_191
; %bb.184:
	v_mov_b32_e32 v2, 14
	v_cmp_gt_i16_sdwa s[14:15], s89, v2 src0_sel:BYTE_0 src1_sel:DWORD
	s_mov_b64 s[12:13], -1
	s_and_b64 vcc, exec, s[14:15]
	s_cbranch_vccz .LBB31_188
; %bb.185:
	v_mov_b32_e32 v2, 15
	v_cmp_eq_u16_sdwa s[12:13], s89, v2 src0_sel:BYTE_0 src1_sel:DWORD
	s_mov_b64 s[8:9], -1
	s_and_b64 vcc, exec, s[12:13]
	s_cbranch_vccz .LBB31_187
; %bb.186:
	global_store_short v[6:7], v12, off
	s_mov_b64 s[10:11], -1
	s_mov_b64 s[8:9], 0
.LBB31_187:
	s_mov_b64 s[12:13], 0
.LBB31_188:
	s_and_b64 vcc, exec, s[12:13]
	s_cbranch_vccz .LBB31_191
; %bb.189:
	v_mov_b32_e32 v2, 11
	v_cmp_eq_u16_sdwa s[12:13], s89, v2 src0_sel:BYTE_0 src1_sel:DWORD
	s_mov_b64 s[8:9], -1
	s_and_b64 vcc, exec, s[12:13]
	s_cbranch_vccz .LBB31_191
; %bb.190:
	s_mov_b64 s[10:11], -1
	s_mov_b64 s[8:9], 0
	global_store_byte v[6:7], v10, off
.LBB31_191:
	s_branch .LBB31_141
.LBB31_192:
	v_mov_b32_e32 v2, 5
	v_cmp_lt_i16_sdwa s[12:13], s89, v2 src0_sel:BYTE_0 src1_sel:DWORD
	s_mov_b64 s[10:11], -1
	s_and_b64 vcc, exec, s[12:13]
	s_cbranch_vccnz .LBB31_213
; %bb.193:
	v_mov_b32_e32 v2, 8
	v_cmp_lt_i16_sdwa s[12:13], s89, v2 src0_sel:BYTE_0 src1_sel:DWORD
	s_and_b64 vcc, exec, s[12:13]
	s_cbranch_vccnz .LBB31_203
; %bb.194:
	v_mov_b32_e32 v2, 9
	v_cmp_lt_i16_sdwa s[12:13], s89, v2 src0_sel:BYTE_0 src1_sel:DWORD
	s_and_b64 vcc, exec, s[12:13]
	s_cbranch_vccnz .LBB31_200
; %bb.195:
	v_cmp_gt_i16_sdwa s[12:13], s89, v2 src0_sel:BYTE_0 src1_sel:DWORD
	s_and_b64 vcc, exec, s[12:13]
	s_cbranch_vccz .LBB31_197
; %bb.196:
	v_mov_b32_e32 v2, 0
	v_mov_b32_e32 v3, v2
	s_mov_b64 s[10:11], 0
	global_store_dwordx4 v[6:7], v[0:3], off
.LBB31_197:
	s_andn2_b64 vcc, exec, s[10:11]
	s_cbranch_vccnz .LBB31_199
; %bb.198:
	v_mov_b32_e32 v5, 0
	global_store_dwordx2 v[6:7], v[4:5], off
.LBB31_199:
	s_mov_b64 s[10:11], 0
.LBB31_200:
	s_andn2_b64 vcc, exec, s[10:11]
	s_cbranch_vccnz .LBB31_202
; %bb.201:
	global_store_dword v[6:7], v8, off
.LBB31_202:
	s_mov_b64 s[10:11], 0
.LBB31_203:
	s_andn2_b64 vcc, exec, s[10:11]
	s_cbranch_vccnz .LBB31_212
; %bb.204:
	v_mov_b32_e32 v2, 6
	v_cmp_lt_i16_sdwa s[12:13], s89, v2 src0_sel:BYTE_0 src1_sel:DWORD
	s_mov_b64 s[10:11], -1
	s_and_b64 vcc, exec, s[12:13]
	s_cbranch_vccnz .LBB31_210
; %bb.205:
	v_cmp_gt_i16_sdwa s[12:13], s89, v2 src0_sel:BYTE_0 src1_sel:DWORD
	s_and_b64 vcc, exec, s[12:13]
	s_cbranch_vccz .LBB31_207
; %bb.206:
	s_mov_b64 s[10:11], 0
	global_store_dwordx2 v[6:7], v[0:1], off
.LBB31_207:
	s_andn2_b64 vcc, exec, s[10:11]
	s_cbranch_vccnz .LBB31_209
; %bb.208:
	global_store_dword v[6:7], v4, off
.LBB31_209:
	s_mov_b64 s[10:11], 0
.LBB31_210:
	s_andn2_b64 vcc, exec, s[10:11]
	s_cbranch_vccnz .LBB31_212
; %bb.211:
	global_store_short v[6:7], v8, off
.LBB31_212:
	s_mov_b64 s[10:11], 0
.LBB31_213:
	s_andn2_b64 vcc, exec, s[10:11]
	s_cbranch_vccnz .LBB31_229
; %bb.214:
	v_mov_b32_e32 v2, 2
	v_cmp_lt_i16_sdwa s[12:13], s89, v2 src0_sel:BYTE_0 src1_sel:DWORD
	s_mov_b64 s[10:11], -1
	s_and_b64 vcc, exec, s[12:13]
	s_cbranch_vccnz .LBB31_224
; %bb.215:
	v_mov_b32_e32 v2, 3
	v_cmp_lt_i16_sdwa s[12:13], s89, v2 src0_sel:BYTE_0 src1_sel:DWORD
	s_and_b64 vcc, exec, s[12:13]
	s_cbranch_vccnz .LBB31_221
; %bb.216:
	v_cmp_gt_i16_sdwa s[12:13], s89, v2 src0_sel:BYTE_0 src1_sel:DWORD
	s_and_b64 vcc, exec, s[12:13]
	s_cbranch_vccz .LBB31_218
; %bb.217:
	v_pk_mov_b32 v[2:3], s[18:19], s[18:19] op_sel:[0,1]
	s_mov_b64 s[10:11], 0
	global_store_dwordx2 v[6:7], v[2:3], off
.LBB31_218:
	s_andn2_b64 vcc, exec, s[10:11]
	s_cbranch_vccnz .LBB31_220
; %bb.219:
	v_mov_b32_e32 v2, s18
	global_store_dword v[6:7], v2, off
.LBB31_220:
	s_mov_b64 s[10:11], 0
.LBB31_221:
	s_andn2_b64 vcc, exec, s[10:11]
	s_cbranch_vccnz .LBB31_223
; %bb.222:
	v_mov_b32_e32 v2, s18
	global_store_short v[6:7], v2, off
.LBB31_223:
	s_mov_b64 s[10:11], 0
.LBB31_224:
	s_andn2_b64 vcc, exec, s[10:11]
	s_cbranch_vccnz .LBB31_229
; %bb.225:
	v_mov_b32_e32 v2, 0
	v_cmp_gt_i16_sdwa s[12:13], s89, v2 src0_sel:BYTE_0 src1_sel:DWORD
	s_mov_b64 s[10:11], -1
	s_and_b64 vcc, exec, s[12:13]
	s_cbranch_vccz .LBB31_227
; %bb.226:
	v_mov_b32_e32 v2, s18
	s_mov_b64 s[10:11], 0
	global_store_byte v[6:7], v2, off
.LBB31_227:
	s_andn2_b64 vcc, exec, s[10:11]
	s_cbranch_vccnz .LBB31_229
; %bb.228:
	v_mov_b32_e32 v2, s18
	global_store_byte v[6:7], v2, off
.LBB31_229:
	s_branch .LBB31_142
.LBB31_230:
	s_mov_b64 s[10:11], 0
                                        ; implicit-def: $vgpr9
.LBB31_231:
	s_andn2_b64 s[12:13], s[66:67], exec
	s_and_b64 s[8:9], s[8:9], exec
	s_or_b64 s[70:71], s[12:13], s[8:9]
	s_orn2_b64 s[8:9], s[10:11], exec
.LBB31_232:
	s_or_b64 exec, exec, s[72:73]
	s_mov_b64 s[10:11], 0
	s_mov_b64 s[12:13], 0
                                        ; implicit-def: $vgpr16
                                        ; implicit-def: $vgpr6_vgpr7
	s_and_saveexec_b64 s[72:73], s[8:9]
	s_cbranch_execz .LBB31_421
; %bb.233:
	v_cmp_gt_i32_e32 vcc, s90, v9
	s_mov_b64 s[10:11], -1
	s_mov_b64 s[76:77], s[70:71]
	s_and_saveexec_b64 s[74:75], vcc
	s_cbranch_execz .LBB31_349
; %bb.234:
	s_andn2_b64 vcc, exec, s[36:37]
	s_cbranch_vccnz .LBB31_239
; %bb.235:
	s_andn2_b64 vcc, exec, s[64:65]
	s_cbranch_vccnz .LBB31_240
; %bb.236:
	s_add_i32 s93, s91, 1
	s_mov_b32 s92, 0
	s_cmp_eq_u32 s80, 2
	v_mov_b32_e32 v2, 0
	s_cbranch_scc1 .LBB31_241
; %bb.237:
	s_and_b32 s92, s93, 28
	s_mov_b32 s94, 0
	v_mov_b32_e32 v2, 0
	s_mov_b64 s[76:77], s[4:5]
	s_mov_b64 s[78:79], s[62:63]
	v_mov_b32_e32 v5, v9
.LBB31_238:                             ; =>This Inner Loop Header: Depth=1
	s_load_dwordx8 s[8:15], s[76:77], 0x4
	s_load_dwordx4 s[24:27], s[76:77], 0x24
	s_load_dwordx4 s[28:31], s[78:79], 0x0
	s_add_u32 s76, s76, 48
	s_addc_u32 s77, s77, 0
	s_waitcnt lgkmcnt(0)
	v_mul_hi_u32 v3, s9, v5
	v_add_u32_e32 v3, v5, v3
	v_lshrrev_b32_e32 v3, s10, v3
	v_mul_lo_u32 v6, v3, s8
	v_mul_hi_u32 v7, s12, v3
	v_sub_u32_e32 v5, v5, v6
	v_add_u32_e32 v6, v3, v7
	v_lshrrev_b32_e32 v6, s13, v6
	v_mul_lo_u32 v7, v6, s11
	v_mul_hi_u32 v16, s15, v6
	v_sub_u32_e32 v3, v3, v7
	v_add_u32_e32 v7, v6, v16
	v_mul_lo_u32 v5, v5, s28
	v_mul_lo_u32 v3, v3, s29
	v_lshrrev_b32_e32 v7, s24, v7
	v_add3_u32 v2, v5, v2, v3
	v_mul_hi_u32 v5, s26, v7
	v_add_u32_e32 v5, v7, v5
	v_mul_lo_u32 v3, v7, s14
	v_lshrrev_b32_e32 v5, s27, v5
	s_add_i32 s94, s94, 4
	v_sub_u32_e32 v3, v6, v3
	v_mul_lo_u32 v6, v5, s25
	s_add_u32 s78, s78, 16
	v_sub_u32_e32 v6, v7, v6
	s_addc_u32 s79, s79, 0
	v_mul_lo_u32 v3, v3, s30
	v_mul_lo_u32 v6, v6, s31
	s_cmp_eq_u32 s92, s94
	v_add3_u32 v2, v3, v2, v6
	s_cbranch_scc0 .LBB31_238
	s_branch .LBB31_242
.LBB31_239:
	s_mov_b64 s[8:9], -1
                                        ; implicit-def: $vgpr2
	s_branch .LBB31_246
.LBB31_240:
	v_mov_b32_e32 v2, 0
	s_branch .LBB31_245
.LBB31_241:
	v_mov_b32_e32 v5, v9
.LBB31_242:
	s_and_b32 s12, s93, 3
	s_cmp_eq_u32 s12, 0
	s_cbranch_scc1 .LBB31_245
; %bb.243:
	s_lshl_b32 s8, s92, 2
	s_add_u32 s8, s8, s4
	s_addc_u32 s9, s5, 0
	s_add_u32 s8, s8, 0xc4
	s_addc_u32 s9, s9, 0
	s_mul_i32 s10, s92, 12
	s_add_u32 s10, s4, s10
	s_addc_u32 s11, s5, 0
.LBB31_244:                             ; =>This Inner Loop Header: Depth=1
	s_load_dwordx2 s[14:15], s[10:11], 0x4
	s_load_dword s13, s[10:11], 0xc
	s_load_dword s24, s[8:9], 0x0
	s_add_u32 s10, s10, 12
	s_addc_u32 s11, s11, 0
	s_waitcnt lgkmcnt(0)
	v_mul_hi_u32 v3, s15, v5
	v_add_u32_e32 v3, v5, v3
	v_lshrrev_b32_e32 v3, s13, v3
	s_add_u32 s8, s8, 4
	v_mul_lo_u32 v6, v3, s14
	s_addc_u32 s9, s9, 0
	s_add_i32 s12, s12, -1
	v_sub_u32_e32 v6, v5, v6
	s_cmp_lg_u32 s12, 0
	v_mov_b32_e32 v5, v3
	v_mad_u64_u32 v[2:3], s[14:15], v6, s24, v[2:3]
	s_cbranch_scc1 .LBB31_244
.LBB31_245:
	s_mov_b64 s[8:9], 0
.LBB31_246:
	s_andn2_b64 vcc, exec, s[8:9]
	s_cbranch_vccnz .LBB31_249
; %bb.247:
	s_waitcnt lgkmcnt(0)
	v_mul_hi_u32 v2, s21, v9
	v_add_u32_e32 v2, v9, v2
	v_lshrrev_b32_e32 v3, s22, v2
	v_mul_lo_u32 v2, v3, s20
	v_sub_u32_e32 v2, v9, v2
	s_andn2_b64 vcc, exec, s[58:59]
	v_mul_lo_u32 v2, v2, s56
	s_cbranch_vccnz .LBB31_249
; %bb.248:
	v_mul_hi_u32 v5, s60, v3
	v_add_u32_e32 v5, v3, v5
	v_lshrrev_b32_e32 v5, s61, v5
	v_mul_lo_u32 v5, v5, s23
	v_sub_u32_e32 v3, v3, v5
	v_mad_u64_u32 v[2:3], s[8:9], v3, s57, v[2:3]
.LBB31_249:
	v_mov_b32_e32 v3, s17
	v_add_co_u32_e32 v6, vcc, s16, v2
	v_mov_b32_e32 v2, 11
	v_addc_co_u32_e32 v7, vcc, 0, v3, vcc
	s_waitcnt lgkmcnt(0)
	v_cmp_lt_i16_sdwa s[8:9], s89, v2 src0_sel:BYTE_0 src1_sel:DWORD
	s_and_b64 vcc, exec, s[8:9]
	s_cbranch_vccnz .LBB31_256
; %bb.250:
	v_mov_b32_e32 v2, 25
	v_cmp_gt_i16_sdwa s[8:9], s89, v2 src0_sel:BYTE_0 src1_sel:DWORD
	s_and_b64 vcc, exec, s[8:9]
	s_cbranch_vccz .LBB31_257
; %bb.251:
	v_mov_b32_e32 v2, 28
	v_cmp_gt_i16_sdwa s[8:9], s89, v2 src0_sel:BYTE_0 src1_sel:DWORD
	s_and_b64 vcc, exec, s[8:9]
	s_cbranch_vccz .LBB31_258
; %bb.252:
	v_mov_b32_e32 v2, 43
	v_cmp_gt_i16_sdwa s[8:9], s89, v2 src0_sel:BYTE_0 src1_sel:DWORD
	s_and_b64 vcc, exec, s[8:9]
	s_cbranch_vccz .LBB31_259
; %bb.253:
	v_mov_b32_e32 v2, 45
	v_cmp_gt_i16_sdwa s[8:9], s89, v2 src0_sel:BYTE_0 src1_sel:DWORD
	s_and_b64 vcc, exec, s[8:9]
	s_cbranch_vccz .LBB31_260
; %bb.254:
	v_mov_b32_e32 v2, 46
	v_cmp_eq_u16_sdwa s[10:11], s89, v2 src0_sel:BYTE_0 src1_sel:DWORD
	s_mov_b64 s[12:13], 0
	s_mov_b64 s[8:9], -1
	s_and_b64 vcc, exec, s[10:11]
	s_mov_b64 s[10:11], 0
	s_cbranch_vccz .LBB31_261
; %bb.255:
	global_store_dword v[6:7], v12, off
	s_mov_b64 s[10:11], -1
	s_mov_b64 s[8:9], 0
	s_branch .LBB31_261
.LBB31_256:
	s_mov_b64 s[12:13], -1
	s_mov_b64 s[10:11], 0
	s_mov_b64 s[8:9], s[70:71]
	s_branch .LBB31_306
.LBB31_257:
	s_mov_b64 s[12:13], -1
	s_mov_b64 s[10:11], 0
	s_mov_b64 s[8:9], s[70:71]
	s_branch .LBB31_283
.LBB31_258:
	s_mov_b64 s[12:13], -1
	s_mov_b64 s[10:11], 0
	s_mov_b64 s[8:9], s[70:71]
	s_branch .LBB31_269
.LBB31_259:
	s_mov_b64 s[12:13], -1
	s_mov_b64 s[10:11], 0
	s_mov_b64 s[8:9], s[70:71]
	s_branch .LBB31_265
.LBB31_260:
	s_mov_b64 s[12:13], -1
	s_mov_b64 s[10:11], 0
	s_mov_b64 s[8:9], s[70:71]
.LBB31_261:
	s_and_b64 vcc, exec, s[12:13]
	s_cbranch_vccz .LBB31_264
; %bb.262:
	v_mov_b32_e32 v2, 44
	v_cmp_eq_u16_sdwa s[12:13], s89, v2 src0_sel:BYTE_0 src1_sel:DWORD
	s_mov_b64 s[8:9], -1
	s_and_b64 vcc, exec, s[12:13]
	s_cbranch_vccz .LBB31_264
; %bb.263:
	v_mov_b32_e32 v2, 0xff
	v_cndmask_b32_e64 v2, v15, v2, s[6:7]
	s_mov_b64 s[10:11], -1
	s_mov_b64 s[8:9], 0
	global_store_byte v[6:7], v2, off
.LBB31_264:
	s_mov_b64 s[12:13], 0
.LBB31_265:
	s_and_b64 vcc, exec, s[12:13]
	s_cbranch_vccz .LBB31_268
; %bb.266:
	v_mov_b32_e32 v2, 29
	v_cmp_eq_u16_sdwa s[12:13], s89, v2 src0_sel:BYTE_0 src1_sel:DWORD
	s_mov_b64 s[8:9], -1
	s_and_b64 vcc, exec, s[12:13]
	s_cbranch_vccz .LBB31_268
; %bb.267:
	v_pk_mov_b32 v[2:3], s[18:19], s[18:19] op_sel:[0,1]
	global_store_dwordx2 v[6:7], v[2:3], off
	s_mov_b64 s[10:11], -1
	s_mov_b64 s[8:9], 0
.LBB31_268:
	s_mov_b64 s[12:13], 0
.LBB31_269:
	s_and_b64 vcc, exec, s[12:13]
	s_cbranch_vccz .LBB31_282
; %bb.270:
	v_mov_b32_e32 v2, 27
	v_cmp_lt_i16_sdwa s[12:13], s89, v2 src0_sel:BYTE_0 src1_sel:DWORD
	s_mov_b64 s[10:11], -1
	s_and_b64 vcc, exec, s[12:13]
	s_cbranch_vccnz .LBB31_276
; %bb.271:
	v_cmp_gt_i16_sdwa s[12:13], s89, v2 src0_sel:BYTE_0 src1_sel:DWORD
	s_and_b64 vcc, exec, s[12:13]
	s_cbranch_vccz .LBB31_273
; %bb.272:
	v_mov_b32_e32 v2, s18
	s_mov_b64 s[10:11], 0
	global_store_dword v[6:7], v2, off
.LBB31_273:
	s_andn2_b64 vcc, exec, s[10:11]
	s_cbranch_vccnz .LBB31_275
; %bb.274:
	v_mov_b32_e32 v2, s18
	global_store_short v[6:7], v2, off
.LBB31_275:
	s_mov_b64 s[10:11], 0
.LBB31_276:
	s_andn2_b64 vcc, exec, s[10:11]
	s_cbranch_vccnz .LBB31_281
; %bb.277:
	s_andn2_b64 vcc, exec, s[52:53]
	v_mov_b32_e32 v2, 0x80
	s_cbranch_vccnz .LBB31_280
; %bb.278:
	s_or_b64 s[10:11], s[2:3], s[54:55]
	s_andn2_b64 vcc, exec, s[10:11]
	v_mov_b32_e32 v2, 0
	s_cbranch_vccnz .LBB31_280
; %bb.279:
	v_mov_b32_e32 v2, s88
	v_cndmask_b32_e64 v2, v14, v2, s[2:3]
	v_or_b32_e32 v2, v2, v11
.LBB31_280:
	global_store_byte v[6:7], v2, off
.LBB31_281:
	s_mov_b64 s[10:11], -1
.LBB31_282:
	s_mov_b64 s[12:13], 0
.LBB31_283:
	s_and_b64 vcc, exec, s[12:13]
	s_cbranch_vccz .LBB31_305
; %bb.284:
	v_mov_b32_e32 v2, 22
	v_cmp_gt_i16_sdwa s[14:15], s89, v2 src0_sel:BYTE_0 src1_sel:DWORD
	s_mov_b64 s[12:13], -1
	s_and_b64 vcc, exec, s[14:15]
	s_cbranch_vccz .LBB31_297
; %bb.285:
	v_mov_b32_e32 v2, 24
	v_cmp_lt_i16_sdwa s[12:13], s89, v2 src0_sel:BYTE_0 src1_sel:DWORD
	s_mov_b64 s[10:11], -1
	s_and_b64 vcc, exec, s[12:13]
	s_cbranch_vccnz .LBB31_294
; %bb.286:
	v_cmp_gt_i16_sdwa s[12:13], s89, v2 src0_sel:BYTE_0 src1_sel:DWORD
	s_and_b64 vcc, exec, s[12:13]
	s_cbranch_vccz .LBB31_291
; %bb.287:
	s_andn2_b64 vcc, exec, s[48:49]
	v_mov_b32_e32 v2, 0x80
	s_cbranch_vccnz .LBB31_290
; %bb.288:
	s_or_b64 s[10:11], s[0:1], s[50:51]
	s_andn2_b64 vcc, exec, s[10:11]
	v_mov_b32_e32 v2, 0
	s_cbranch_vccnz .LBB31_290
; %bb.289:
	v_mov_b32_e32 v2, s86
	v_cndmask_b32_e64 v2, v13, v2, s[0:1]
	v_or_b32_e32 v2, v2, v11
.LBB31_290:
	s_mov_b64 s[10:11], 0
	global_store_byte v[6:7], v2, off
.LBB31_291:
	s_and_b64 vcc, exec, s[10:11]
	s_cbranch_vccz .LBB31_293
; %bb.292:
	s_and_b64 s[10:11], s[46:47], exec
	s_cselect_b32 s12, s85, s84
	s_and_b64 s[10:11], s[44:45], exec
	s_cselect_b32 s10, s87, s12
	v_or_b32_e32 v2, s10, v11
	global_store_byte v[6:7], v2, off
.LBB31_293:
	s_mov_b64 s[10:11], 0
.LBB31_294:
	s_andn2_b64 vcc, exec, s[10:11]
	s_cbranch_vccnz .LBB31_296
; %bb.295:
	s_and_b64 s[10:11], s[42:43], exec
	s_cselect_b32 s12, s82, s81
	s_and_b64 s[10:11], s[40:41], exec
	s_cselect_b32 s10, s83, s12
	v_or_b32_e32 v2, s10, v11
	global_store_byte v[6:7], v2, off
.LBB31_296:
	s_mov_b64 s[12:13], 0
	s_mov_b64 s[10:11], -1
.LBB31_297:
	s_andn2_b64 vcc, exec, s[12:13]
	s_cbranch_vccnz .LBB31_305
; %bb.298:
	v_mov_b32_e32 v2, 14
	v_cmp_gt_i16_sdwa s[14:15], s89, v2 src0_sel:BYTE_0 src1_sel:DWORD
	s_mov_b64 s[12:13], -1
	s_and_b64 vcc, exec, s[14:15]
	s_cbranch_vccz .LBB31_302
; %bb.299:
	v_mov_b32_e32 v2, 15
	v_cmp_eq_u16_sdwa s[12:13], s89, v2 src0_sel:BYTE_0 src1_sel:DWORD
	s_mov_b64 s[8:9], -1
	s_and_b64 vcc, exec, s[12:13]
	s_cbranch_vccz .LBB31_301
; %bb.300:
	global_store_short v[6:7], v12, off
	s_mov_b64 s[10:11], -1
	s_mov_b64 s[8:9], 0
.LBB31_301:
	s_mov_b64 s[12:13], 0
.LBB31_302:
	s_and_b64 vcc, exec, s[12:13]
	s_cbranch_vccz .LBB31_305
; %bb.303:
	v_mov_b32_e32 v2, 11
	v_cmp_eq_u16_sdwa s[12:13], s89, v2 src0_sel:BYTE_0 src1_sel:DWORD
	s_mov_b64 s[8:9], -1
	s_and_b64 vcc, exec, s[12:13]
	s_cbranch_vccz .LBB31_305
; %bb.304:
	s_mov_b64 s[10:11], -1
	s_mov_b64 s[8:9], 0
	global_store_byte v[6:7], v10, off
.LBB31_305:
	s_mov_b64 s[12:13], 0
.LBB31_306:
	s_and_b64 vcc, exec, s[12:13]
	s_cbranch_vccz .LBB31_345
; %bb.307:
	v_mov_b32_e32 v2, 5
	v_cmp_lt_i16_sdwa s[12:13], s89, v2 src0_sel:BYTE_0 src1_sel:DWORD
	s_mov_b64 s[10:11], -1
	s_and_b64 vcc, exec, s[12:13]
	s_cbranch_vccnz .LBB31_328
; %bb.308:
	v_mov_b32_e32 v2, 8
	v_cmp_lt_i16_sdwa s[12:13], s89, v2 src0_sel:BYTE_0 src1_sel:DWORD
	s_and_b64 vcc, exec, s[12:13]
	s_cbranch_vccnz .LBB31_318
; %bb.309:
	v_mov_b32_e32 v2, 9
	v_cmp_lt_i16_sdwa s[12:13], s89, v2 src0_sel:BYTE_0 src1_sel:DWORD
	s_and_b64 vcc, exec, s[12:13]
	s_cbranch_vccnz .LBB31_315
; %bb.310:
	v_cmp_gt_i16_sdwa s[12:13], s89, v2 src0_sel:BYTE_0 src1_sel:DWORD
	s_and_b64 vcc, exec, s[12:13]
	s_cbranch_vccz .LBB31_312
; %bb.311:
	v_mov_b32_e32 v2, 0
	v_mov_b32_e32 v3, v2
	s_mov_b64 s[10:11], 0
	global_store_dwordx4 v[6:7], v[0:3], off
.LBB31_312:
	s_andn2_b64 vcc, exec, s[10:11]
	s_cbranch_vccnz .LBB31_314
; %bb.313:
	v_mov_b32_e32 v5, 0
	global_store_dwordx2 v[6:7], v[4:5], off
.LBB31_314:
	s_mov_b64 s[10:11], 0
.LBB31_315:
	s_andn2_b64 vcc, exec, s[10:11]
	s_cbranch_vccnz .LBB31_317
; %bb.316:
	global_store_dword v[6:7], v8, off
.LBB31_317:
	s_mov_b64 s[10:11], 0
.LBB31_318:
	s_andn2_b64 vcc, exec, s[10:11]
	s_cbranch_vccnz .LBB31_327
; %bb.319:
	v_mov_b32_e32 v2, 6
	v_cmp_lt_i16_sdwa s[12:13], s89, v2 src0_sel:BYTE_0 src1_sel:DWORD
	s_mov_b64 s[10:11], -1
	s_and_b64 vcc, exec, s[12:13]
	s_cbranch_vccnz .LBB31_325
; %bb.320:
	v_cmp_gt_i16_sdwa s[12:13], s89, v2 src0_sel:BYTE_0 src1_sel:DWORD
	s_and_b64 vcc, exec, s[12:13]
	s_cbranch_vccz .LBB31_322
; %bb.321:
	s_mov_b64 s[10:11], 0
	global_store_dwordx2 v[6:7], v[0:1], off
.LBB31_322:
	s_andn2_b64 vcc, exec, s[10:11]
	s_cbranch_vccnz .LBB31_324
; %bb.323:
	global_store_dword v[6:7], v4, off
.LBB31_324:
	s_mov_b64 s[10:11], 0
.LBB31_325:
	s_andn2_b64 vcc, exec, s[10:11]
	s_cbranch_vccnz .LBB31_327
; %bb.326:
	global_store_short v[6:7], v8, off
.LBB31_327:
	s_mov_b64 s[10:11], 0
.LBB31_328:
	s_andn2_b64 vcc, exec, s[10:11]
	s_cbranch_vccnz .LBB31_344
; %bb.329:
	v_mov_b32_e32 v2, 2
	v_cmp_lt_i16_sdwa s[12:13], s89, v2 src0_sel:BYTE_0 src1_sel:DWORD
	s_mov_b64 s[10:11], -1
	s_and_b64 vcc, exec, s[12:13]
	s_cbranch_vccnz .LBB31_339
; %bb.330:
	v_mov_b32_e32 v2, 3
	v_cmp_lt_i16_sdwa s[12:13], s89, v2 src0_sel:BYTE_0 src1_sel:DWORD
	s_and_b64 vcc, exec, s[12:13]
	s_cbranch_vccnz .LBB31_336
; %bb.331:
	v_cmp_gt_i16_sdwa s[12:13], s89, v2 src0_sel:BYTE_0 src1_sel:DWORD
	s_and_b64 vcc, exec, s[12:13]
	s_cbranch_vccz .LBB31_333
; %bb.332:
	v_pk_mov_b32 v[2:3], s[18:19], s[18:19] op_sel:[0,1]
	s_mov_b64 s[10:11], 0
	global_store_dwordx2 v[6:7], v[2:3], off
.LBB31_333:
	s_andn2_b64 vcc, exec, s[10:11]
	s_cbranch_vccnz .LBB31_335
; %bb.334:
	v_mov_b32_e32 v2, s18
	global_store_dword v[6:7], v2, off
.LBB31_335:
	s_mov_b64 s[10:11], 0
.LBB31_336:
	s_andn2_b64 vcc, exec, s[10:11]
	s_cbranch_vccnz .LBB31_338
; %bb.337:
	v_mov_b32_e32 v2, s18
	global_store_short v[6:7], v2, off
.LBB31_338:
	s_mov_b64 s[10:11], 0
.LBB31_339:
	s_andn2_b64 vcc, exec, s[10:11]
	s_cbranch_vccnz .LBB31_344
; %bb.340:
	v_mov_b32_e32 v2, 0
	v_cmp_gt_i16_sdwa s[12:13], s89, v2 src0_sel:BYTE_0 src1_sel:DWORD
	s_mov_b64 s[10:11], -1
	s_and_b64 vcc, exec, s[12:13]
	s_cbranch_vccz .LBB31_342
; %bb.341:
	v_mov_b32_e32 v2, s18
	s_mov_b64 s[10:11], 0
	global_store_byte v[6:7], v2, off
.LBB31_342:
	s_andn2_b64 vcc, exec, s[10:11]
	s_cbranch_vccnz .LBB31_344
; %bb.343:
	v_mov_b32_e32 v2, s18
	global_store_byte v[6:7], v2, off
.LBB31_344:
	s_mov_b64 s[10:11], -1
.LBB31_345:
	s_andn2_b64 vcc, exec, s[10:11]
	s_cbranch_vccnz .LBB31_347
; %bb.346:
	v_add_u32_e32 v9, 0x80, v9
	s_mov_b64 s[10:11], -1
	s_branch .LBB31_348
.LBB31_347:
	s_mov_b64 s[10:11], 0
                                        ; implicit-def: $vgpr9
.LBB31_348:
	s_andn2_b64 s[12:13], s[70:71], exec
	s_and_b64 s[8:9], s[8:9], exec
	s_or_b64 s[76:77], s[12:13], s[8:9]
	s_orn2_b64 s[10:11], s[10:11], exec
.LBB31_349:
	s_or_b64 exec, exec, s[74:75]
	s_mov_b64 s[8:9], 0
	s_mov_b64 s[14:15], 0
                                        ; implicit-def: $vgpr16
                                        ; implicit-def: $vgpr6_vgpr7
	s_and_saveexec_b64 s[74:75], s[10:11]
	s_cbranch_execz .LBB31_420
; %bb.350:
	v_cmp_gt_i32_e32 vcc, s90, v9
	s_mov_b64 s[10:11], 0
	s_mov_b64 s[12:13], s[76:77]
                                        ; implicit-def: $vgpr16
                                        ; implicit-def: $vgpr6_vgpr7
	s_and_saveexec_b64 s[78:79], vcc
	s_cbranch_execz .LBB31_419
; %bb.351:
	s_andn2_b64 vcc, exec, s[36:37]
	s_cbranch_vccnz .LBB31_356
; %bb.352:
	s_andn2_b64 vcc, exec, s[64:65]
	s_cbranch_vccnz .LBB31_357
; %bb.353:
	s_add_i32 s91, s91, 1
	s_mov_b32 s90, 0
	s_cmp_eq_u32 s80, 2
	v_mov_b32_e32 v2, 0
	s_cbranch_scc1 .LBB31_358
; %bb.354:
	s_and_b32 s90, s91, 28
	s_mov_b32 s92, 0
	v_mov_b32_e32 v2, 0
	s_mov_b64 s[64:65], s[4:5]
	v_mov_b32_e32 v5, v9
.LBB31_355:                             ; =>This Inner Loop Header: Depth=1
	s_load_dwordx8 s[8:15], s[64:65], 0x4
	s_load_dwordx4 s[24:27], s[64:65], 0x24
	s_load_dwordx4 s[28:31], s[62:63], 0x0
	s_add_u32 s64, s64, 48
	s_addc_u32 s65, s65, 0
	s_waitcnt lgkmcnt(0)
	v_mul_hi_u32 v3, s9, v5
	v_add_u32_e32 v3, v5, v3
	v_lshrrev_b32_e32 v3, s10, v3
	v_mul_lo_u32 v6, v3, s8
	v_mul_hi_u32 v7, s12, v3
	v_sub_u32_e32 v5, v5, v6
	v_add_u32_e32 v6, v3, v7
	v_lshrrev_b32_e32 v6, s13, v6
	v_mul_lo_u32 v7, v6, s11
	v_mul_hi_u32 v16, s15, v6
	v_sub_u32_e32 v3, v3, v7
	v_add_u32_e32 v7, v6, v16
	v_mul_lo_u32 v5, v5, s28
	v_mul_lo_u32 v3, v3, s29
	v_lshrrev_b32_e32 v7, s24, v7
	v_add3_u32 v2, v5, v2, v3
	v_mul_hi_u32 v5, s26, v7
	v_add_u32_e32 v5, v7, v5
	v_mul_lo_u32 v3, v7, s14
	v_lshrrev_b32_e32 v5, s27, v5
	s_add_i32 s92, s92, 4
	v_sub_u32_e32 v3, v6, v3
	v_mul_lo_u32 v6, v5, s25
	s_add_u32 s62, s62, 16
	v_sub_u32_e32 v6, v7, v6
	s_addc_u32 s63, s63, 0
	v_mul_lo_u32 v3, v3, s30
	v_mul_lo_u32 v6, v6, s31
	s_cmp_eq_u32 s90, s92
	v_add3_u32 v2, v3, v2, v6
	s_cbranch_scc0 .LBB31_355
	s_branch .LBB31_359
.LBB31_356:
	s_mov_b64 s[8:9], -1
                                        ; implicit-def: $vgpr2
	s_branch .LBB31_363
.LBB31_357:
	v_mov_b32_e32 v2, 0
	s_branch .LBB31_362
.LBB31_358:
	v_mov_b32_e32 v5, v9
.LBB31_359:
	s_and_b32 s12, s91, 3
	s_cmp_eq_u32 s12, 0
	s_cbranch_scc1 .LBB31_362
; %bb.360:
	s_lshl_b32 s8, s90, 2
	s_add_u32 s8, s8, s4
	s_addc_u32 s9, s5, 0
	s_add_u32 s8, s8, 0xc4
	s_addc_u32 s9, s9, 0
	s_mul_i32 s10, s90, 12
	s_add_u32 s10, s4, s10
	s_addc_u32 s11, s5, 0
.LBB31_361:                             ; =>This Inner Loop Header: Depth=1
	s_load_dwordx2 s[14:15], s[10:11], 0x4
	s_load_dword s13, s[10:11], 0xc
	s_load_dword s24, s[8:9], 0x0
	s_add_u32 s10, s10, 12
	s_addc_u32 s11, s11, 0
	s_waitcnt lgkmcnt(0)
	v_mul_hi_u32 v3, s15, v5
	v_add_u32_e32 v3, v5, v3
	v_lshrrev_b32_e32 v3, s13, v3
	s_add_u32 s8, s8, 4
	v_mul_lo_u32 v6, v3, s14
	s_addc_u32 s9, s9, 0
	s_add_i32 s12, s12, -1
	v_sub_u32_e32 v6, v5, v6
	s_cmp_lg_u32 s12, 0
	v_mov_b32_e32 v5, v3
	v_mad_u64_u32 v[2:3], s[14:15], v6, s24, v[2:3]
	s_cbranch_scc1 .LBB31_361
.LBB31_362:
	s_mov_b64 s[8:9], 0
.LBB31_363:
	s_andn2_b64 vcc, exec, s[8:9]
	s_cbranch_vccnz .LBB31_366
; %bb.364:
	s_waitcnt lgkmcnt(0)
	v_mul_hi_u32 v2, s21, v9
	v_add_u32_e32 v2, v9, v2
	v_lshrrev_b32_e32 v3, s22, v2
	v_mul_lo_u32 v2, v3, s20
	v_sub_u32_e32 v2, v9, v2
	s_andn2_b64 vcc, exec, s[58:59]
	v_mul_lo_u32 v2, v2, s56
	s_cbranch_vccnz .LBB31_366
; %bb.365:
	v_mul_hi_u32 v5, s60, v3
	v_add_u32_e32 v5, v3, v5
	v_lshrrev_b32_e32 v5, s61, v5
	v_mul_lo_u32 v5, v5, s23
	v_sub_u32_e32 v3, v3, v5
	v_mad_u64_u32 v[2:3], s[8:9], v3, s57, v[2:3]
.LBB31_366:
	v_mov_b32_e32 v3, s17
	v_add_co_u32_e32 v6, vcc, s16, v2
	v_mov_b32_e32 v2, 0xff
	v_addc_co_u32_e32 v7, vcc, 0, v3, vcc
	s_waitcnt lgkmcnt(0)
	v_and_b32_e32 v16, s89, v2
	v_cmp_gt_i16_e32 vcc, 11, v16
	s_cbranch_vccnz .LBB31_416
; %bb.367:
	v_cmp_lt_i16_e32 vcc, 25, v16
	s_mov_b64 s[10:11], -1
	s_mov_b64 s[8:9], s[76:77]
	s_cbranch_vccz .LBB31_395
; %bb.368:
	v_cmp_lt_i16_e32 vcc, 28, v16
	s_mov_b64 s[8:9], s[76:77]
	s_cbranch_vccz .LBB31_382
; %bb.369:
	v_cmp_lt_i16_e32 vcc, 43, v16
	;; [unrolled: 4-line block ×3, first 2 shown]
	s_mov_b64 s[8:9], s[76:77]
	s_cbranch_vccz .LBB31_374
; %bb.371:
	v_cmp_eq_u16_e32 vcc, 46, v16
	s_mov_b64 s[8:9], -1
	s_cbranch_vccz .LBB31_373
; %bb.372:
	global_store_dword v[6:7], v12, off
	s_mov_b64 s[8:9], 0
.LBB31_373:
	s_mov_b64 s[10:11], 0
.LBB31_374:
	s_and_b64 vcc, exec, s[10:11]
	s_cbranch_vccz .LBB31_377
; %bb.375:
	v_cmp_eq_u16_e32 vcc, 44, v16
	s_mov_b64 s[8:9], -1
	s_cbranch_vccz .LBB31_377
; %bb.376:
	v_mov_b32_e32 v2, 0xff
	v_cndmask_b32_e64 v2, v15, v2, s[6:7]
	global_store_byte v[6:7], v2, off
	s_mov_b64 s[8:9], 0
.LBB31_377:
	s_mov_b64 s[10:11], 0
.LBB31_378:
	s_and_b64 vcc, exec, s[10:11]
	s_cbranch_vccz .LBB31_381
; %bb.379:
	v_cmp_eq_u16_e32 vcc, 29, v16
	s_mov_b64 s[8:9], -1
	s_cbranch_vccz .LBB31_381
; %bb.380:
	v_pk_mov_b32 v[2:3], s[18:19], s[18:19] op_sel:[0,1]
	global_store_dwordx2 v[6:7], v[2:3], off
	s_mov_b64 s[8:9], 0
.LBB31_381:
	s_mov_b64 s[10:11], 0
.LBB31_382:
	s_and_b64 vcc, exec, s[10:11]
	s_cbranch_vccz .LBB31_394
; %bb.383:
	v_cmp_gt_i16_e32 vcc, 27, v16
	s_mov_b64 s[6:7], -1
	s_cbranch_vccnz .LBB31_389
; %bb.384:
	v_cmp_lt_i16_e32 vcc, 27, v16
	s_cbranch_vccz .LBB31_386
; %bb.385:
	v_mov_b32_e32 v2, s18
	s_mov_b64 s[6:7], 0
	global_store_dword v[6:7], v2, off
.LBB31_386:
	s_andn2_b64 vcc, exec, s[6:7]
	s_cbranch_vccnz .LBB31_388
; %bb.387:
	v_mov_b32_e32 v2, s18
	global_store_short v[6:7], v2, off
.LBB31_388:
	s_mov_b64 s[6:7], 0
.LBB31_389:
	s_andn2_b64 vcc, exec, s[6:7]
	s_cbranch_vccnz .LBB31_394
; %bb.390:
	s_andn2_b64 vcc, exec, s[52:53]
	v_mov_b32_e32 v2, 0x80
	s_cbranch_vccnz .LBB31_393
; %bb.391:
	s_or_b64 s[6:7], s[2:3], s[54:55]
	s_andn2_b64 vcc, exec, s[6:7]
	v_mov_b32_e32 v2, 0
	s_cbranch_vccnz .LBB31_393
; %bb.392:
	v_mov_b32_e32 v2, s88
	v_cndmask_b32_e64 v2, v14, v2, s[2:3]
	v_or_b32_e32 v2, v2, v11
.LBB31_393:
	global_store_byte v[6:7], v2, off
.LBB31_394:
	s_mov_b64 s[10:11], 0
.LBB31_395:
	s_mov_b64 s[2:3], 0
	s_and_b64 vcc, exec, s[10:11]
	s_cbranch_vccz .LBB31_417
; %bb.396:
	v_cmp_lt_i16_e32 vcc, 22, v16
	s_mov_b64 s[6:7], -1
	s_cbranch_vccz .LBB31_409
; %bb.397:
	v_cmp_gt_i16_e32 vcc, 24, v16
	s_cbranch_vccnz .LBB31_406
; %bb.398:
	v_cmp_lt_i16_e32 vcc, 24, v16
	s_cbranch_vccz .LBB31_403
; %bb.399:
	s_andn2_b64 vcc, exec, s[48:49]
	v_mov_b32_e32 v2, 0x80
	s_cbranch_vccnz .LBB31_402
; %bb.400:
	s_or_b64 s[6:7], s[0:1], s[50:51]
	s_andn2_b64 vcc, exec, s[6:7]
	v_mov_b32_e32 v2, 0
	s_cbranch_vccnz .LBB31_402
; %bb.401:
	v_mov_b32_e32 v2, s86
	v_cndmask_b32_e64 v2, v13, v2, s[0:1]
	v_or_b32_e32 v2, v2, v11
.LBB31_402:
	s_mov_b64 s[6:7], 0
	global_store_byte v[6:7], v2, off
.LBB31_403:
	s_and_b64 vcc, exec, s[6:7]
	s_cbranch_vccz .LBB31_405
; %bb.404:
	s_and_b64 s[0:1], s[46:47], exec
	s_cselect_b32 s6, s85, s84
	s_and_b64 s[0:1], s[44:45], exec
	s_cselect_b32 s0, s87, s6
	v_or_b32_e32 v2, s0, v11
	global_store_byte v[6:7], v2, off
.LBB31_405:
	s_mov_b64 s[6:7], 0
.LBB31_406:
	s_andn2_b64 vcc, exec, s[6:7]
	s_cbranch_vccnz .LBB31_408
; %bb.407:
	s_and_b64 s[0:1], s[42:43], exec
	s_cselect_b32 s6, s82, s81
	s_and_b64 s[0:1], s[40:41], exec
	s_cselect_b32 s0, s83, s6
	v_or_b32_e32 v2, s0, v11
	global_store_byte v[6:7], v2, off
.LBB31_408:
	s_mov_b64 s[6:7], 0
.LBB31_409:
	s_andn2_b64 vcc, exec, s[6:7]
	s_mov_b64 s[0:1], 0
	s_cbranch_vccnz .LBB31_418
; %bb.410:
	v_cmp_lt_i16_e32 vcc, 14, v16
	s_mov_b64 s[6:7], -1
	s_cbranch_vccz .LBB31_414
; %bb.411:
	v_cmp_eq_u16_e32 vcc, 15, v16
	s_mov_b64 s[8:9], -1
	s_cbranch_vccz .LBB31_413
; %bb.412:
	global_store_short v[6:7], v12, off
	s_mov_b64 s[8:9], 0
.LBB31_413:
	s_mov_b64 s[6:7], 0
.LBB31_414:
	s_and_b64 vcc, exec, s[6:7]
	s_cbranch_vccz .LBB31_418
; %bb.415:
	v_cmp_ne_u16_e32 vcc, 11, v16
	s_andn2_b64 s[6:7], s[8:9], exec
	s_and_b64 s[8:9], vcc, exec
	s_mov_b64 s[0:1], -1
	s_or_b64 s[8:9], s[6:7], s[8:9]
	s_branch .LBB31_418
.LBB31_416:
	s_mov_b64 s[0:1], 0
	s_mov_b64 s[2:3], -1
	s_mov_b64 s[8:9], s[76:77]
	s_branch .LBB31_418
.LBB31_417:
	s_mov_b64 s[0:1], 0
.LBB31_418:
	s_and_b64 s[14:15], s[2:3], exec
	s_and_b64 s[10:11], s[0:1], exec
	s_andn2_b64 s[0:1], s[76:77], exec
	s_and_b64 s[2:3], s[8:9], exec
	s_or_b64 s[12:13], s[0:1], s[2:3]
.LBB31_419:
	s_or_b64 exec, exec, s[78:79]
	s_andn2_b64 s[0:1], s[76:77], exec
	s_and_b64 s[2:3], s[12:13], exec
	s_and_b64 s[14:15], s[14:15], exec
	;; [unrolled: 1-line block ×3, first 2 shown]
	s_or_b64 s[76:77], s[0:1], s[2:3]
.LBB31_420:
	s_or_b64 exec, exec, s[74:75]
	s_andn2_b64 s[0:1], s[70:71], exec
	s_and_b64 s[2:3], s[76:77], exec
	s_and_b64 s[12:13], s[14:15], exec
	;; [unrolled: 1-line block ×3, first 2 shown]
	s_or_b64 s[70:71], s[0:1], s[2:3]
.LBB31_421:
	s_or_b64 exec, exec, s[72:73]
	s_andn2_b64 s[0:1], s[66:67], exec
	s_and_b64 s[2:3], s[70:71], exec
	s_and_b64 s[8:9], s[12:13], exec
	;; [unrolled: 1-line block ×3, first 2 shown]
	s_or_b64 s[66:67], s[0:1], s[2:3]
	s_or_b64 exec, exec, s[68:69]
	s_mov_b64 s[0:1], 0
	s_and_saveexec_b64 s[2:3], s[66:67]
	s_cbranch_execz .LBB31_122
.LBB31_422:
	s_mov_b64 s[0:1], exec
	s_andn2_b64 s[72:73], s[72:73], exec
	s_trap 2
	s_or_b64 exec, exec, s[2:3]
	s_and_saveexec_b64 s[2:3], s[72:73]
	s_xor_b64 s[2:3], exec, s[2:3]
	s_cbranch_execnz .LBB31_123
.LBB31_423:
	s_or_b64 exec, exec, s[2:3]
	s_and_saveexec_b64 s[2:3], s[8:9]
	s_xor_b64 s[2:3], exec, s[2:3]
	s_cbranch_execz .LBB31_461
.LBB31_424:
	v_cmp_gt_i16_e32 vcc, 5, v16
	s_mov_b64 s[6:7], -1
	s_cbranch_vccnz .LBB31_445
; %bb.425:
	v_cmp_gt_i16_e32 vcc, 8, v16
	s_cbranch_vccnz .LBB31_435
; %bb.426:
	v_cmp_gt_i16_e32 vcc, 9, v16
	s_cbranch_vccnz .LBB31_432
; %bb.427:
	v_cmp_lt_i16_e32 vcc, 9, v16
	s_cbranch_vccz .LBB31_429
; %bb.428:
	v_mov_b32_e32 v2, 0
	v_mov_b32_e32 v3, v2
	s_mov_b64 s[6:7], 0
	global_store_dwordx4 v[6:7], v[0:3], off
.LBB31_429:
	s_andn2_b64 vcc, exec, s[6:7]
	s_cbranch_vccnz .LBB31_431
; %bb.430:
	v_mov_b32_e32 v5, 0
	global_store_dwordx2 v[6:7], v[4:5], off
.LBB31_431:
	s_mov_b64 s[6:7], 0
.LBB31_432:
	s_andn2_b64 vcc, exec, s[6:7]
	s_cbranch_vccnz .LBB31_434
; %bb.433:
	global_store_dword v[6:7], v8, off
.LBB31_434:
	s_mov_b64 s[6:7], 0
.LBB31_435:
	s_andn2_b64 vcc, exec, s[6:7]
	s_cbranch_vccnz .LBB31_444
; %bb.436:
	v_cmp_gt_i16_e32 vcc, 6, v16
	s_mov_b64 s[6:7], -1
	s_cbranch_vccnz .LBB31_442
; %bb.437:
	v_cmp_lt_i16_e32 vcc, 6, v16
	s_cbranch_vccz .LBB31_439
; %bb.438:
	s_mov_b64 s[6:7], 0
	global_store_dwordx2 v[6:7], v[0:1], off
.LBB31_439:
	s_andn2_b64 vcc, exec, s[6:7]
	s_cbranch_vccnz .LBB31_441
; %bb.440:
	global_store_dword v[6:7], v4, off
.LBB31_441:
	s_mov_b64 s[6:7], 0
.LBB31_442:
	s_andn2_b64 vcc, exec, s[6:7]
	s_cbranch_vccnz .LBB31_444
; %bb.443:
	global_store_short v[6:7], v8, off
.LBB31_444:
	s_mov_b64 s[6:7], 0
.LBB31_445:
	s_andn2_b64 vcc, exec, s[6:7]
	s_cbranch_vccnz .LBB31_461
; %bb.446:
	v_cmp_gt_i16_e32 vcc, 2, v16
	s_mov_b64 s[6:7], -1
	s_cbranch_vccnz .LBB31_456
; %bb.447:
	v_cmp_gt_i16_e32 vcc, 3, v16
	s_cbranch_vccnz .LBB31_453
; %bb.448:
	v_cmp_lt_i16_e32 vcc, 3, v16
	s_cbranch_vccz .LBB31_450
; %bb.449:
	v_pk_mov_b32 v[0:1], s[18:19], s[18:19] op_sel:[0,1]
	s_mov_b64 s[6:7], 0
	global_store_dwordx2 v[6:7], v[0:1], off
.LBB31_450:
	s_andn2_b64 vcc, exec, s[6:7]
	s_cbranch_vccnz .LBB31_452
; %bb.451:
	v_mov_b32_e32 v0, s18
	global_store_dword v[6:7], v0, off
.LBB31_452:
	s_mov_b64 s[6:7], 0
.LBB31_453:
	s_andn2_b64 vcc, exec, s[6:7]
	s_cbranch_vccnz .LBB31_455
; %bb.454:
	v_mov_b32_e32 v0, s18
	global_store_short v[6:7], v0, off
.LBB31_455:
	s_mov_b64 s[6:7], 0
.LBB31_456:
	s_andn2_b64 vcc, exec, s[6:7]
	s_cbranch_vccnz .LBB31_461
; %bb.457:
	v_cmp_lt_i16_e32 vcc, 0, v16
	s_mov_b64 s[6:7], -1
	s_cbranch_vccz .LBB31_459
; %bb.458:
	v_mov_b32_e32 v0, s18
	s_mov_b64 s[6:7], 0
	global_store_byte v[6:7], v0, off
.LBB31_459:
	s_andn2_b64 vcc, exec, s[6:7]
	s_cbranch_vccnz .LBB31_461
; %bb.460:
	v_mov_b32_e32 v0, s18
	global_store_byte v[6:7], v0, off
.LBB31_461:
	s_or_b64 exec, exec, s[2:3]
	s_and_b64 s[6:7], s[0:1], exec
                                        ; implicit-def: $vgpr8
                                        ; implicit-def: $vgpr9
.LBB31_462:
	s_or_saveexec_b64 s[24:25], s[38:39]
	s_mov_b64 s[0:1], 0
                                        ; implicit-def: $sgpr18
                                        ; implicit-def: $vgpr0_vgpr1
                                        ; implicit-def: $sgpr2_sgpr3
	s_xor_b64 exec, exec, s[24:25]
	s_cbranch_execz .LBB31_951
; %bb.463:
	v_cndmask_b32_e64 v0, 0, 1, s[36:37]
	v_cmp_ne_u32_e64 s[0:1], 1, v0
	s_andn2_b64 vcc, exec, s[36:37]
	s_cbranch_vccnz .LBB31_469
; %bb.464:
	s_mov_b32 s28, 0
	s_cmp_eq_u32 s33, 0
	v_mov_b32_e32 v6, 0
	s_cbranch_scc1 .LBB31_473
; %bb.465:
	s_min_u32 s29, s80, 15
	s_add_i32 s29, s29, 1
	s_cmp_eq_u32 s80, 2
	v_mov_b32_e32 v6, 0
	s_cbranch_scc1 .LBB31_470
; %bb.466:
	s_add_u32 s2, s4, 0xc4
	s_addc_u32 s3, s5, 0
	s_and_b32 s28, s29, 28
	s_mov_b32 s30, 0
	v_mov_b32_e32 v6, 0
	s_mov_b64 s[26:27], s[4:5]
	v_mov_b32_e32 v0, v9
.LBB31_467:                             ; =>This Inner Loop Header: Depth=1
	s_load_dwordx8 s[8:15], s[26:27], 0x4
	s_load_dwordx4 s[16:19], s[26:27], 0x24
	s_waitcnt lgkmcnt(0)
	s_load_dwordx4 s[20:23], s[2:3], 0x0
	s_add_u32 s26, s26, 48
	s_addc_u32 s27, s27, 0
	v_mul_hi_u32 v1, s9, v0
	v_add_u32_e32 v1, v0, v1
	v_lshrrev_b32_e32 v1, s10, v1
	v_mul_lo_u32 v2, v1, s8
	v_mul_hi_u32 v3, s12, v1
	v_sub_u32_e32 v0, v0, v2
	v_add_u32_e32 v2, v1, v3
	v_lshrrev_b32_e32 v2, s13, v2
	v_mul_lo_u32 v3, v2, s11
	v_mul_hi_u32 v4, s15, v2
	v_sub_u32_e32 v1, v1, v3
	v_add_u32_e32 v3, v2, v4
	s_waitcnt lgkmcnt(0)
	v_mul_lo_u32 v0, v0, s20
	v_mul_lo_u32 v1, v1, s21
	v_lshrrev_b32_e32 v3, s16, v3
	v_add3_u32 v1, v0, v6, v1
	v_mul_lo_u32 v0, v3, s14
	v_mul_hi_u32 v4, s18, v3
	v_sub_u32_e32 v0, v2, v0
	v_add_u32_e32 v2, v3, v4
	v_mul_lo_u32 v4, v0, s22
	v_lshrrev_b32_e32 v0, s19, v2
	s_add_i32 s30, s30, 4
	v_mul_lo_u32 v2, v0, s17
	s_add_u32 s2, s2, 16
	v_sub_u32_e32 v2, v3, v2
	s_addc_u32 s3, s3, 0
	v_mul_lo_u32 v2, v2, s23
	s_cmp_lg_u32 s28, s30
	v_add3_u32 v6, v4, v1, v2
	s_cbranch_scc1 .LBB31_467
; %bb.468:
	s_and_b32 s10, s29, 3
	s_cmp_eq_u32 s10, 0
	s_cbranch_scc0 .LBB31_471
	s_branch .LBB31_473
.LBB31_469:
                                        ; implicit-def: $vgpr6
	s_branch .LBB31_474
.LBB31_470:
	v_mov_b32_e32 v0, v9
	s_and_b32 s10, s29, 3
	s_cmp_eq_u32 s10, 0
	s_cbranch_scc1 .LBB31_473
.LBB31_471:
	s_lshl_b32 s2, s28, 2
	s_add_u32 s2, s2, s4
	s_addc_u32 s3, 0, s5
	s_add_u32 s2, s2, 0xc4
	s_addc_u32 s3, s3, 0
	s_mul_i32 s8, s28, 12
	s_add_u32 s8, s4, s8
	s_addc_u32 s9, 0, s5
.LBB31_472:                             ; =>This Inner Loop Header: Depth=1
	s_load_dwordx2 s[12:13], s[8:9], 0x4
	s_load_dword s11, s[8:9], 0xc
	s_load_dword s14, s[2:3], 0x0
	s_add_u32 s8, s8, 12
	s_addc_u32 s9, s9, 0
	s_waitcnt lgkmcnt(0)
	v_mul_hi_u32 v1, s13, v0
	v_add_u32_e32 v1, v0, v1
	v_lshrrev_b32_e32 v1, s11, v1
	s_add_u32 s2, s2, 4
	v_mul_lo_u32 v2, v1, s12
	s_addc_u32 s3, s3, 0
	s_add_i32 s10, s10, -1
	v_sub_u32_e32 v2, v0, v2
	s_cmp_lg_u32 s10, 0
	v_mov_b32_e32 v0, v1
	v_mad_u64_u32 v[6:7], s[12:13], v2, s14, v[6:7]
	s_cbranch_scc1 .LBB31_472
.LBB31_473:
	s_cbranch_execnz .LBB31_476
.LBB31_474:
	s_load_dwordx4 s[8:11], s[4:5], 0x4
	s_load_dword s2, s[4:5], 0xc4
	s_cmp_lt_u32 s33, 2
	s_waitcnt lgkmcnt(0)
	v_mul_hi_u32 v0, s9, v9
	v_add_u32_e32 v0, v9, v0
	v_lshrrev_b32_e32 v0, s10, v0
	v_mul_lo_u32 v1, v0, s8
	v_sub_u32_e32 v1, v9, v1
	v_mul_lo_u32 v6, v1, s2
	s_cbranch_scc1 .LBB31_476
; %bb.475:
	s_load_dwordx4 s[8:11], s[4:5], 0x10
	s_load_dword s2, s[4:5], 0xc8
	s_waitcnt lgkmcnt(0)
	v_mul_hi_u32 v1, s9, v0
	v_add_u32_e32 v1, v0, v1
	v_lshrrev_b32_e32 v1, s10, v1
	v_mul_lo_u32 v1, v1, s8
	v_sub_u32_e32 v0, v0, v1
	v_mad_u64_u32 v[6:7], s[2:3], v0, s2, v[6:7]
.LBB31_476:
	s_and_b64 vcc, exec, s[0:1]
	v_add_u32_e32 v0, 0x80, v9
	s_cbranch_vccnz .LBB31_482
; %bb.477:
	s_mov_b32 s28, 0
	s_cmp_eq_u32 s33, 0
	v_mov_b32_e32 v4, 0
	s_cbranch_scc1 .LBB31_486
; %bb.478:
	s_min_u32 s29, s80, 15
	s_add_i32 s29, s29, 1
	s_cmp_eq_u32 s80, 2
	v_mov_b32_e32 v4, 0
	s_cbranch_scc1 .LBB31_483
; %bb.479:
	s_add_u32 s2, s4, 0xc4
	s_addc_u32 s3, s5, 0
	s_and_b32 s28, s29, 28
	s_mov_b32 s30, 0
	v_mov_b32_e32 v4, 0
	s_mov_b64 s[26:27], s[4:5]
	v_mov_b32_e32 v1, v0
.LBB31_480:                             ; =>This Inner Loop Header: Depth=1
	s_load_dwordx8 s[8:15], s[26:27], 0x4
	s_load_dwordx4 s[16:19], s[26:27], 0x24
	s_waitcnt lgkmcnt(0)
	s_load_dwordx4 s[20:23], s[2:3], 0x0
	s_add_u32 s26, s26, 48
	s_addc_u32 s27, s27, 0
	v_mul_hi_u32 v2, s9, v1
	v_add_u32_e32 v2, v1, v2
	v_lshrrev_b32_e32 v2, s10, v2
	v_mul_lo_u32 v3, v2, s8
	v_mul_hi_u32 v5, s12, v2
	v_sub_u32_e32 v1, v1, v3
	v_add_u32_e32 v3, v2, v5
	v_lshrrev_b32_e32 v3, s13, v3
	v_mul_lo_u32 v5, v3, s11
	v_mul_hi_u32 v7, s15, v3
	v_sub_u32_e32 v2, v2, v5
	v_add_u32_e32 v5, v3, v7
	s_waitcnt lgkmcnt(0)
	v_mul_lo_u32 v1, v1, s20
	v_mul_lo_u32 v2, v2, s21
	v_lshrrev_b32_e32 v5, s16, v5
	v_add3_u32 v2, v1, v4, v2
	v_mul_lo_u32 v1, v5, s14
	v_mul_hi_u32 v4, s18, v5
	v_sub_u32_e32 v1, v3, v1
	v_add_u32_e32 v3, v5, v4
	v_mul_lo_u32 v4, v1, s22
	v_lshrrev_b32_e32 v1, s19, v3
	s_add_i32 s30, s30, 4
	v_mul_lo_u32 v3, v1, s17
	s_add_u32 s2, s2, 16
	v_sub_u32_e32 v3, v5, v3
	s_addc_u32 s3, s3, 0
	v_mul_lo_u32 v3, v3, s23
	s_cmp_lg_u32 s28, s30
	v_add3_u32 v4, v4, v2, v3
	s_cbranch_scc1 .LBB31_480
; %bb.481:
	s_and_b32 s10, s29, 3
	s_cmp_eq_u32 s10, 0
	s_cbranch_scc0 .LBB31_484
	s_branch .LBB31_486
.LBB31_482:
                                        ; implicit-def: $vgpr4
	s_branch .LBB31_487
.LBB31_483:
	v_mov_b32_e32 v1, v0
	s_and_b32 s10, s29, 3
	s_cmp_eq_u32 s10, 0
	s_cbranch_scc1 .LBB31_486
.LBB31_484:
	s_lshl_b32 s2, s28, 2
	s_add_u32 s2, s2, s4
	s_addc_u32 s3, 0, s5
	s_add_u32 s2, s2, 0xc4
	s_addc_u32 s3, s3, 0
	s_mul_i32 s8, s28, 12
	s_add_u32 s8, s4, s8
	s_addc_u32 s9, 0, s5
.LBB31_485:                             ; =>This Inner Loop Header: Depth=1
	s_load_dwordx2 s[12:13], s[8:9], 0x4
	s_load_dword s11, s[8:9], 0xc
	s_load_dword s14, s[2:3], 0x0
	s_add_u32 s8, s8, 12
	s_addc_u32 s9, s9, 0
	s_waitcnt lgkmcnt(0)
	v_mul_hi_u32 v2, s13, v1
	v_add_u32_e32 v2, v1, v2
	v_lshrrev_b32_e32 v2, s11, v2
	s_add_u32 s2, s2, 4
	v_mul_lo_u32 v3, v2, s12
	s_addc_u32 s3, s3, 0
	s_add_i32 s10, s10, -1
	v_sub_u32_e32 v3, v1, v3
	s_cmp_lg_u32 s10, 0
	v_mov_b32_e32 v1, v2
	v_mad_u64_u32 v[4:5], s[12:13], v3, s14, v[4:5]
	s_cbranch_scc1 .LBB31_485
.LBB31_486:
	s_cbranch_execnz .LBB31_489
.LBB31_487:
	s_load_dwordx4 s[8:11], s[4:5], 0x4
	s_load_dword s2, s[4:5], 0xc4
	s_cmp_lt_u32 s33, 2
	s_waitcnt lgkmcnt(0)
	v_mul_hi_u32 v1, s9, v0
	v_add_u32_e32 v1, v0, v1
	v_lshrrev_b32_e32 v1, s10, v1
	v_mul_lo_u32 v2, v1, s8
	v_sub_u32_e32 v0, v0, v2
	v_mul_lo_u32 v4, v0, s2
	s_cbranch_scc1 .LBB31_489
; %bb.488:
	s_load_dwordx4 s[8:11], s[4:5], 0x10
	s_load_dword s2, s[4:5], 0xc8
	s_waitcnt lgkmcnt(0)
	v_mul_hi_u32 v0, s9, v1
	v_add_u32_e32 v0, v1, v0
	v_lshrrev_b32_e32 v0, s10, v0
	v_mul_lo_u32 v0, v0, s8
	v_sub_u32_e32 v0, v1, v0
	v_mad_u64_u32 v[4:5], s[2:3], v0, s2, v[4:5]
.LBB31_489:
	s_and_b64 vcc, exec, s[0:1]
	v_add_u32_e32 v0, 0x100, v9
	s_cbranch_vccnz .LBB31_495
; %bb.490:
	s_mov_b32 s28, 0
	s_cmp_eq_u32 s33, 0
	v_mov_b32_e32 v2, 0
	s_cbranch_scc1 .LBB31_499
; %bb.491:
	s_min_u32 s29, s80, 15
	s_add_i32 s29, s29, 1
	s_cmp_eq_u32 s80, 2
	v_mov_b32_e32 v2, 0
	s_cbranch_scc1 .LBB31_496
; %bb.492:
	s_add_u32 s2, s4, 0xc4
	s_addc_u32 s3, s5, 0
	s_and_b32 s28, s29, 28
	s_mov_b32 s30, 0
	v_mov_b32_e32 v2, 0
	s_mov_b64 s[26:27], s[4:5]
	v_mov_b32_e32 v1, v0
.LBB31_493:                             ; =>This Inner Loop Header: Depth=1
	s_load_dwordx8 s[8:15], s[26:27], 0x4
	s_load_dwordx4 s[16:19], s[26:27], 0x24
	s_waitcnt lgkmcnt(0)
	s_load_dwordx4 s[20:23], s[2:3], 0x0
	s_add_u32 s26, s26, 48
	s_addc_u32 s27, s27, 0
	v_mul_hi_u32 v3, s9, v1
	v_add_u32_e32 v3, v1, v3
	v_lshrrev_b32_e32 v3, s10, v3
	v_mul_lo_u32 v5, v3, s8
	v_mul_hi_u32 v7, s12, v3
	v_sub_u32_e32 v1, v1, v5
	v_add_u32_e32 v5, v3, v7
	v_lshrrev_b32_e32 v5, s13, v5
	v_mul_lo_u32 v7, v5, s11
	v_mul_hi_u32 v9, s15, v5
	v_sub_u32_e32 v3, v3, v7
	v_add_u32_e32 v7, v5, v9
	s_waitcnt lgkmcnt(0)
	v_mul_lo_u32 v1, v1, s20
	v_mul_lo_u32 v3, v3, s21
	v_lshrrev_b32_e32 v7, s16, v7
	v_add3_u32 v2, v1, v2, v3
	v_mul_lo_u32 v1, v7, s14
	v_mul_hi_u32 v3, s18, v7
	v_sub_u32_e32 v1, v5, v1
	v_add_u32_e32 v3, v7, v3
	v_mul_lo_u32 v5, v1, s22
	v_lshrrev_b32_e32 v1, s19, v3
	s_add_i32 s30, s30, 4
	v_mul_lo_u32 v3, v1, s17
	s_add_u32 s2, s2, 16
	v_sub_u32_e32 v3, v7, v3
	s_addc_u32 s3, s3, 0
	v_mul_lo_u32 v3, v3, s23
	s_cmp_lg_u32 s28, s30
	v_add3_u32 v2, v5, v2, v3
	s_cbranch_scc1 .LBB31_493
; %bb.494:
	s_and_b32 s10, s29, 3
	s_cmp_eq_u32 s10, 0
	s_cbranch_scc0 .LBB31_497
	s_branch .LBB31_499
.LBB31_495:
                                        ; implicit-def: $vgpr2
	s_branch .LBB31_500
.LBB31_496:
	v_mov_b32_e32 v1, v0
	s_and_b32 s10, s29, 3
	s_cmp_eq_u32 s10, 0
	s_cbranch_scc1 .LBB31_499
.LBB31_497:
	s_lshl_b32 s2, s28, 2
	s_add_u32 s2, s2, s4
	s_addc_u32 s3, 0, s5
	s_add_u32 s2, s2, 0xc4
	s_addc_u32 s3, s3, 0
	s_mul_i32 s8, s28, 12
	s_add_u32 s8, s4, s8
	s_addc_u32 s9, 0, s5
.LBB31_498:                             ; =>This Inner Loop Header: Depth=1
	s_load_dwordx2 s[12:13], s[8:9], 0x4
	s_load_dword s11, s[8:9], 0xc
	s_load_dword s14, s[2:3], 0x0
	s_add_u32 s8, s8, 12
	s_addc_u32 s9, s9, 0
	s_waitcnt lgkmcnt(0)
	v_mul_hi_u32 v3, s13, v1
	v_add_u32_e32 v3, v1, v3
	v_lshrrev_b32_e32 v3, s11, v3
	s_add_u32 s2, s2, 4
	v_mul_lo_u32 v5, v3, s12
	s_addc_u32 s3, s3, 0
	s_add_i32 s10, s10, -1
	v_sub_u32_e32 v5, v1, v5
	s_cmp_lg_u32 s10, 0
	v_mov_b32_e32 v1, v3
	v_mad_u64_u32 v[2:3], s[12:13], v5, s14, v[2:3]
	s_cbranch_scc1 .LBB31_498
.LBB31_499:
	s_cbranch_execnz .LBB31_502
.LBB31_500:
	s_load_dwordx4 s[8:11], s[4:5], 0x4
	s_load_dword s2, s[4:5], 0xc4
	s_cmp_lt_u32 s33, 2
	s_waitcnt lgkmcnt(0)
	v_mul_hi_u32 v1, s9, v0
	v_add_u32_e32 v1, v0, v1
	v_lshrrev_b32_e32 v1, s10, v1
	v_mul_lo_u32 v2, v1, s8
	v_sub_u32_e32 v0, v0, v2
	v_mul_lo_u32 v2, v0, s2
	s_cbranch_scc1 .LBB31_502
; %bb.501:
	s_load_dwordx4 s[8:11], s[4:5], 0x10
	s_load_dword s2, s[4:5], 0xc8
	s_waitcnt lgkmcnt(0)
	v_mul_hi_u32 v0, s9, v1
	v_add_u32_e32 v0, v1, v0
	v_lshrrev_b32_e32 v0, s10, v0
	v_mul_lo_u32 v0, v0, s8
	v_sub_u32_e32 v0, v1, v0
	v_mad_u64_u32 v[2:3], s[2:3], v0, s2, v[2:3]
.LBB31_502:
	s_and_b64 vcc, exec, s[0:1]
	s_cbranch_vccnz .LBB31_508
; %bb.503:
	s_mov_b32 s26, 0
	s_cmp_eq_u32 s33, 0
	v_mov_b32_e32 v0, 0
	s_cbranch_scc1 .LBB31_512
; %bb.504:
	s_min_u32 s27, s80, 15
	s_add_i32 s27, s27, 1
	s_cmp_eq_u32 s80, 2
	v_mov_b32_e32 v0, 0
	s_cbranch_scc1 .LBB31_509
; %bb.505:
	s_waitcnt lgkmcnt(0)
	s_add_u32 s20, s4, 0xc4
	s_addc_u32 s21, s5, 0
	s_and_b32 s26, s27, 28
	s_mov_b32 s28, 0
	v_mov_b32_e32 v0, 0
	s_mov_b64 s[22:23], s[4:5]
	v_mov_b32_e32 v3, v8
.LBB31_506:                             ; =>This Inner Loop Header: Depth=1
	s_load_dwordx8 s[8:15], s[22:23], 0x4
	s_load_dwordx4 s[0:3], s[22:23], 0x24
	s_load_dwordx4 s[16:19], s[20:21], 0x0
	s_add_u32 s22, s22, 48
	s_addc_u32 s23, s23, 0
	s_waitcnt lgkmcnt(0)
	v_mul_hi_u32 v1, s9, v3
	v_add_u32_e32 v1, v3, v1
	v_lshrrev_b32_e32 v1, s10, v1
	v_mul_lo_u32 v5, v1, s8
	v_mul_hi_u32 v7, s12, v1
	v_sub_u32_e32 v3, v3, v5
	v_add_u32_e32 v5, v1, v7
	v_lshrrev_b32_e32 v5, s13, v5
	v_mul_lo_u32 v7, v5, s11
	v_mul_hi_u32 v9, s15, v5
	v_sub_u32_e32 v1, v1, v7
	v_add_u32_e32 v7, v5, v9
	v_mul_lo_u32 v3, v3, s16
	v_mul_lo_u32 v1, v1, s17
	v_lshrrev_b32_e32 v7, s0, v7
	v_add3_u32 v0, v3, v0, v1
	v_mul_hi_u32 v3, s2, v7
	v_add_u32_e32 v3, v7, v3
	v_mul_lo_u32 v1, v7, s14
	v_lshrrev_b32_e32 v3, s3, v3
	s_add_i32 s28, s28, 4
	v_sub_u32_e32 v1, v5, v1
	v_mul_lo_u32 v5, v3, s1
	s_add_u32 s20, s20, 16
	v_sub_u32_e32 v5, v7, v5
	s_addc_u32 s21, s21, 0
	v_mul_lo_u32 v1, v1, s18
	v_mul_lo_u32 v5, v5, s19
	s_cmp_lg_u32 s26, s28
	v_add3_u32 v0, v1, v0, v5
	s_cbranch_scc1 .LBB31_506
; %bb.507:
	s_and_b32 s8, s27, 3
	s_cmp_eq_u32 s8, 0
	s_cbranch_scc0 .LBB31_510
	s_branch .LBB31_512
.LBB31_508:
                                        ; implicit-def: $vgpr0
	s_branch .LBB31_513
.LBB31_509:
	v_mov_b32_e32 v3, v8
	s_and_b32 s8, s27, 3
	s_cmp_eq_u32 s8, 0
	s_cbranch_scc1 .LBB31_512
.LBB31_510:
	s_lshl_b32 s0, s26, 2
	s_add_u32 s0, s0, s4
	s_addc_u32 s1, 0, s5
	s_add_u32 s0, s0, 0xc4
	s_addc_u32 s1, s1, 0
	s_mul_i32 s2, s26, 12
	s_add_u32 s2, s4, s2
	s_addc_u32 s3, 0, s5
.LBB31_511:                             ; =>This Inner Loop Header: Depth=1
	s_load_dwordx2 s[10:11], s[2:3], 0x4
	s_load_dword s9, s[2:3], 0xc
	s_load_dword s12, s[0:1], 0x0
	s_add_u32 s2, s2, 12
	s_addc_u32 s3, s3, 0
	s_waitcnt lgkmcnt(0)
	v_mul_hi_u32 v1, s11, v3
	v_add_u32_e32 v1, v3, v1
	v_lshrrev_b32_e32 v1, s9, v1
	s_add_u32 s0, s0, 4
	v_mul_lo_u32 v5, v1, s10
	s_addc_u32 s1, s1, 0
	s_add_i32 s8, s8, -1
	v_sub_u32_e32 v5, v3, v5
	s_cmp_lg_u32 s8, 0
	v_mov_b32_e32 v3, v1
	v_mad_u64_u32 v[0:1], s[10:11], v5, s12, v[0:1]
	s_cbranch_scc1 .LBB31_511
.LBB31_512:
	s_cbranch_execnz .LBB31_515
.LBB31_513:
	s_load_dwordx4 s[0:3], s[4:5], 0x4
	s_waitcnt lgkmcnt(0)
	s_load_dword s3, s[4:5], 0xc4
	s_cmp_lt_u32 s33, 2
	v_mul_hi_u32 v0, s1, v8
	v_add_u32_e32 v0, v8, v0
	v_lshrrev_b32_e32 v1, s2, v0
	v_mul_lo_u32 v0, v1, s0
	v_sub_u32_e32 v0, v8, v0
	s_waitcnt lgkmcnt(0)
	v_mul_lo_u32 v0, v0, s3
	s_cbranch_scc1 .LBB31_515
; %bb.514:
	s_load_dwordx4 s[0:3], s[4:5], 0x10
	s_waitcnt lgkmcnt(0)
	s_load_dword s3, s[4:5], 0xc8
	v_mul_hi_u32 v3, s1, v1
	v_add_u32_e32 v3, v1, v3
	v_lshrrev_b32_e32 v3, s2, v3
	v_mul_lo_u32 v3, v3, s0
	v_sub_u32_e32 v1, v1, v3
	s_waitcnt lgkmcnt(0)
	v_mad_u64_u32 v[0:1], s[0:1], v1, s3, v[0:1]
.LBB31_515:
	s_load_dwordx4 s[0:3], s[4:5], 0x108
	s_load_dword s8, s[4:5], 0x118
	s_waitcnt lgkmcnt(0)
	v_mov_b32_e32 v1, s1
	v_add_co_u32_e32 v6, vcc, s0, v6
	s_and_b32 s18, s8, 0xff
	v_addc_co_u32_e32 v7, vcc, 0, v1, vcc
	v_cmp_lt_i16_e64 s[8:9], s18, 11
	s_and_b64 vcc, exec, s[8:9]
	s_cbranch_vccnz .LBB31_529
; %bb.516:
	v_cmp_gt_i16_e64 s[4:5], s18, 25
	s_mov_b64 s[14:15], -1
	s_mov_b64 s[10:11], 0
	s_and_b64 vcc, exec, s[4:5]
	s_mov_b64 s[12:13], 0
	s_mov_b64 s[4:5], 0
	s_cbranch_vccz .LBB31_554
; %bb.517:
	v_cmp_gt_i16_e64 s[4:5], s18, 28
	s_and_b64 vcc, exec, s[4:5]
	s_cbranch_vccz .LBB31_531
; %bb.518:
	v_cmp_gt_i16_e64 s[4:5], s18, 43
	s_and_b64 vcc, exec, s[4:5]
	;; [unrolled: 4-line block ×3, first 2 shown]
	s_cbranch_vccz .LBB31_522
; %bb.520:
	v_cmp_eq_u16_e64 s[12:13], s18, 46
	s_mov_b64 s[4:5], -1
	s_mov_b64 s[14:15], 0
	s_and_b64 vcc, exec, s[12:13]
	s_mov_b64 s[12:13], 0
	s_cbranch_vccz .LBB31_523
; %bb.521:
	s_xor_b32 s5, s2, s3
	s_flbit_i32 s4, s3
	s_ashr_i32 s5, s5, 31
	s_add_i32 s4, s4, -1
	s_add_i32 s5, s5, 32
	s_min_u32 s12, s4, s5
	s_lshl_b64 s[4:5], s[2:3], s12
	s_min_u32 s4, s4, 1
	s_or_b32 s4, s5, s4
	v_cvt_f32_i32_e32 v1, s4
	s_sub_i32 s4, 32, s12
	s_mov_b64 s[12:13], -1
	v_ldexp_f32 v1, v1, s4
	v_bfe_u32 v3, v1, 16, 1
	v_add_u32_e32 v1, v1, v3
	v_add_u32_e32 v1, 0x7fff, v1
	v_lshrrev_b32_e32 v1, 16, v1
	global_store_dword v[6:7], v1, off
.LBB31_522:
	s_mov_b64 s[4:5], 0
.LBB31_523:
	s_and_b64 vcc, exec, s[14:15]
	s_cbranch_vccz .LBB31_528
; %bb.524:
	v_cmp_eq_u16_e64 s[14:15], s18, 44
	s_mov_b64 s[4:5], -1
	s_and_b64 vcc, exec, s[14:15]
	s_cbranch_vccz .LBB31_528
; %bb.525:
	s_xor_b32 s5, s2, s3
	s_flbit_i32 s4, s3
	s_ashr_i32 s5, s5, 31
	s_add_i32 s4, s4, -1
	s_add_i32 s5, s5, 32
	s_min_u32 s12, s4, s5
	s_lshl_b64 s[4:5], s[2:3], s12
	s_min_u32 s4, s4, 1
	s_or_b32 s4, s5, s4
	v_cvt_f32_i32_e32 v1, s4
	s_sub_i32 s4, 32, s12
	v_mov_b32_e32 v3, 0xff
	v_ldexp_f32 v1, v1, s4
	v_readfirstlane_b32 s4, v1
	s_bfe_u32 s5, s4, 0x80017
	s_cmpk_eq_i32 s5, 0xff
	s_cbranch_scc1 .LBB31_527
; %bb.526:
	s_bitcmp1_b32 s4, 22
	s_cselect_b64 s[12:13], -1, 0
	s_and_b32 s4, s4, 0x3fffff
	s_or_b32 s4, s5, s4
	s_cmp_lg_u32 s4, 0
	s_cselect_b64 s[4:5], -1, 0
	s_and_b64 s[4:5], s[12:13], s[4:5]
	v_lshrrev_b32_e32 v1, 23, v1
	v_cndmask_b32_e64 v3, 0, 1, s[4:5]
	v_add_u32_e32 v3, v1, v3
.LBB31_527:
	s_mov_b64 s[4:5], 0
	s_mov_b64 s[12:13], -1
	global_store_byte v[6:7], v3, off
.LBB31_528:
	s_branch .LBB31_535
.LBB31_529:
	s_mov_b64 s[12:13], 0
	s_mov_b64 s[4:5], s[6:7]
	s_cbranch_execnz .LBB31_604
.LBB31_530:
	s_andn2_b64 vcc, exec, s[12:13]
	s_cbranch_vccz .LBB31_642
	s_branch .LBB31_949
.LBB31_531:
	s_mov_b64 s[4:5], 0
	s_and_b64 vcc, exec, s[14:15]
	s_cbranch_vccz .LBB31_553
	s_branch .LBB31_536
.LBB31_532:
	s_mov_b64 s[4:5], 0
	s_and_b64 vcc, exec, s[14:15]
	s_cbranch_vccz .LBB31_535
; %bb.533:
	v_cmp_eq_u16_e64 s[14:15], s18, 29
	s_mov_b64 s[4:5], -1
	s_and_b64 vcc, exec, s[14:15]
	s_cbranch_vccz .LBB31_535
; %bb.534:
	v_pk_mov_b32 v[8:9], s[2:3], s[2:3] op_sel:[0,1]
	global_store_dwordx2 v[6:7], v[8:9], off
	s_mov_b64 s[4:5], 0
	s_mov_b64 s[12:13], -1
.LBB31_535:
	s_branch .LBB31_553
.LBB31_536:
	v_cmp_lt_i16_e64 s[14:15], s18, 27
	s_mov_b64 s[12:13], -1
	s_and_b64 vcc, exec, s[14:15]
	s_cbranch_vccnz .LBB31_542
; %bb.537:
	v_cmp_gt_i16_e64 s[14:15], s18, 27
	s_and_b64 vcc, exec, s[14:15]
	s_cbranch_vccz .LBB31_539
; %bb.538:
	v_mov_b32_e32 v1, s2
	s_mov_b64 s[12:13], 0
	global_store_dword v[6:7], v1, off
.LBB31_539:
	s_andn2_b64 vcc, exec, s[12:13]
	s_cbranch_vccnz .LBB31_541
; %bb.540:
	v_mov_b32_e32 v1, s2
	global_store_short v[6:7], v1, off
.LBB31_541:
	s_mov_b64 s[12:13], 0
.LBB31_542:
	s_andn2_b64 vcc, exec, s[12:13]
	s_cbranch_vccnz .LBB31_552
; %bb.543:
	s_xor_b32 s13, s2, s3
	s_flbit_i32 s12, s3
	s_ashr_i32 s13, s13, 31
	s_add_i32 s12, s12, -1
	s_add_i32 s13, s13, 32
	s_min_u32 s14, s12, s13
	s_lshl_b64 s[12:13], s[2:3], s14
	s_min_u32 s12, s12, 1
	s_or_b32 s12, s13, s12
	v_cvt_f32_i32_e32 v1, s12
	s_sub_i32 s12, 32, s14
	v_mov_b32_e32 v3, 0x80
	v_ldexp_f32 v1, v1, s12
	v_readfirstlane_b32 s16, v1
	s_and_b32 s12, s16, 0x7fffffff
	s_cmp_gt_u32 s12, 0x437fffff
	s_cbranch_scc1 .LBB31_551
; %bb.544:
	s_cmp_gt_u32 s12, 0x3bffffff
	s_cbranch_scc0 .LBB31_546
; %bb.545:
	s_bfe_u32 s12, s16, 0x10014
	s_add_i32 s12, s16, s12
	s_add_i32 s12, s12, 0x487ffff
	s_lshr_b32 s17, s12, 20
	s_mov_b64 s[14:15], 0
	s_mov_b64 s[12:13], -1
	s_branch .LBB31_547
.LBB31_546:
	s_mov_b64 s[14:15], -1
	s_mov_b64 s[12:13], 0
                                        ; implicit-def: $sgpr17
.LBB31_547:
	s_andn2_b64 vcc, exec, s[14:15]
	v_mov_b32_e32 v1, s17
                                        ; implicit-def: $sgpr14
	s_cbranch_vccnz .LBB31_549
; %bb.548:
	v_mov_b32_e32 v1, 0x46000000
	v_add_f32_e64 v1, |s16|, v1
	v_and_b32_e32 v1, 0xff, v1
	s_mov_b32 s14, 0
	v_cmp_ne_u32_e64 s[12:13], 0, v1
.LBB31_549:
	s_andn2_b64 vcc, exec, s[12:13]
	v_mov_b32_e32 v3, s14
	s_cbranch_vccnz .LBB31_551
; %bb.550:
	s_lshr_b32 s12, s16, 24
	s_and_b32 s12, s12, 0x80
	v_or_b32_e32 v3, s12, v1
.LBB31_551:
	global_store_byte v[6:7], v3, off
.LBB31_552:
	s_mov_b64 s[12:13], -1
.LBB31_553:
	s_mov_b64 s[14:15], 0
.LBB31_554:
	s_and_b64 vcc, exec, s[14:15]
	s_cbranch_vccz .LBB31_600
; %bb.555:
	v_cmp_gt_i16_e64 s[14:15], s18, 22
	s_mov_b64 s[10:11], -1
	s_and_b64 vcc, exec, s[14:15]
	s_cbranch_vccz .LBB31_593
; %bb.556:
	v_cmp_lt_i16_e64 s[12:13], s18, 24
	s_and_b64 vcc, exec, s[12:13]
	s_cbranch_vccnz .LBB31_580
; %bb.557:
	v_cmp_gt_i16_e64 s[12:13], s18, 24
	s_and_b64 vcc, exec, s[12:13]
	s_cbranch_vccz .LBB31_567
; %bb.558:
	s_xor_b32 s11, s2, s3
	s_flbit_i32 s10, s3
	s_ashr_i32 s11, s11, 31
	s_add_i32 s10, s10, -1
	s_add_i32 s11, s11, 32
	s_min_u32 s12, s10, s11
	s_lshl_b64 s[10:11], s[2:3], s12
	s_min_u32 s10, s10, 1
	s_or_b32 s10, s11, s10
	v_cvt_f32_i32_e32 v1, s10
	s_sub_i32 s10, 32, s12
	v_mov_b32_e32 v3, 0x80
	v_ldexp_f32 v1, v1, s10
	v_readfirstlane_b32 s14, v1
	s_and_b32 s10, s14, 0x7fffffff
	s_cmp_gt_u32 s10, 0x477fffff
	s_cbranch_scc1 .LBB31_566
; %bb.559:
	s_cmp_gt_u32 s10, 0x37ffffff
	s_cbranch_scc0 .LBB31_561
; %bb.560:
	s_bfe_u32 s10, s14, 0x10015
	s_add_i32 s10, s14, s10
	s_add_i32 s10, s10, 0x88fffff
	s_lshr_b32 s15, s10, 21
	s_mov_b64 s[12:13], 0
	s_mov_b64 s[10:11], -1
	s_branch .LBB31_562
.LBB31_561:
	s_mov_b64 s[12:13], -1
	s_mov_b64 s[10:11], 0
                                        ; implicit-def: $sgpr15
.LBB31_562:
	s_andn2_b64 vcc, exec, s[12:13]
	v_mov_b32_e32 v1, s15
                                        ; implicit-def: $sgpr12
	s_cbranch_vccnz .LBB31_564
; %bb.563:
	v_mov_b32_e32 v1, 0x42800000
	v_add_f32_e64 v1, |s14|, v1
	v_and_b32_e32 v1, 0xff, v1
	s_mov_b32 s12, 0
	v_cmp_ne_u32_e64 s[10:11], 0, v1
.LBB31_564:
	s_andn2_b64 vcc, exec, s[10:11]
	v_mov_b32_e32 v3, s12
	s_cbranch_vccnz .LBB31_566
; %bb.565:
	s_lshr_b32 s10, s14, 24
	s_and_b32 s10, s10, 0x80
	v_or_b32_e32 v3, s10, v1
.LBB31_566:
	s_mov_b64 s[10:11], 0
	global_store_byte v[6:7], v3, off
.LBB31_567:
	s_and_b64 vcc, exec, s[10:11]
	s_cbranch_vccz .LBB31_579
; %bb.568:
	s_xor_b32 s11, s2, s3
	s_flbit_i32 s10, s3
	s_ashr_i32 s11, s11, 31
	s_add_i32 s10, s10, -1
	s_add_i32 s11, s11, 32
	s_min_u32 s12, s10, s11
	s_lshl_b64 s[10:11], s[2:3], s12
	s_min_u32 s10, s10, 1
	s_or_b32 s10, s11, s10
	v_cvt_f32_i32_e32 v1, s10
	s_sub_i32 s10, 32, s12
	v_ldexp_f32 v1, v1, s10
	v_readfirstlane_b32 s12, v1
	s_and_b32 s13, s12, 0x7fffffff
	s_cmp_lt_u32 s13, 0x43f00000
	s_cbranch_scc0 .LBB31_571
; %bb.569:
	s_cmp_gt_u32 s13, 0x3c7fffff
	s_cbranch_scc0 .LBB31_572
; %bb.570:
	s_bfe_u32 s10, s12, 0x10014
	s_add_i32 s10, s12, s10
	s_add_i32 s10, s10, 0x407ffff
	s_lshr_b32 s11, s10, 20
	s_and_b32 s10, s10, 0xff00000
	s_cmp_lg_u32 s10, 0x7f00000
	s_cselect_b32 s14, s11, 0x7e
	s_mov_b64 s[10:11], 0
	s_branch .LBB31_573
.LBB31_571:
	s_mov_b64 s[10:11], -1
                                        ; implicit-def: $vgpr3
	s_branch .LBB31_576
.LBB31_572:
	s_mov_b64 s[10:11], -1
                                        ; implicit-def: $sgpr14
.LBB31_573:
	s_andn2_b64 vcc, exec, s[10:11]
	v_mov_b32_e32 v3, s14
	s_cbranch_vccnz .LBB31_575
; %bb.574:
	s_mov_b32 s10, 0x46800000
	v_add_f32_e64 v3, |v1|, s10
.LBB31_575:
	s_mov_b64 s[10:11], 0
.LBB31_576:
	s_andn2_b64 vcc, exec, s[10:11]
	s_cbranch_vccnz .LBB31_578
; %bb.577:
	s_cmp_gt_u32 s13, 0x7f800000
	s_movk_i32 s10, 0x7f
	s_cselect_b32 s10, s10, 0x7e
	v_mov_b32_e32 v3, s10
.LBB31_578:
	s_lshr_b32 s10, s12, 24
	s_and_b32 s10, s10, 0x80
	v_or_b32_e32 v1, s10, v3
	global_store_byte v[6:7], v1, off
.LBB31_579:
	s_mov_b64 s[10:11], 0
.LBB31_580:
	s_andn2_b64 vcc, exec, s[10:11]
	s_cbranch_vccnz .LBB31_592
; %bb.581:
	s_xor_b32 s11, s2, s3
	s_flbit_i32 s10, s3
	s_ashr_i32 s11, s11, 31
	s_add_i32 s10, s10, -1
	s_add_i32 s11, s11, 32
	s_min_u32 s12, s10, s11
	s_lshl_b64 s[10:11], s[2:3], s12
	s_min_u32 s10, s10, 1
	s_or_b32 s10, s11, s10
	v_cvt_f32_i32_e32 v1, s10
	s_sub_i32 s10, 32, s12
	v_ldexp_f32 v1, v1, s10
	v_readfirstlane_b32 s12, v1
	s_and_b32 s13, s12, 0x7fffffff
	s_cmp_lt_u32 s13, 0x47800000
	s_cbranch_scc0 .LBB31_584
; %bb.582:
	s_cmp_gt_u32 s13, 0x387fffff
	s_cbranch_scc0 .LBB31_585
; %bb.583:
	s_bfe_u32 s10, s12, 0x10015
	s_add_i32 s10, s12, s10
	s_add_i32 s10, s10, 0x80fffff
	s_lshr_b32 s14, s10, 21
	s_mov_b64 s[10:11], 0
	s_branch .LBB31_586
.LBB31_584:
	s_mov_b64 s[10:11], -1
                                        ; implicit-def: $vgpr3
	s_branch .LBB31_589
.LBB31_585:
	s_mov_b64 s[10:11], -1
                                        ; implicit-def: $sgpr14
.LBB31_586:
	s_andn2_b64 vcc, exec, s[10:11]
	v_mov_b32_e32 v3, s14
	s_cbranch_vccnz .LBB31_588
; %bb.587:
	s_mov_b32 s10, 0x43000000
	v_add_f32_e64 v3, |v1|, s10
.LBB31_588:
	s_mov_b64 s[10:11], 0
.LBB31_589:
	s_andn2_b64 vcc, exec, s[10:11]
	s_cbranch_vccnz .LBB31_591
; %bb.590:
	s_cmp_gt_u32 s13, 0x7f800000
	s_movk_i32 s10, 0x7f
	s_cselect_b32 s10, s10, 0x7c
	v_mov_b32_e32 v3, s10
.LBB31_591:
	s_lshr_b32 s10, s12, 24
	s_and_b32 s10, s10, 0x80
	v_or_b32_e32 v1, s10, v3
	global_store_byte v[6:7], v1, off
.LBB31_592:
	s_mov_b64 s[10:11], 0
	s_mov_b64 s[12:13], -1
.LBB31_593:
	s_andn2_b64 vcc, exec, s[10:11]
	s_mov_b64 s[10:11], 0
	s_cbranch_vccnz .LBB31_600
; %bb.594:
	v_cmp_gt_i16_e64 s[10:11], s18, 14
	s_mov_b64 s[14:15], -1
	s_and_b64 vcc, exec, s[10:11]
	s_cbranch_vccz .LBB31_598
; %bb.595:
	v_cmp_eq_u16_e64 s[10:11], s18, 15
	s_mov_b64 s[4:5], -1
	s_and_b64 vcc, exec, s[10:11]
	s_cbranch_vccz .LBB31_597
; %bb.596:
	s_xor_b32 s5, s2, s3
	s_flbit_i32 s4, s3
	s_ashr_i32 s5, s5, 31
	s_add_i32 s4, s4, -1
	s_add_i32 s5, s5, 32
	s_min_u32 s10, s4, s5
	s_lshl_b64 s[4:5], s[2:3], s10
	s_min_u32 s4, s4, 1
	s_or_b32 s4, s5, s4
	v_cvt_f32_i32_e32 v1, s4
	s_sub_i32 s4, 32, s10
	s_mov_b64 s[12:13], -1
	v_ldexp_f32 v1, v1, s4
	v_bfe_u32 v3, v1, 16, 1
	v_add_u32_e32 v1, v1, v3
	v_add_u32_e32 v1, 0x7fff, v1
	global_store_short_d16_hi v[6:7], v1, off
	s_mov_b64 s[4:5], 0
.LBB31_597:
	s_mov_b64 s[14:15], 0
.LBB31_598:
	s_mov_b64 s[10:11], 0
	s_and_b64 vcc, exec, s[14:15]
	s_cbranch_vccz .LBB31_600
; %bb.599:
	v_cmp_ne_u16_e64 s[4:5], s18, 11
	s_mov_b64 s[10:11], -1
.LBB31_600:
	s_and_b64 vcc, exec, s[4:5]
	s_mov_b64 s[4:5], s[6:7]
	s_cbranch_vccnz .LBB31_675
; %bb.601:
	s_andn2_b64 vcc, exec, s[10:11]
	s_cbranch_vccnz .LBB31_603
.LBB31_602:
	s_cmp_lg_u64 s[2:3], 0
	s_cselect_b64 s[10:11], -1, 0
	v_cndmask_b32_e64 v1, 0, 1, s[10:11]
	global_store_byte v[6:7], v1, off
	s_mov_b64 s[12:13], -1
.LBB31_603:
	s_branch .LBB31_530
.LBB31_604:
	v_cmp_lt_i16_e64 s[12:13], s18, 5
	s_mov_b64 s[10:11], -1
	s_and_b64 vcc, exec, s[12:13]
	s_cbranch_vccnz .LBB31_625
; %bb.605:
	v_cmp_lt_i16_e64 s[12:13], s18, 8
	s_and_b64 vcc, exec, s[12:13]
	s_cbranch_vccnz .LBB31_615
; %bb.606:
	v_cmp_lt_i16_e64 s[12:13], s18, 9
	s_and_b64 vcc, exec, s[12:13]
	s_cbranch_vccnz .LBB31_612
; %bb.607:
	v_cmp_gt_i16_e64 s[12:13], s18, 9
	s_and_b64 vcc, exec, s[12:13]
	s_cbranch_vccz .LBB31_609
; %bb.608:
	v_cvt_f64_i32_e32 v[8:9], s3
	v_ldexp_f64 v[8:9], v[8:9], 32
	v_cvt_f64_u32_e32 v[10:11], s2
	v_add_f64 v[8:9], v[8:9], v[10:11]
	v_mov_b32_e32 v10, 0
	v_mov_b32_e32 v11, v10
	global_store_dwordx4 v[6:7], v[8:11], off
	s_mov_b64 s[10:11], 0
.LBB31_609:
	s_andn2_b64 vcc, exec, s[10:11]
	s_cbranch_vccnz .LBB31_611
; %bb.610:
	s_xor_b32 s11, s2, s3
	s_flbit_i32 s10, s3
	s_ashr_i32 s11, s11, 31
	s_add_i32 s10, s10, -1
	s_add_i32 s11, s11, 32
	s_min_u32 s12, s10, s11
	s_lshl_b64 s[10:11], s[2:3], s12
	s_min_u32 s10, s10, 1
	s_or_b32 s10, s11, s10
	v_cvt_f32_i32_e32 v1, s10
	s_sub_i32 s10, 32, s12
	v_mov_b32_e32 v9, 0
	v_ldexp_f32 v8, v1, s10
	global_store_dwordx2 v[6:7], v[8:9], off
.LBB31_611:
	s_mov_b64 s[10:11], 0
.LBB31_612:
	s_andn2_b64 vcc, exec, s[10:11]
	s_cbranch_vccnz .LBB31_614
; %bb.613:
	s_xor_b32 s11, s2, s3
	s_flbit_i32 s10, s3
	s_ashr_i32 s11, s11, 31
	s_add_i32 s10, s10, -1
	s_add_i32 s11, s11, 32
	s_min_u32 s12, s10, s11
	s_lshl_b64 s[10:11], s[2:3], s12
	s_min_u32 s10, s10, 1
	s_or_b32 s10, s11, s10
	v_cvt_f32_i32_e32 v1, s10
	s_sub_i32 s10, 32, s12
	v_ldexp_f32 v1, v1, s10
	v_cvt_f16_f32_e32 v1, v1
	global_store_dword v[6:7], v1, off
.LBB31_614:
	s_mov_b64 s[10:11], 0
.LBB31_615:
	s_andn2_b64 vcc, exec, s[10:11]
	s_cbranch_vccnz .LBB31_624
; %bb.616:
	v_cmp_lt_i16_e64 s[12:13], s18, 6
	s_mov_b64 s[10:11], -1
	s_and_b64 vcc, exec, s[12:13]
	s_cbranch_vccnz .LBB31_622
; %bb.617:
	v_cmp_gt_i16_e64 s[12:13], s18, 6
	s_and_b64 vcc, exec, s[12:13]
	s_cbranch_vccz .LBB31_619
; %bb.618:
	v_cvt_f64_i32_e32 v[8:9], s3
	v_ldexp_f64 v[8:9], v[8:9], 32
	v_cvt_f64_u32_e32 v[10:11], s2
	v_add_f64 v[8:9], v[8:9], v[10:11]
	global_store_dwordx2 v[6:7], v[8:9], off
	s_mov_b64 s[10:11], 0
.LBB31_619:
	s_andn2_b64 vcc, exec, s[10:11]
	s_cbranch_vccnz .LBB31_621
; %bb.620:
	s_xor_b32 s11, s2, s3
	s_flbit_i32 s10, s3
	s_ashr_i32 s11, s11, 31
	s_add_i32 s10, s10, -1
	s_add_i32 s11, s11, 32
	s_min_u32 s12, s10, s11
	s_lshl_b64 s[10:11], s[2:3], s12
	s_min_u32 s10, s10, 1
	s_or_b32 s10, s11, s10
	v_cvt_f32_i32_e32 v1, s10
	s_sub_i32 s10, 32, s12
	v_ldexp_f32 v1, v1, s10
	global_store_dword v[6:7], v1, off
.LBB31_621:
	s_mov_b64 s[10:11], 0
.LBB31_622:
	s_andn2_b64 vcc, exec, s[10:11]
	s_cbranch_vccnz .LBB31_624
; %bb.623:
	s_xor_b32 s11, s2, s3
	s_flbit_i32 s10, s3
	s_ashr_i32 s11, s11, 31
	s_add_i32 s10, s10, -1
	s_add_i32 s11, s11, 32
	s_min_u32 s12, s10, s11
	s_lshl_b64 s[10:11], s[2:3], s12
	s_min_u32 s10, s10, 1
	s_or_b32 s10, s11, s10
	v_cvt_f32_i32_e32 v1, s10
	s_sub_i32 s10, 32, s12
	v_ldexp_f32 v1, v1, s10
	v_cvt_f16_f32_e32 v1, v1
	global_store_short v[6:7], v1, off
.LBB31_624:
	s_mov_b64 s[10:11], 0
.LBB31_625:
	s_andn2_b64 vcc, exec, s[10:11]
	s_cbranch_vccnz .LBB31_641
; %bb.626:
	v_cmp_lt_i16_e64 s[12:13], s18, 2
	s_mov_b64 s[10:11], -1
	s_and_b64 vcc, exec, s[12:13]
	s_cbranch_vccnz .LBB31_636
; %bb.627:
	v_cmp_lt_i16_e64 s[12:13], s18, 3
	s_and_b64 vcc, exec, s[12:13]
	s_cbranch_vccnz .LBB31_633
; %bb.628:
	v_cmp_gt_i16_e64 s[12:13], s18, 3
	s_and_b64 vcc, exec, s[12:13]
	s_cbranch_vccz .LBB31_630
; %bb.629:
	v_pk_mov_b32 v[8:9], s[2:3], s[2:3] op_sel:[0,1]
	global_store_dwordx2 v[6:7], v[8:9], off
	s_mov_b64 s[10:11], 0
.LBB31_630:
	s_andn2_b64 vcc, exec, s[10:11]
	s_cbranch_vccnz .LBB31_632
; %bb.631:
	v_mov_b32_e32 v1, s2
	global_store_dword v[6:7], v1, off
.LBB31_632:
	s_mov_b64 s[10:11], 0
.LBB31_633:
	s_andn2_b64 vcc, exec, s[10:11]
	s_cbranch_vccnz .LBB31_635
; %bb.634:
	v_mov_b32_e32 v1, s2
	global_store_short v[6:7], v1, off
.LBB31_635:
	s_mov_b64 s[10:11], 0
.LBB31_636:
	s_andn2_b64 vcc, exec, s[10:11]
	s_cbranch_vccnz .LBB31_641
; %bb.637:
	v_cmp_gt_i16_e64 s[12:13], s18, 0
	s_mov_b64 s[10:11], -1
	s_and_b64 vcc, exec, s[12:13]
	s_cbranch_vccz .LBB31_639
; %bb.638:
	v_mov_b32_e32 v1, s2
	global_store_byte v[6:7], v1, off
	s_mov_b64 s[10:11], 0
.LBB31_639:
	s_andn2_b64 vcc, exec, s[10:11]
	s_cbranch_vccnz .LBB31_641
; %bb.640:
	v_mov_b32_e32 v1, s2
	global_store_byte v[6:7], v1, off
.LBB31_641:
.LBB31_642:
	v_mov_b32_e32 v1, s1
	v_add_co_u32_e32 v4, vcc, s0, v4
	v_addc_co_u32_e32 v5, vcc, 0, v1, vcc
	s_and_b64 vcc, exec, s[8:9]
	s_cbranch_vccnz .LBB31_656
; %bb.643:
	v_cmp_gt_i16_e64 s[10:11], s18, 25
	s_mov_b64 s[16:17], -1
	s_mov_b64 s[12:13], 0
	s_and_b64 vcc, exec, s[10:11]
	s_mov_b64 s[14:15], 0
	s_mov_b64 s[10:11], 0
	s_cbranch_vccz .LBB31_684
; %bb.644:
	v_cmp_gt_i16_e64 s[10:11], s18, 28
	s_and_b64 vcc, exec, s[10:11]
	s_cbranch_vccz .LBB31_658
; %bb.645:
	v_cmp_gt_i16_e64 s[10:11], s18, 43
	s_and_b64 vcc, exec, s[10:11]
	;; [unrolled: 4-line block ×3, first 2 shown]
	s_cbranch_vccz .LBB31_649
; %bb.647:
	v_cmp_eq_u16_e64 s[14:15], s18, 46
	s_mov_b64 s[10:11], -1
	s_mov_b64 s[16:17], 0
	s_and_b64 vcc, exec, s[14:15]
	s_mov_b64 s[14:15], 0
	s_cbranch_vccz .LBB31_650
; %bb.648:
	s_xor_b32 s11, s2, s3
	s_flbit_i32 s10, s3
	s_ashr_i32 s11, s11, 31
	s_add_i32 s10, s10, -1
	s_add_i32 s11, s11, 32
	s_min_u32 s14, s10, s11
	s_lshl_b64 s[10:11], s[2:3], s14
	s_min_u32 s10, s10, 1
	s_or_b32 s10, s11, s10
	v_cvt_f32_i32_e32 v1, s10
	s_sub_i32 s10, 32, s14
	s_mov_b64 s[14:15], -1
	v_ldexp_f32 v1, v1, s10
	v_bfe_u32 v3, v1, 16, 1
	v_add_u32_e32 v1, v1, v3
	v_add_u32_e32 v1, 0x7fff, v1
	v_lshrrev_b32_e32 v1, 16, v1
	global_store_dword v[4:5], v1, off
.LBB31_649:
	s_mov_b64 s[10:11], 0
.LBB31_650:
	s_and_b64 vcc, exec, s[16:17]
	s_cbranch_vccz .LBB31_655
; %bb.651:
	v_cmp_eq_u16_e64 s[16:17], s18, 44
	s_mov_b64 s[10:11], -1
	s_and_b64 vcc, exec, s[16:17]
	s_cbranch_vccz .LBB31_655
; %bb.652:
	s_xor_b32 s11, s2, s3
	s_flbit_i32 s10, s3
	s_ashr_i32 s11, s11, 31
	s_add_i32 s10, s10, -1
	s_add_i32 s11, s11, 32
	s_min_u32 s14, s10, s11
	s_lshl_b64 s[10:11], s[2:3], s14
	s_min_u32 s10, s10, 1
	s_or_b32 s10, s11, s10
	v_cvt_f32_i32_e32 v1, s10
	s_sub_i32 s10, 32, s14
	v_mov_b32_e32 v3, 0xff
	v_ldexp_f32 v1, v1, s10
	v_readfirstlane_b32 s10, v1
	s_bfe_u32 s11, s10, 0x80017
	s_cmpk_eq_i32 s11, 0xff
	s_cbranch_scc1 .LBB31_654
; %bb.653:
	s_bitcmp1_b32 s10, 22
	s_cselect_b64 s[14:15], -1, 0
	s_and_b32 s10, s10, 0x3fffff
	s_or_b32 s10, s11, s10
	s_cmp_lg_u32 s10, 0
	s_cselect_b64 s[10:11], -1, 0
	s_and_b64 s[10:11], s[14:15], s[10:11]
	v_lshrrev_b32_e32 v1, 23, v1
	v_cndmask_b32_e64 v3, 0, 1, s[10:11]
	v_add_u32_e32 v3, v1, v3
.LBB31_654:
	s_mov_b64 s[10:11], 0
	s_mov_b64 s[14:15], -1
	global_store_byte v[4:5], v3, off
.LBB31_655:
	s_mov_b64 s[16:17], 0
	s_branch .LBB31_660
.LBB31_656:
	s_mov_b64 s[14:15], 0
	s_cbranch_execnz .LBB31_734
.LBB31_657:
	s_andn2_b64 vcc, exec, s[14:15]
	s_cbranch_vccz .LBB31_772
	s_branch .LBB31_949
.LBB31_658:
	s_mov_b64 s[10:11], 0
	s_branch .LBB31_664
.LBB31_659:
	s_mov_b64 s[10:11], 0
.LBB31_660:
	s_and_b64 vcc, exec, s[16:17]
	s_cbranch_vccz .LBB31_663
; %bb.661:
	v_cmp_eq_u16_e64 s[16:17], s18, 29
	s_mov_b64 s[10:11], -1
	s_and_b64 vcc, exec, s[16:17]
	s_cbranch_vccz .LBB31_663
; %bb.662:
	v_pk_mov_b32 v[6:7], s[2:3], s[2:3] op_sel:[0,1]
	global_store_dwordx2 v[4:5], v[6:7], off
	s_mov_b64 s[10:11], 0
	s_mov_b64 s[14:15], -1
.LBB31_663:
	s_mov_b64 s[16:17], 0
.LBB31_664:
	s_and_b64 vcc, exec, s[16:17]
	s_cbranch_vccz .LBB31_683
; %bb.665:
	v_cmp_lt_i16_e64 s[16:17], s18, 27
	s_mov_b64 s[14:15], -1
	s_and_b64 vcc, exec, s[16:17]
	s_cbranch_vccnz .LBB31_671
; %bb.666:
	v_cmp_gt_i16_e64 s[16:17], s18, 27
	s_and_b64 vcc, exec, s[16:17]
	s_cbranch_vccz .LBB31_668
; %bb.667:
	v_mov_b32_e32 v1, s2
	s_mov_b64 s[14:15], 0
	global_store_dword v[4:5], v1, off
.LBB31_668:
	s_andn2_b64 vcc, exec, s[14:15]
	s_cbranch_vccnz .LBB31_670
; %bb.669:
	v_mov_b32_e32 v1, s2
	global_store_short v[4:5], v1, off
.LBB31_670:
	s_mov_b64 s[14:15], 0
.LBB31_671:
	s_andn2_b64 vcc, exec, s[14:15]
	s_cbranch_vccnz .LBB31_682
; %bb.672:
	s_xor_b32 s15, s2, s3
	s_flbit_i32 s14, s3
	s_ashr_i32 s15, s15, 31
	s_add_i32 s14, s14, -1
	s_add_i32 s15, s15, 32
	s_min_u32 s16, s14, s15
	s_lshl_b64 s[14:15], s[2:3], s16
	s_min_u32 s14, s14, 1
	s_or_b32 s14, s15, s14
	v_cvt_f32_i32_e32 v1, s14
	s_sub_i32 s14, 32, s16
	v_mov_b32_e32 v3, 0x80
	v_ldexp_f32 v1, v1, s14
	v_readfirstlane_b32 s19, v1
	s_and_b32 s14, s19, 0x7fffffff
	s_cmp_gt_u32 s14, 0x437fffff
	s_cbranch_scc1 .LBB31_681
; %bb.673:
	s_cmp_gt_u32 s14, 0x3bffffff
	s_cbranch_scc0 .LBB31_676
; %bb.674:
	s_bfe_u32 s14, s19, 0x10014
	s_add_i32 s14, s19, s14
	s_add_i32 s14, s14, 0x487ffff
	s_lshr_b32 s20, s14, 20
	s_mov_b64 s[16:17], 0
	s_mov_b64 s[14:15], -1
	s_branch .LBB31_677
.LBB31_675:
	s_or_b64 s[4:5], s[6:7], exec
	s_trap 2
	s_cbranch_execz .LBB31_602
	s_branch .LBB31_603
.LBB31_676:
	s_mov_b64 s[16:17], -1
	s_mov_b64 s[14:15], 0
                                        ; implicit-def: $sgpr20
.LBB31_677:
	s_andn2_b64 vcc, exec, s[16:17]
	v_mov_b32_e32 v1, s20
                                        ; implicit-def: $sgpr16
	s_cbranch_vccnz .LBB31_679
; %bb.678:
	v_mov_b32_e32 v1, 0x46000000
	v_add_f32_e64 v1, |s19|, v1
	v_and_b32_e32 v1, 0xff, v1
	s_mov_b32 s16, 0
	v_cmp_ne_u32_e64 s[14:15], 0, v1
.LBB31_679:
	s_andn2_b64 vcc, exec, s[14:15]
	v_mov_b32_e32 v3, s16
	s_cbranch_vccnz .LBB31_681
; %bb.680:
	s_lshr_b32 s14, s19, 24
	s_and_b32 s14, s14, 0x80
	v_or_b32_e32 v3, s14, v1
.LBB31_681:
	global_store_byte v[4:5], v3, off
.LBB31_682:
	s_mov_b64 s[14:15], -1
.LBB31_683:
	s_mov_b64 s[16:17], 0
.LBB31_684:
	s_and_b64 vcc, exec, s[16:17]
	s_cbranch_vccz .LBB31_730
; %bb.685:
	v_cmp_gt_i16_e64 s[16:17], s18, 22
	s_mov_b64 s[12:13], -1
	s_and_b64 vcc, exec, s[16:17]
	s_cbranch_vccz .LBB31_723
; %bb.686:
	v_cmp_lt_i16_e64 s[14:15], s18, 24
	s_and_b64 vcc, exec, s[14:15]
	s_cbranch_vccnz .LBB31_710
; %bb.687:
	v_cmp_gt_i16_e64 s[14:15], s18, 24
	s_and_b64 vcc, exec, s[14:15]
	s_cbranch_vccz .LBB31_697
; %bb.688:
	s_xor_b32 s13, s2, s3
	s_flbit_i32 s12, s3
	s_ashr_i32 s13, s13, 31
	s_add_i32 s12, s12, -1
	s_add_i32 s13, s13, 32
	s_min_u32 s14, s12, s13
	s_lshl_b64 s[12:13], s[2:3], s14
	s_min_u32 s12, s12, 1
	s_or_b32 s12, s13, s12
	v_cvt_f32_i32_e32 v1, s12
	s_sub_i32 s12, 32, s14
	v_mov_b32_e32 v3, 0x80
	v_ldexp_f32 v1, v1, s12
	v_readfirstlane_b32 s16, v1
	s_and_b32 s12, s16, 0x7fffffff
	s_cmp_gt_u32 s12, 0x477fffff
	s_cbranch_scc1 .LBB31_696
; %bb.689:
	s_cmp_gt_u32 s12, 0x37ffffff
	s_cbranch_scc0 .LBB31_691
; %bb.690:
	s_bfe_u32 s12, s16, 0x10015
	s_add_i32 s12, s16, s12
	s_add_i32 s12, s12, 0x88fffff
	s_lshr_b32 s17, s12, 21
	s_mov_b64 s[14:15], 0
	s_mov_b64 s[12:13], -1
	s_branch .LBB31_692
.LBB31_691:
	s_mov_b64 s[14:15], -1
	s_mov_b64 s[12:13], 0
                                        ; implicit-def: $sgpr17
.LBB31_692:
	s_andn2_b64 vcc, exec, s[14:15]
	v_mov_b32_e32 v1, s17
                                        ; implicit-def: $sgpr14
	s_cbranch_vccnz .LBB31_694
; %bb.693:
	v_mov_b32_e32 v1, 0x42800000
	v_add_f32_e64 v1, |s16|, v1
	v_and_b32_e32 v1, 0xff, v1
	s_mov_b32 s14, 0
	v_cmp_ne_u32_e64 s[12:13], 0, v1
.LBB31_694:
	s_andn2_b64 vcc, exec, s[12:13]
	v_mov_b32_e32 v3, s14
	s_cbranch_vccnz .LBB31_696
; %bb.695:
	s_lshr_b32 s12, s16, 24
	s_and_b32 s12, s12, 0x80
	v_or_b32_e32 v3, s12, v1
.LBB31_696:
	s_mov_b64 s[12:13], 0
	global_store_byte v[4:5], v3, off
.LBB31_697:
	s_and_b64 vcc, exec, s[12:13]
	s_cbranch_vccz .LBB31_709
; %bb.698:
	s_xor_b32 s13, s2, s3
	s_flbit_i32 s12, s3
	s_ashr_i32 s13, s13, 31
	s_add_i32 s12, s12, -1
	s_add_i32 s13, s13, 32
	s_min_u32 s14, s12, s13
	s_lshl_b64 s[12:13], s[2:3], s14
	s_min_u32 s12, s12, 1
	s_or_b32 s12, s13, s12
	v_cvt_f32_i32_e32 v1, s12
	s_sub_i32 s12, 32, s14
	v_ldexp_f32 v1, v1, s12
	v_readfirstlane_b32 s14, v1
	s_and_b32 s15, s14, 0x7fffffff
	s_cmp_lt_u32 s15, 0x43f00000
	s_cbranch_scc0 .LBB31_701
; %bb.699:
	s_cmp_gt_u32 s15, 0x3c7fffff
	s_cbranch_scc0 .LBB31_702
; %bb.700:
	s_bfe_u32 s12, s14, 0x10014
	s_add_i32 s12, s14, s12
	s_add_i32 s12, s12, 0x407ffff
	s_lshr_b32 s13, s12, 20
	s_and_b32 s12, s12, 0xff00000
	s_cmp_lg_u32 s12, 0x7f00000
	s_cselect_b32 s16, s13, 0x7e
	s_mov_b64 s[12:13], 0
	s_branch .LBB31_703
.LBB31_701:
	s_mov_b64 s[12:13], -1
                                        ; implicit-def: $vgpr3
	s_branch .LBB31_706
.LBB31_702:
	s_mov_b64 s[12:13], -1
                                        ; implicit-def: $sgpr16
.LBB31_703:
	s_andn2_b64 vcc, exec, s[12:13]
	v_mov_b32_e32 v3, s16
	s_cbranch_vccnz .LBB31_705
; %bb.704:
	s_mov_b32 s12, 0x46800000
	v_add_f32_e64 v3, |v1|, s12
.LBB31_705:
	s_mov_b64 s[12:13], 0
.LBB31_706:
	s_andn2_b64 vcc, exec, s[12:13]
	s_cbranch_vccnz .LBB31_708
; %bb.707:
	s_cmp_gt_u32 s15, 0x7f800000
	s_movk_i32 s12, 0x7f
	s_cselect_b32 s12, s12, 0x7e
	v_mov_b32_e32 v3, s12
.LBB31_708:
	s_lshr_b32 s12, s14, 24
	s_and_b32 s12, s12, 0x80
	v_or_b32_e32 v1, s12, v3
	global_store_byte v[4:5], v1, off
.LBB31_709:
	s_mov_b64 s[12:13], 0
.LBB31_710:
	s_andn2_b64 vcc, exec, s[12:13]
	s_cbranch_vccnz .LBB31_722
; %bb.711:
	s_xor_b32 s13, s2, s3
	s_flbit_i32 s12, s3
	s_ashr_i32 s13, s13, 31
	s_add_i32 s12, s12, -1
	s_add_i32 s13, s13, 32
	s_min_u32 s14, s12, s13
	s_lshl_b64 s[12:13], s[2:3], s14
	s_min_u32 s12, s12, 1
	s_or_b32 s12, s13, s12
	v_cvt_f32_i32_e32 v1, s12
	s_sub_i32 s12, 32, s14
	v_ldexp_f32 v1, v1, s12
	v_readfirstlane_b32 s14, v1
	s_and_b32 s15, s14, 0x7fffffff
	s_cmp_lt_u32 s15, 0x47800000
	s_cbranch_scc0 .LBB31_714
; %bb.712:
	s_cmp_gt_u32 s15, 0x387fffff
	s_cbranch_scc0 .LBB31_715
; %bb.713:
	s_bfe_u32 s12, s14, 0x10015
	s_add_i32 s12, s14, s12
	s_add_i32 s12, s12, 0x80fffff
	s_lshr_b32 s16, s12, 21
	s_mov_b64 s[12:13], 0
	s_branch .LBB31_716
.LBB31_714:
	s_mov_b64 s[12:13], -1
                                        ; implicit-def: $vgpr3
	s_branch .LBB31_719
.LBB31_715:
	s_mov_b64 s[12:13], -1
                                        ; implicit-def: $sgpr16
.LBB31_716:
	s_andn2_b64 vcc, exec, s[12:13]
	v_mov_b32_e32 v3, s16
	s_cbranch_vccnz .LBB31_718
; %bb.717:
	s_mov_b32 s12, 0x43000000
	v_add_f32_e64 v3, |v1|, s12
.LBB31_718:
	s_mov_b64 s[12:13], 0
.LBB31_719:
	s_andn2_b64 vcc, exec, s[12:13]
	s_cbranch_vccnz .LBB31_721
; %bb.720:
	s_cmp_gt_u32 s15, 0x7f800000
	s_movk_i32 s12, 0x7f
	s_cselect_b32 s12, s12, 0x7c
	v_mov_b32_e32 v3, s12
.LBB31_721:
	s_lshr_b32 s12, s14, 24
	s_and_b32 s12, s12, 0x80
	v_or_b32_e32 v1, s12, v3
	global_store_byte v[4:5], v1, off
.LBB31_722:
	s_mov_b64 s[12:13], 0
	s_mov_b64 s[14:15], -1
.LBB31_723:
	s_andn2_b64 vcc, exec, s[12:13]
	s_mov_b64 s[12:13], 0
	s_cbranch_vccnz .LBB31_730
; %bb.724:
	v_cmp_gt_i16_e64 s[12:13], s18, 14
	s_mov_b64 s[16:17], -1
	s_and_b64 vcc, exec, s[12:13]
	s_cbranch_vccz .LBB31_728
; %bb.725:
	v_cmp_eq_u16_e64 s[12:13], s18, 15
	s_mov_b64 s[10:11], -1
	s_and_b64 vcc, exec, s[12:13]
	s_cbranch_vccz .LBB31_727
; %bb.726:
	s_xor_b32 s11, s2, s3
	s_flbit_i32 s10, s3
	s_ashr_i32 s11, s11, 31
	s_add_i32 s10, s10, -1
	s_add_i32 s11, s11, 32
	s_min_u32 s12, s10, s11
	s_lshl_b64 s[10:11], s[2:3], s12
	s_min_u32 s10, s10, 1
	s_or_b32 s10, s11, s10
	v_cvt_f32_i32_e32 v1, s10
	s_sub_i32 s10, 32, s12
	s_mov_b64 s[14:15], -1
	v_ldexp_f32 v1, v1, s10
	v_bfe_u32 v3, v1, 16, 1
	v_add_u32_e32 v1, v1, v3
	v_add_u32_e32 v1, 0x7fff, v1
	global_store_short_d16_hi v[4:5], v1, off
	s_mov_b64 s[10:11], 0
.LBB31_727:
	s_mov_b64 s[16:17], 0
.LBB31_728:
	s_mov_b64 s[12:13], 0
	s_and_b64 vcc, exec, s[16:17]
	s_cbranch_vccz .LBB31_730
; %bb.729:
	v_cmp_ne_u16_e64 s[10:11], s18, 11
	s_mov_b64 s[12:13], -1
.LBB31_730:
	s_and_b64 vcc, exec, s[10:11]
	s_cbranch_vccnz .LBB31_815
; %bb.731:
	s_andn2_b64 vcc, exec, s[12:13]
	s_cbranch_vccnz .LBB31_733
.LBB31_732:
	s_cmp_lg_u64 s[2:3], 0
	s_cselect_b64 s[10:11], -1, 0
	v_cndmask_b32_e64 v1, 0, 1, s[10:11]
	s_mov_b64 s[14:15], -1
	global_store_byte v[4:5], v1, off
.LBB31_733:
	s_branch .LBB31_657
.LBB31_734:
	v_cmp_lt_i16_e64 s[12:13], s18, 5
	s_mov_b64 s[10:11], -1
	s_and_b64 vcc, exec, s[12:13]
	s_cbranch_vccnz .LBB31_755
; %bb.735:
	v_cmp_lt_i16_e64 s[12:13], s18, 8
	s_and_b64 vcc, exec, s[12:13]
	s_cbranch_vccnz .LBB31_745
; %bb.736:
	v_cmp_lt_i16_e64 s[12:13], s18, 9
	s_and_b64 vcc, exec, s[12:13]
	s_cbranch_vccnz .LBB31_742
; %bb.737:
	v_cmp_gt_i16_e64 s[12:13], s18, 9
	s_and_b64 vcc, exec, s[12:13]
	s_cbranch_vccz .LBB31_739
; %bb.738:
	v_cvt_f64_i32_e32 v[6:7], s3
	v_ldexp_f64 v[6:7], v[6:7], 32
	v_cvt_f64_u32_e32 v[8:9], s2
	v_add_f64 v[6:7], v[6:7], v[8:9]
	v_mov_b32_e32 v8, 0
	v_mov_b32_e32 v9, v8
	global_store_dwordx4 v[4:5], v[6:9], off
	s_mov_b64 s[10:11], 0
.LBB31_739:
	s_andn2_b64 vcc, exec, s[10:11]
	s_cbranch_vccnz .LBB31_741
; %bb.740:
	s_xor_b32 s11, s2, s3
	s_flbit_i32 s10, s3
	s_ashr_i32 s11, s11, 31
	s_add_i32 s10, s10, -1
	s_add_i32 s11, s11, 32
	s_min_u32 s12, s10, s11
	s_lshl_b64 s[10:11], s[2:3], s12
	s_min_u32 s10, s10, 1
	s_or_b32 s10, s11, s10
	v_cvt_f32_i32_e32 v1, s10
	s_sub_i32 s10, 32, s12
	v_mov_b32_e32 v7, 0
	v_ldexp_f32 v6, v1, s10
	global_store_dwordx2 v[4:5], v[6:7], off
.LBB31_741:
	s_mov_b64 s[10:11], 0
.LBB31_742:
	s_andn2_b64 vcc, exec, s[10:11]
	s_cbranch_vccnz .LBB31_744
; %bb.743:
	s_xor_b32 s11, s2, s3
	s_flbit_i32 s10, s3
	s_ashr_i32 s11, s11, 31
	s_add_i32 s10, s10, -1
	s_add_i32 s11, s11, 32
	s_min_u32 s12, s10, s11
	s_lshl_b64 s[10:11], s[2:3], s12
	s_min_u32 s10, s10, 1
	s_or_b32 s10, s11, s10
	v_cvt_f32_i32_e32 v1, s10
	s_sub_i32 s10, 32, s12
	v_ldexp_f32 v1, v1, s10
	v_cvt_f16_f32_e32 v1, v1
	global_store_dword v[4:5], v1, off
.LBB31_744:
	s_mov_b64 s[10:11], 0
.LBB31_745:
	s_andn2_b64 vcc, exec, s[10:11]
	s_cbranch_vccnz .LBB31_754
; %bb.746:
	v_cmp_lt_i16_e64 s[12:13], s18, 6
	s_mov_b64 s[10:11], -1
	s_and_b64 vcc, exec, s[12:13]
	s_cbranch_vccnz .LBB31_752
; %bb.747:
	v_cmp_gt_i16_e64 s[12:13], s18, 6
	s_and_b64 vcc, exec, s[12:13]
	s_cbranch_vccz .LBB31_749
; %bb.748:
	v_cvt_f64_i32_e32 v[6:7], s3
	v_ldexp_f64 v[6:7], v[6:7], 32
	v_cvt_f64_u32_e32 v[8:9], s2
	v_add_f64 v[6:7], v[6:7], v[8:9]
	global_store_dwordx2 v[4:5], v[6:7], off
	s_mov_b64 s[10:11], 0
.LBB31_749:
	s_andn2_b64 vcc, exec, s[10:11]
	s_cbranch_vccnz .LBB31_751
; %bb.750:
	s_xor_b32 s11, s2, s3
	s_flbit_i32 s10, s3
	s_ashr_i32 s11, s11, 31
	s_add_i32 s10, s10, -1
	s_add_i32 s11, s11, 32
	s_min_u32 s12, s10, s11
	s_lshl_b64 s[10:11], s[2:3], s12
	s_min_u32 s10, s10, 1
	s_or_b32 s10, s11, s10
	v_cvt_f32_i32_e32 v1, s10
	s_sub_i32 s10, 32, s12
	v_ldexp_f32 v1, v1, s10
	global_store_dword v[4:5], v1, off
.LBB31_751:
	s_mov_b64 s[10:11], 0
.LBB31_752:
	s_andn2_b64 vcc, exec, s[10:11]
	s_cbranch_vccnz .LBB31_754
; %bb.753:
	s_xor_b32 s11, s2, s3
	s_flbit_i32 s10, s3
	s_ashr_i32 s11, s11, 31
	s_add_i32 s10, s10, -1
	s_add_i32 s11, s11, 32
	s_min_u32 s12, s10, s11
	s_lshl_b64 s[10:11], s[2:3], s12
	s_min_u32 s10, s10, 1
	s_or_b32 s10, s11, s10
	v_cvt_f32_i32_e32 v1, s10
	s_sub_i32 s10, 32, s12
	v_ldexp_f32 v1, v1, s10
	v_cvt_f16_f32_e32 v1, v1
	global_store_short v[4:5], v1, off
.LBB31_754:
	s_mov_b64 s[10:11], 0
.LBB31_755:
	s_andn2_b64 vcc, exec, s[10:11]
	s_cbranch_vccnz .LBB31_771
; %bb.756:
	v_cmp_lt_i16_e64 s[12:13], s18, 2
	s_mov_b64 s[10:11], -1
	s_and_b64 vcc, exec, s[12:13]
	s_cbranch_vccnz .LBB31_766
; %bb.757:
	v_cmp_lt_i16_e64 s[12:13], s18, 3
	s_and_b64 vcc, exec, s[12:13]
	s_cbranch_vccnz .LBB31_763
; %bb.758:
	v_cmp_gt_i16_e64 s[12:13], s18, 3
	s_and_b64 vcc, exec, s[12:13]
	s_cbranch_vccz .LBB31_760
; %bb.759:
	v_pk_mov_b32 v[6:7], s[2:3], s[2:3] op_sel:[0,1]
	global_store_dwordx2 v[4:5], v[6:7], off
	s_mov_b64 s[10:11], 0
.LBB31_760:
	s_andn2_b64 vcc, exec, s[10:11]
	s_cbranch_vccnz .LBB31_762
; %bb.761:
	v_mov_b32_e32 v1, s2
	global_store_dword v[4:5], v1, off
.LBB31_762:
	s_mov_b64 s[10:11], 0
.LBB31_763:
	s_andn2_b64 vcc, exec, s[10:11]
	s_cbranch_vccnz .LBB31_765
; %bb.764:
	v_mov_b32_e32 v1, s2
	global_store_short v[4:5], v1, off
.LBB31_765:
	s_mov_b64 s[10:11], 0
.LBB31_766:
	s_andn2_b64 vcc, exec, s[10:11]
	s_cbranch_vccnz .LBB31_771
; %bb.767:
	v_cmp_gt_i16_e64 s[12:13], s18, 0
	s_mov_b64 s[10:11], -1
	s_and_b64 vcc, exec, s[12:13]
	s_cbranch_vccz .LBB31_769
; %bb.768:
	v_mov_b32_e32 v1, s2
	global_store_byte v[4:5], v1, off
	s_mov_b64 s[10:11], 0
.LBB31_769:
	s_andn2_b64 vcc, exec, s[10:11]
	s_cbranch_vccnz .LBB31_771
; %bb.770:
	v_mov_b32_e32 v1, s2
	global_store_byte v[4:5], v1, off
.LBB31_771:
.LBB31_772:
	v_mov_b32_e32 v1, s1
	v_add_co_u32_e32 v2, vcc, s0, v2
	v_addc_co_u32_e32 v3, vcc, 0, v1, vcc
	s_and_b64 vcc, exec, s[8:9]
	s_cbranch_vccnz .LBB31_786
; %bb.773:
	v_cmp_gt_i16_e64 s[10:11], s18, 25
	s_mov_b64 s[16:17], -1
	s_mov_b64 s[12:13], 0
	s_and_b64 vcc, exec, s[10:11]
	s_mov_b64 s[14:15], 0
	s_mov_b64 s[10:11], 0
	s_cbranch_vccz .LBB31_847
; %bb.774:
	v_cmp_gt_i16_e64 s[10:11], s18, 28
	s_and_b64 vcc, exec, s[10:11]
	s_cbranch_vccz .LBB31_797
; %bb.775:
	v_cmp_gt_i16_e64 s[10:11], s18, 43
	s_and_b64 vcc, exec, s[10:11]
	;; [unrolled: 4-line block ×3, first 2 shown]
	s_cbranch_vccz .LBB31_779
; %bb.777:
	v_cmp_eq_u16_e64 s[14:15], s18, 46
	s_mov_b64 s[10:11], -1
	s_mov_b64 s[16:17], 0
	s_and_b64 vcc, exec, s[14:15]
	s_mov_b64 s[14:15], 0
	s_cbranch_vccz .LBB31_780
; %bb.778:
	s_xor_b32 s11, s2, s3
	s_flbit_i32 s10, s3
	s_ashr_i32 s11, s11, 31
	s_add_i32 s10, s10, -1
	s_add_i32 s11, s11, 32
	s_min_u32 s14, s10, s11
	s_lshl_b64 s[10:11], s[2:3], s14
	s_min_u32 s10, s10, 1
	s_or_b32 s10, s11, s10
	v_cvt_f32_i32_e32 v1, s10
	s_sub_i32 s10, 32, s14
	s_mov_b64 s[14:15], -1
	v_ldexp_f32 v1, v1, s10
	v_bfe_u32 v4, v1, 16, 1
	v_add_u32_e32 v1, v1, v4
	v_add_u32_e32 v1, 0x7fff, v1
	v_lshrrev_b32_e32 v1, 16, v1
	global_store_dword v[2:3], v1, off
.LBB31_779:
	s_mov_b64 s[10:11], 0
.LBB31_780:
	s_and_b64 vcc, exec, s[16:17]
	s_cbranch_vccz .LBB31_785
; %bb.781:
	v_cmp_eq_u16_e64 s[16:17], s18, 44
	s_mov_b64 s[10:11], -1
	s_and_b64 vcc, exec, s[16:17]
	s_cbranch_vccz .LBB31_785
; %bb.782:
	s_xor_b32 s11, s2, s3
	s_flbit_i32 s10, s3
	s_ashr_i32 s11, s11, 31
	s_add_i32 s10, s10, -1
	s_add_i32 s11, s11, 32
	s_min_u32 s14, s10, s11
	s_lshl_b64 s[10:11], s[2:3], s14
	s_min_u32 s10, s10, 1
	s_or_b32 s10, s11, s10
	v_cvt_f32_i32_e32 v1, s10
	s_sub_i32 s10, 32, s14
	v_mov_b32_e32 v4, 0xff
	v_ldexp_f32 v1, v1, s10
	v_readfirstlane_b32 s10, v1
	s_bfe_u32 s11, s10, 0x80017
	s_cmpk_eq_i32 s11, 0xff
	s_cbranch_scc1 .LBB31_784
; %bb.783:
	s_bitcmp1_b32 s10, 22
	s_cselect_b64 s[14:15], -1, 0
	s_and_b32 s10, s10, 0x3fffff
	s_or_b32 s10, s11, s10
	s_cmp_lg_u32 s10, 0
	s_cselect_b64 s[10:11], -1, 0
	s_and_b64 s[10:11], s[14:15], s[10:11]
	v_lshrrev_b32_e32 v1, 23, v1
	v_cndmask_b32_e64 v4, 0, 1, s[10:11]
	v_add_u32_e32 v4, v1, v4
.LBB31_784:
	s_mov_b64 s[10:11], 0
	s_mov_b64 s[14:15], -1
	global_store_byte v[2:3], v4, off
.LBB31_785:
	s_mov_b64 s[16:17], 0
	s_branch .LBB31_799
.LBB31_786:
	s_mov_b64 s[14:15], 0
	s_cbranch_execnz .LBB31_911
.LBB31_787:
	s_andn2_b64 vcc, exec, s[14:15]
	s_cbranch_vccnz .LBB31_949
.LBB31_788:
	v_mov_b32_e32 v1, s1
	v_add_co_u32_e32 v0, vcc, s0, v0
	v_addc_co_u32_e32 v1, vcc, 0, v1, vcc
	s_and_b64 vcc, exec, s[8:9]
	s_cbranch_vccnz .LBB31_796
; %bb.789:
	v_cmp_gt_i16_e64 s[0:1], s18, 25
	s_mov_b64 s[10:11], -1
	s_mov_b64 s[8:9], 0
	s_and_b64 vcc, exec, s[0:1]
	s_mov_b64 s[0:1], 0
	s_cbranch_vccz .LBB31_861
; %bb.790:
	v_cmp_gt_i16_e64 s[0:1], s18, 28
	s_and_b64 vcc, exec, s[0:1]
	s_cbranch_vccz .LBB31_814
; %bb.791:
	v_cmp_gt_i16_e64 s[0:1], s18, 43
	s_and_b64 vcc, exec, s[0:1]
	;; [unrolled: 4-line block ×3, first 2 shown]
	s_cbranch_vccz .LBB31_817
; %bb.793:
	v_cmp_eq_u16_e64 s[10:11], s18, 46
	s_mov_b64 s[0:1], -1
	s_and_b64 vcc, exec, s[10:11]
	s_cbranch_vccz .LBB31_795
; %bb.794:
	s_xor_b32 s1, s2, s3
	s_flbit_i32 s0, s3
	s_ashr_i32 s1, s1, 31
	s_add_i32 s0, s0, -1
	s_add_i32 s1, s1, 32
	s_min_u32 s10, s0, s1
	s_lshl_b64 s[0:1], s[2:3], s10
	s_min_u32 s0, s0, 1
	s_or_b32 s0, s1, s0
	v_cvt_f32_i32_e32 v2, s0
	s_sub_i32 s0, 32, s10
	v_ldexp_f32 v2, v2, s0
	v_bfe_u32 v3, v2, 16, 1
	v_add_u32_e32 v2, v2, v3
	v_add_u32_e32 v2, 0x7fff, v2
	v_lshrrev_b32_e32 v2, 16, v2
	global_store_dword v[0:1], v2, off
	s_mov_b64 s[0:1], 0
.LBB31_795:
	s_mov_b64 s[10:11], 0
	s_branch .LBB31_818
.LBB31_796:
	s_mov_b64 s[8:9], 0
	s_mov_b64 s[0:1], -1
	s_branch .LBB31_950
.LBB31_797:
	s_mov_b64 s[10:11], 0
	s_branch .LBB31_803
.LBB31_798:
	s_mov_b64 s[10:11], 0
.LBB31_799:
	s_and_b64 vcc, exec, s[16:17]
	s_cbranch_vccz .LBB31_802
; %bb.800:
	v_cmp_eq_u16_e64 s[16:17], s18, 29
	s_mov_b64 s[10:11], -1
	s_and_b64 vcc, exec, s[16:17]
	s_cbranch_vccz .LBB31_802
; %bb.801:
	v_pk_mov_b32 v[4:5], s[2:3], s[2:3] op_sel:[0,1]
	global_store_dwordx2 v[2:3], v[4:5], off
	s_mov_b64 s[10:11], 0
	s_mov_b64 s[14:15], -1
.LBB31_802:
	s_mov_b64 s[16:17], 0
.LBB31_803:
	s_and_b64 vcc, exec, s[16:17]
	s_cbranch_vccz .LBB31_846
; %bb.804:
	v_cmp_lt_i16_e64 s[16:17], s18, 27
	s_mov_b64 s[14:15], -1
	s_and_b64 vcc, exec, s[16:17]
	s_cbranch_vccnz .LBB31_810
; %bb.805:
	v_cmp_gt_i16_e64 s[16:17], s18, 27
	s_and_b64 vcc, exec, s[16:17]
	s_cbranch_vccz .LBB31_807
; %bb.806:
	v_mov_b32_e32 v1, s2
	s_mov_b64 s[14:15], 0
	global_store_dword v[2:3], v1, off
.LBB31_807:
	s_andn2_b64 vcc, exec, s[14:15]
	s_cbranch_vccnz .LBB31_809
; %bb.808:
	v_mov_b32_e32 v1, s2
	global_store_short v[2:3], v1, off
.LBB31_809:
	s_mov_b64 s[14:15], 0
.LBB31_810:
	s_andn2_b64 vcc, exec, s[14:15]
	s_cbranch_vccnz .LBB31_845
; %bb.811:
	s_xor_b32 s15, s2, s3
	s_flbit_i32 s14, s3
	s_ashr_i32 s15, s15, 31
	s_add_i32 s14, s14, -1
	s_add_i32 s15, s15, 32
	s_min_u32 s16, s14, s15
	s_lshl_b64 s[14:15], s[2:3], s16
	s_min_u32 s14, s14, 1
	s_or_b32 s14, s15, s14
	v_cvt_f32_i32_e32 v1, s14
	s_sub_i32 s14, 32, s16
	v_mov_b32_e32 v4, 0x80
	v_ldexp_f32 v1, v1, s14
	v_readfirstlane_b32 s19, v1
	s_and_b32 s14, s19, 0x7fffffff
	s_cmp_gt_u32 s14, 0x437fffff
	s_cbranch_scc1 .LBB31_844
; %bb.812:
	s_cmp_gt_u32 s14, 0x3bffffff
	s_cbranch_scc0 .LBB31_839
; %bb.813:
	s_bfe_u32 s14, s19, 0x10014
	s_add_i32 s14, s19, s14
	s_add_i32 s14, s14, 0x487ffff
	s_lshr_b32 s20, s14, 20
	s_mov_b64 s[16:17], 0
	s_mov_b64 s[14:15], -1
	s_branch .LBB31_840
.LBB31_814:
	s_mov_b64 s[0:1], 0
	s_branch .LBB31_828
.LBB31_815:
	s_trap 2
	s_or_b64 s[4:5], s[4:5], exec
	s_cbranch_execz .LBB31_732
	s_branch .LBB31_733
.LBB31_816:
	s_mov_b64 s[0:1], 0
	s_branch .LBB31_824
.LBB31_817:
	s_mov_b64 s[0:1], 0
.LBB31_818:
	s_and_b64 vcc, exec, s[10:11]
	s_cbranch_vccz .LBB31_823
; %bb.819:
	v_cmp_eq_u16_e64 s[10:11], s18, 44
	s_mov_b64 s[0:1], -1
	s_and_b64 vcc, exec, s[10:11]
	s_cbranch_vccz .LBB31_823
; %bb.820:
	s_xor_b32 s1, s2, s3
	s_flbit_i32 s0, s3
	s_ashr_i32 s1, s1, 31
	s_add_i32 s0, s0, -1
	s_add_i32 s1, s1, 32
	s_min_u32 s10, s0, s1
	s_lshl_b64 s[0:1], s[2:3], s10
	s_min_u32 s0, s0, 1
	s_or_b32 s0, s1, s0
	v_cvt_f32_i32_e32 v2, s0
	s_sub_i32 s0, 32, s10
	v_mov_b32_e32 v3, 0xff
	v_ldexp_f32 v2, v2, s0
	v_readfirstlane_b32 s0, v2
	s_bfe_u32 s1, s0, 0x80017
	s_cmpk_eq_i32 s1, 0xff
	s_cbranch_scc1 .LBB31_822
; %bb.821:
	s_bitcmp1_b32 s0, 22
	s_cselect_b64 s[10:11], -1, 0
	s_and_b32 s0, s0, 0x3fffff
	s_or_b32 s0, s1, s0
	s_cmp_lg_u32 s0, 0
	s_cselect_b64 s[0:1], -1, 0
	s_and_b64 s[0:1], s[10:11], s[0:1]
	v_lshrrev_b32_e32 v2, 23, v2
	v_cndmask_b32_e64 v3, 0, 1, s[0:1]
	v_add_u32_e32 v3, v2, v3
.LBB31_822:
	s_mov_b64 s[0:1], 0
	global_store_byte v[0:1], v3, off
.LBB31_823:
	s_mov_b64 s[10:11], 0
.LBB31_824:
	s_and_b64 vcc, exec, s[10:11]
	s_cbranch_vccz .LBB31_827
; %bb.825:
	v_cmp_eq_u16_e64 s[10:11], s18, 29
	s_mov_b64 s[0:1], -1
	s_and_b64 vcc, exec, s[10:11]
	s_cbranch_vccz .LBB31_827
; %bb.826:
	v_pk_mov_b32 v[2:3], s[2:3], s[2:3] op_sel:[0,1]
	global_store_dwordx2 v[0:1], v[2:3], off
	s_mov_b64 s[0:1], 0
.LBB31_827:
	s_mov_b64 s[10:11], 0
.LBB31_828:
	s_and_b64 vcc, exec, s[10:11]
	s_cbranch_vccz .LBB31_860
; %bb.829:
	v_cmp_lt_i16_e64 s[12:13], s18, 27
	s_mov_b64 s[10:11], -1
	s_and_b64 vcc, exec, s[12:13]
	s_cbranch_vccnz .LBB31_835
; %bb.830:
	v_cmp_gt_i16_e64 s[12:13], s18, 27
	s_and_b64 vcc, exec, s[12:13]
	s_cbranch_vccz .LBB31_832
; %bb.831:
	v_mov_b32_e32 v2, s2
	global_store_dword v[0:1], v2, off
	s_mov_b64 s[10:11], 0
.LBB31_832:
	s_andn2_b64 vcc, exec, s[10:11]
	s_cbranch_vccnz .LBB31_834
; %bb.833:
	v_mov_b32_e32 v2, s2
	global_store_short v[0:1], v2, off
.LBB31_834:
	s_mov_b64 s[10:11], 0
.LBB31_835:
	s_andn2_b64 vcc, exec, s[10:11]
	s_cbranch_vccnz .LBB31_860
; %bb.836:
	s_xor_b32 s11, s2, s3
	s_flbit_i32 s10, s3
	s_ashr_i32 s11, s11, 31
	s_add_i32 s10, s10, -1
	s_add_i32 s11, s11, 32
	s_min_u32 s12, s10, s11
	s_lshl_b64 s[10:11], s[2:3], s12
	s_min_u32 s10, s10, 1
	s_or_b32 s10, s11, s10
	v_cvt_f32_i32_e32 v2, s10
	s_sub_i32 s10, 32, s12
	v_mov_b32_e32 v3, 0x80
	v_ldexp_f32 v2, v2, s10
	v_readfirstlane_b32 s14, v2
	s_and_b32 s10, s14, 0x7fffffff
	s_cmp_gt_u32 s10, 0x437fffff
	s_cbranch_scc1 .LBB31_859
; %bb.837:
	s_cmp_gt_u32 s10, 0x3bffffff
	s_cbranch_scc0 .LBB31_854
; %bb.838:
	s_bfe_u32 s10, s14, 0x10014
	s_add_i32 s10, s14, s10
	s_add_i32 s10, s10, 0x487ffff
	s_lshr_b32 s15, s10, 20
	s_mov_b64 s[12:13], 0
	s_mov_b64 s[10:11], -1
	s_branch .LBB31_855
.LBB31_839:
	s_mov_b64 s[16:17], -1
	s_mov_b64 s[14:15], 0
                                        ; implicit-def: $sgpr20
.LBB31_840:
	s_andn2_b64 vcc, exec, s[16:17]
	v_mov_b32_e32 v1, s20
                                        ; implicit-def: $sgpr16
	s_cbranch_vccnz .LBB31_842
; %bb.841:
	v_mov_b32_e32 v1, 0x46000000
	v_add_f32_e64 v1, |s19|, v1
	v_and_b32_e32 v1, 0xff, v1
	s_mov_b32 s16, 0
	v_cmp_ne_u32_e64 s[14:15], 0, v1
.LBB31_842:
	s_andn2_b64 vcc, exec, s[14:15]
	v_mov_b32_e32 v4, s16
	s_cbranch_vccnz .LBB31_844
; %bb.843:
	s_lshr_b32 s14, s19, 24
	s_and_b32 s14, s14, 0x80
	v_or_b32_e32 v4, s14, v1
.LBB31_844:
	global_store_byte v[2:3], v4, off
.LBB31_845:
	s_mov_b64 s[14:15], -1
.LBB31_846:
	s_mov_b64 s[16:17], 0
.LBB31_847:
	s_and_b64 vcc, exec, s[16:17]
	s_cbranch_vccz .LBB31_907
; %bb.848:
	v_cmp_gt_i16_e64 s[16:17], s18, 22
	s_mov_b64 s[12:13], -1
	s_and_b64 vcc, exec, s[16:17]
	s_cbranch_vccz .LBB31_900
; %bb.849:
	v_cmp_lt_i16_e64 s[14:15], s18, 24
	s_and_b64 vcc, exec, s[14:15]
	s_cbranch_vccnz .LBB31_887
; %bb.850:
	v_cmp_gt_i16_e64 s[14:15], s18, 24
	s_and_b64 vcc, exec, s[14:15]
	s_cbranch_vccz .LBB31_874
; %bb.851:
	s_xor_b32 s13, s2, s3
	s_flbit_i32 s12, s3
	s_ashr_i32 s13, s13, 31
	s_add_i32 s12, s12, -1
	s_add_i32 s13, s13, 32
	s_min_u32 s14, s12, s13
	s_lshl_b64 s[12:13], s[2:3], s14
	s_min_u32 s12, s12, 1
	s_or_b32 s12, s13, s12
	v_cvt_f32_i32_e32 v1, s12
	s_sub_i32 s12, 32, s14
	v_mov_b32_e32 v4, 0x80
	v_ldexp_f32 v1, v1, s12
	v_readfirstlane_b32 s16, v1
	s_and_b32 s12, s16, 0x7fffffff
	s_cmp_gt_u32 s12, 0x477fffff
	s_cbranch_scc1 .LBB31_873
; %bb.852:
	s_cmp_gt_u32 s12, 0x37ffffff
	s_cbranch_scc0 .LBB31_868
; %bb.853:
	s_bfe_u32 s12, s16, 0x10015
	s_add_i32 s12, s16, s12
	s_add_i32 s12, s12, 0x88fffff
	s_lshr_b32 s17, s12, 21
	s_mov_b64 s[14:15], 0
	s_mov_b64 s[12:13], -1
	s_branch .LBB31_869
.LBB31_854:
	s_mov_b64 s[12:13], -1
	s_mov_b64 s[10:11], 0
                                        ; implicit-def: $sgpr15
.LBB31_855:
	s_andn2_b64 vcc, exec, s[12:13]
	v_mov_b32_e32 v2, s15
                                        ; implicit-def: $sgpr12
	s_cbranch_vccnz .LBB31_857
; %bb.856:
	v_mov_b32_e32 v2, 0x46000000
	v_add_f32_e64 v2, |s14|, v2
	v_and_b32_e32 v2, 0xff, v2
	s_mov_b32 s12, 0
	v_cmp_ne_u32_e64 s[10:11], 0, v2
.LBB31_857:
	s_andn2_b64 vcc, exec, s[10:11]
	v_mov_b32_e32 v3, s12
	s_cbranch_vccnz .LBB31_859
; %bb.858:
	s_lshr_b32 s10, s14, 24
	s_and_b32 s10, s10, 0x80
	v_or_b32_e32 v3, s10, v2
.LBB31_859:
	global_store_byte v[0:1], v3, off
.LBB31_860:
	s_mov_b64 s[10:11], 0
.LBB31_861:
	s_and_b64 vcc, exec, s[10:11]
	s_cbranch_vccz .LBB31_1034
; %bb.862:
	v_cmp_gt_i16_e64 s[10:11], s18, 22
	s_mov_b64 s[8:9], -1
	s_and_b64 vcc, exec, s[10:11]
	s_cbranch_vccz .LBB31_1027
; %bb.863:
	v_cmp_lt_i16_e64 s[10:11], s18, 24
	s_and_b64 vcc, exec, s[10:11]
	s_cbranch_vccnz .LBB31_1014
; %bb.864:
	v_cmp_gt_i16_e64 s[10:11], s18, 24
	s_and_b64 vcc, exec, s[10:11]
	s_cbranch_vccz .LBB31_1001
; %bb.865:
	s_xor_b32 s9, s2, s3
	s_flbit_i32 s8, s3
	s_ashr_i32 s9, s9, 31
	s_add_i32 s8, s8, -1
	s_add_i32 s9, s9, 32
	s_min_u32 s10, s8, s9
	s_lshl_b64 s[8:9], s[2:3], s10
	s_min_u32 s8, s8, 1
	s_or_b32 s8, s9, s8
	v_cvt_f32_i32_e32 v2, s8
	s_sub_i32 s8, 32, s10
	v_mov_b32_e32 v3, 0x80
	v_ldexp_f32 v2, v2, s8
	v_readfirstlane_b32 s12, v2
	s_and_b32 s8, s12, 0x7fffffff
	s_cmp_gt_u32 s8, 0x477fffff
	s_cbranch_scc1 .LBB31_1000
; %bb.866:
	s_cmp_gt_u32 s8, 0x37ffffff
	s_cbranch_scc0 .LBB31_995
; %bb.867:
	s_bfe_u32 s8, s12, 0x10015
	s_add_i32 s8, s12, s8
	s_add_i32 s8, s8, 0x88fffff
	s_lshr_b32 s13, s8, 21
	s_mov_b64 s[10:11], 0
	s_mov_b64 s[8:9], -1
	s_branch .LBB31_996
.LBB31_868:
	s_mov_b64 s[14:15], -1
	s_mov_b64 s[12:13], 0
                                        ; implicit-def: $sgpr17
.LBB31_869:
	s_andn2_b64 vcc, exec, s[14:15]
	v_mov_b32_e32 v1, s17
                                        ; implicit-def: $sgpr14
	s_cbranch_vccnz .LBB31_871
; %bb.870:
	v_mov_b32_e32 v1, 0x42800000
	v_add_f32_e64 v1, |s16|, v1
	v_and_b32_e32 v1, 0xff, v1
	s_mov_b32 s14, 0
	v_cmp_ne_u32_e64 s[12:13], 0, v1
.LBB31_871:
	s_andn2_b64 vcc, exec, s[12:13]
	v_mov_b32_e32 v4, s14
	s_cbranch_vccnz .LBB31_873
; %bb.872:
	s_lshr_b32 s12, s16, 24
	s_and_b32 s12, s12, 0x80
	v_or_b32_e32 v4, s12, v1
.LBB31_873:
	s_mov_b64 s[12:13], 0
	global_store_byte v[2:3], v4, off
.LBB31_874:
	s_and_b64 vcc, exec, s[12:13]
	s_cbranch_vccz .LBB31_886
; %bb.875:
	s_xor_b32 s13, s2, s3
	s_flbit_i32 s12, s3
	s_ashr_i32 s13, s13, 31
	s_add_i32 s12, s12, -1
	s_add_i32 s13, s13, 32
	s_min_u32 s14, s12, s13
	s_lshl_b64 s[12:13], s[2:3], s14
	s_min_u32 s12, s12, 1
	s_or_b32 s12, s13, s12
	v_cvt_f32_i32_e32 v1, s12
	s_sub_i32 s12, 32, s14
	v_ldexp_f32 v1, v1, s12
	v_readfirstlane_b32 s14, v1
	s_and_b32 s15, s14, 0x7fffffff
	s_cmp_lt_u32 s15, 0x43f00000
	s_cbranch_scc0 .LBB31_878
; %bb.876:
	s_cmp_gt_u32 s15, 0x3c7fffff
	s_cbranch_scc0 .LBB31_879
; %bb.877:
	s_bfe_u32 s12, s14, 0x10014
	s_add_i32 s12, s14, s12
	s_add_i32 s12, s12, 0x407ffff
	s_lshr_b32 s13, s12, 20
	s_and_b32 s12, s12, 0xff00000
	s_cmp_lg_u32 s12, 0x7f00000
	s_cselect_b32 s16, s13, 0x7e
	s_mov_b64 s[12:13], 0
	s_branch .LBB31_880
.LBB31_878:
	s_mov_b64 s[12:13], -1
                                        ; implicit-def: $vgpr4
	s_branch .LBB31_883
.LBB31_879:
	s_mov_b64 s[12:13], -1
                                        ; implicit-def: $sgpr16
.LBB31_880:
	s_andn2_b64 vcc, exec, s[12:13]
	v_mov_b32_e32 v4, s16
	s_cbranch_vccnz .LBB31_882
; %bb.881:
	s_mov_b32 s12, 0x46800000
	v_add_f32_e64 v4, |v1|, s12
.LBB31_882:
	s_mov_b64 s[12:13], 0
.LBB31_883:
	s_andn2_b64 vcc, exec, s[12:13]
	s_cbranch_vccnz .LBB31_885
; %bb.884:
	s_cmp_gt_u32 s15, 0x7f800000
	s_movk_i32 s12, 0x7f
	s_cselect_b32 s12, s12, 0x7e
	v_mov_b32_e32 v4, s12
.LBB31_885:
	s_lshr_b32 s12, s14, 24
	s_and_b32 s12, s12, 0x80
	v_or_b32_e32 v1, s12, v4
	global_store_byte v[2:3], v1, off
.LBB31_886:
	s_mov_b64 s[12:13], 0
.LBB31_887:
	s_andn2_b64 vcc, exec, s[12:13]
	s_cbranch_vccnz .LBB31_899
; %bb.888:
	s_xor_b32 s13, s2, s3
	s_flbit_i32 s12, s3
	s_ashr_i32 s13, s13, 31
	s_add_i32 s12, s12, -1
	s_add_i32 s13, s13, 32
	s_min_u32 s14, s12, s13
	s_lshl_b64 s[12:13], s[2:3], s14
	s_min_u32 s12, s12, 1
	s_or_b32 s12, s13, s12
	v_cvt_f32_i32_e32 v1, s12
	s_sub_i32 s12, 32, s14
	v_ldexp_f32 v1, v1, s12
	v_readfirstlane_b32 s14, v1
	s_and_b32 s15, s14, 0x7fffffff
	s_cmp_lt_u32 s15, 0x47800000
	s_cbranch_scc0 .LBB31_891
; %bb.889:
	s_cmp_gt_u32 s15, 0x387fffff
	s_cbranch_scc0 .LBB31_892
; %bb.890:
	s_bfe_u32 s12, s14, 0x10015
	s_add_i32 s12, s14, s12
	s_add_i32 s12, s12, 0x80fffff
	s_lshr_b32 s16, s12, 21
	s_mov_b64 s[12:13], 0
	s_branch .LBB31_893
.LBB31_891:
	s_mov_b64 s[12:13], -1
                                        ; implicit-def: $vgpr4
	s_branch .LBB31_896
.LBB31_892:
	s_mov_b64 s[12:13], -1
                                        ; implicit-def: $sgpr16
.LBB31_893:
	s_andn2_b64 vcc, exec, s[12:13]
	v_mov_b32_e32 v4, s16
	s_cbranch_vccnz .LBB31_895
; %bb.894:
	s_mov_b32 s12, 0x43000000
	v_add_f32_e64 v4, |v1|, s12
.LBB31_895:
	s_mov_b64 s[12:13], 0
.LBB31_896:
	s_andn2_b64 vcc, exec, s[12:13]
	s_cbranch_vccnz .LBB31_898
; %bb.897:
	s_cmp_gt_u32 s15, 0x7f800000
	s_movk_i32 s12, 0x7f
	s_cselect_b32 s12, s12, 0x7c
	v_mov_b32_e32 v4, s12
.LBB31_898:
	s_lshr_b32 s12, s14, 24
	s_and_b32 s12, s12, 0x80
	v_or_b32_e32 v1, s12, v4
	global_store_byte v[2:3], v1, off
.LBB31_899:
	s_mov_b64 s[12:13], 0
	s_mov_b64 s[14:15], -1
.LBB31_900:
	s_andn2_b64 vcc, exec, s[12:13]
	s_mov_b64 s[12:13], 0
	s_cbranch_vccnz .LBB31_907
; %bb.901:
	v_cmp_gt_i16_e64 s[12:13], s18, 14
	s_mov_b64 s[16:17], -1
	s_and_b64 vcc, exec, s[12:13]
	s_cbranch_vccz .LBB31_905
; %bb.902:
	v_cmp_eq_u16_e64 s[12:13], s18, 15
	s_mov_b64 s[10:11], -1
	s_and_b64 vcc, exec, s[12:13]
	s_cbranch_vccz .LBB31_904
; %bb.903:
	s_xor_b32 s11, s2, s3
	s_flbit_i32 s10, s3
	s_ashr_i32 s11, s11, 31
	s_add_i32 s10, s10, -1
	s_add_i32 s11, s11, 32
	s_min_u32 s12, s10, s11
	s_lshl_b64 s[10:11], s[2:3], s12
	s_min_u32 s10, s10, 1
	s_or_b32 s10, s11, s10
	v_cvt_f32_i32_e32 v1, s10
	s_sub_i32 s10, 32, s12
	s_mov_b64 s[14:15], -1
	v_ldexp_f32 v1, v1, s10
	v_bfe_u32 v4, v1, 16, 1
	v_add_u32_e32 v1, v1, v4
	v_add_u32_e32 v1, 0x7fff, v1
	global_store_short_d16_hi v[2:3], v1, off
	s_mov_b64 s[10:11], 0
.LBB31_904:
	s_mov_b64 s[16:17], 0
.LBB31_905:
	s_mov_b64 s[12:13], 0
	s_and_b64 vcc, exec, s[16:17]
	s_cbranch_vccz .LBB31_907
; %bb.906:
	v_cmp_ne_u16_e64 s[10:11], s18, 11
	s_mov_b64 s[12:13], -1
.LBB31_907:
	s_and_b64 vcc, exec, s[10:11]
	s_cbranch_vccnz .LBB31_994
; %bb.908:
	s_andn2_b64 vcc, exec, s[12:13]
	s_cbranch_vccnz .LBB31_910
.LBB31_909:
	s_cmp_lg_u64 s[2:3], 0
	s_cselect_b64 s[10:11], -1, 0
	v_cndmask_b32_e64 v1, 0, 1, s[10:11]
	s_mov_b64 s[14:15], -1
	global_store_byte v[2:3], v1, off
.LBB31_910:
	s_branch .LBB31_787
.LBB31_911:
	v_cmp_lt_i16_e64 s[12:13], s18, 5
	s_mov_b64 s[10:11], -1
	s_and_b64 vcc, exec, s[12:13]
	s_cbranch_vccnz .LBB31_932
; %bb.912:
	v_cmp_lt_i16_e64 s[12:13], s18, 8
	s_and_b64 vcc, exec, s[12:13]
	s_cbranch_vccnz .LBB31_922
; %bb.913:
	v_cmp_lt_i16_e64 s[12:13], s18, 9
	s_and_b64 vcc, exec, s[12:13]
	s_cbranch_vccnz .LBB31_919
; %bb.914:
	v_cmp_gt_i16_e64 s[12:13], s18, 9
	s_and_b64 vcc, exec, s[12:13]
	s_cbranch_vccz .LBB31_916
; %bb.915:
	v_cvt_f64_i32_e32 v[4:5], s3
	v_ldexp_f64 v[4:5], v[4:5], 32
	v_cvt_f64_u32_e32 v[6:7], s2
	v_add_f64 v[4:5], v[4:5], v[6:7]
	v_mov_b32_e32 v6, 0
	v_mov_b32_e32 v7, v6
	global_store_dwordx4 v[2:3], v[4:7], off
	s_mov_b64 s[10:11], 0
.LBB31_916:
	s_andn2_b64 vcc, exec, s[10:11]
	s_cbranch_vccnz .LBB31_918
; %bb.917:
	s_xor_b32 s11, s2, s3
	s_flbit_i32 s10, s3
	s_ashr_i32 s11, s11, 31
	s_add_i32 s10, s10, -1
	s_add_i32 s11, s11, 32
	s_min_u32 s12, s10, s11
	s_lshl_b64 s[10:11], s[2:3], s12
	s_min_u32 s10, s10, 1
	s_or_b32 s10, s11, s10
	v_cvt_f32_i32_e32 v1, s10
	s_sub_i32 s10, 32, s12
	v_mov_b32_e32 v5, 0
	v_ldexp_f32 v4, v1, s10
	global_store_dwordx2 v[2:3], v[4:5], off
.LBB31_918:
	s_mov_b64 s[10:11], 0
.LBB31_919:
	s_andn2_b64 vcc, exec, s[10:11]
	s_cbranch_vccnz .LBB31_921
; %bb.920:
	s_xor_b32 s11, s2, s3
	s_flbit_i32 s10, s3
	s_ashr_i32 s11, s11, 31
	s_add_i32 s10, s10, -1
	s_add_i32 s11, s11, 32
	s_min_u32 s12, s10, s11
	s_lshl_b64 s[10:11], s[2:3], s12
	s_min_u32 s10, s10, 1
	s_or_b32 s10, s11, s10
	v_cvt_f32_i32_e32 v1, s10
	s_sub_i32 s10, 32, s12
	v_ldexp_f32 v1, v1, s10
	v_cvt_f16_f32_e32 v1, v1
	global_store_dword v[2:3], v1, off
.LBB31_921:
	s_mov_b64 s[10:11], 0
.LBB31_922:
	s_andn2_b64 vcc, exec, s[10:11]
	s_cbranch_vccnz .LBB31_931
; %bb.923:
	v_cmp_lt_i16_e64 s[12:13], s18, 6
	s_mov_b64 s[10:11], -1
	s_and_b64 vcc, exec, s[12:13]
	s_cbranch_vccnz .LBB31_929
; %bb.924:
	v_cmp_gt_i16_e64 s[12:13], s18, 6
	s_and_b64 vcc, exec, s[12:13]
	s_cbranch_vccz .LBB31_926
; %bb.925:
	v_cvt_f64_i32_e32 v[4:5], s3
	v_ldexp_f64 v[4:5], v[4:5], 32
	v_cvt_f64_u32_e32 v[6:7], s2
	v_add_f64 v[4:5], v[4:5], v[6:7]
	global_store_dwordx2 v[2:3], v[4:5], off
	s_mov_b64 s[10:11], 0
.LBB31_926:
	s_andn2_b64 vcc, exec, s[10:11]
	s_cbranch_vccnz .LBB31_928
; %bb.927:
	s_xor_b32 s11, s2, s3
	s_flbit_i32 s10, s3
	s_ashr_i32 s11, s11, 31
	s_add_i32 s10, s10, -1
	s_add_i32 s11, s11, 32
	s_min_u32 s12, s10, s11
	s_lshl_b64 s[10:11], s[2:3], s12
	s_min_u32 s10, s10, 1
	s_or_b32 s10, s11, s10
	v_cvt_f32_i32_e32 v1, s10
	s_sub_i32 s10, 32, s12
	v_ldexp_f32 v1, v1, s10
	global_store_dword v[2:3], v1, off
.LBB31_928:
	s_mov_b64 s[10:11], 0
.LBB31_929:
	s_andn2_b64 vcc, exec, s[10:11]
	s_cbranch_vccnz .LBB31_931
; %bb.930:
	s_xor_b32 s11, s2, s3
	s_flbit_i32 s10, s3
	s_ashr_i32 s11, s11, 31
	s_add_i32 s10, s10, -1
	s_add_i32 s11, s11, 32
	s_min_u32 s12, s10, s11
	s_lshl_b64 s[10:11], s[2:3], s12
	s_min_u32 s10, s10, 1
	s_or_b32 s10, s11, s10
	v_cvt_f32_i32_e32 v1, s10
	s_sub_i32 s10, 32, s12
	v_ldexp_f32 v1, v1, s10
	v_cvt_f16_f32_e32 v1, v1
	global_store_short v[2:3], v1, off
.LBB31_931:
	s_mov_b64 s[10:11], 0
.LBB31_932:
	s_andn2_b64 vcc, exec, s[10:11]
	s_cbranch_vccnz .LBB31_948
; %bb.933:
	v_cmp_lt_i16_e64 s[12:13], s18, 2
	s_mov_b64 s[10:11], -1
	s_and_b64 vcc, exec, s[12:13]
	s_cbranch_vccnz .LBB31_943
; %bb.934:
	v_cmp_lt_i16_e64 s[12:13], s18, 3
	s_and_b64 vcc, exec, s[12:13]
	s_cbranch_vccnz .LBB31_940
; %bb.935:
	v_cmp_gt_i16_e64 s[12:13], s18, 3
	s_and_b64 vcc, exec, s[12:13]
	s_cbranch_vccz .LBB31_937
; %bb.936:
	v_pk_mov_b32 v[4:5], s[2:3], s[2:3] op_sel:[0,1]
	global_store_dwordx2 v[2:3], v[4:5], off
	s_mov_b64 s[10:11], 0
.LBB31_937:
	s_andn2_b64 vcc, exec, s[10:11]
	s_cbranch_vccnz .LBB31_939
; %bb.938:
	v_mov_b32_e32 v1, s2
	global_store_dword v[2:3], v1, off
.LBB31_939:
	s_mov_b64 s[10:11], 0
.LBB31_940:
	s_andn2_b64 vcc, exec, s[10:11]
	s_cbranch_vccnz .LBB31_942
; %bb.941:
	v_mov_b32_e32 v1, s2
	global_store_short v[2:3], v1, off
.LBB31_942:
	s_mov_b64 s[10:11], 0
.LBB31_943:
	s_andn2_b64 vcc, exec, s[10:11]
	s_cbranch_vccnz .LBB31_948
; %bb.944:
	v_cmp_gt_i16_e64 s[12:13], s18, 0
	s_mov_b64 s[10:11], -1
	s_and_b64 vcc, exec, s[12:13]
	s_cbranch_vccz .LBB31_946
; %bb.945:
	v_mov_b32_e32 v1, s2
	global_store_byte v[2:3], v1, off
	s_mov_b64 s[10:11], 0
.LBB31_946:
	s_andn2_b64 vcc, exec, s[10:11]
	s_cbranch_vccnz .LBB31_948
; %bb.947:
	v_mov_b32_e32 v1, s2
	global_store_byte v[2:3], v1, off
.LBB31_948:
	s_branch .LBB31_788
.LBB31_949:
	s_mov_b64 s[0:1], 0
	s_mov_b64 s[8:9], 0
                                        ; implicit-def: $sgpr18
                                        ; implicit-def: $vgpr0_vgpr1
.LBB31_950:
	s_andn2_b64 s[6:7], s[6:7], exec
	s_and_b64 s[4:5], s[4:5], exec
	s_and_b64 s[0:1], s[0:1], exec
	;; [unrolled: 1-line block ×3, first 2 shown]
	s_or_b64 s[6:7], s[6:7], s[4:5]
.LBB31_951:
	s_or_b64 exec, exec, s[24:25]
	s_and_saveexec_b64 s[4:5], s[6:7]
	s_cbranch_execz .LBB31_954
; %bb.952:
	; divergent unreachable
	s_or_b64 exec, exec, s[4:5]
	s_and_saveexec_b64 s[4:5], s[34:35]
	s_xor_b64 s[4:5], exec, s[4:5]
	s_cbranch_execnz .LBB31_955
.LBB31_953:
	s_or_b64 exec, exec, s[4:5]
	s_and_saveexec_b64 s[4:5], s[0:1]
	s_cbranch_execnz .LBB31_956
	s_branch .LBB31_993
.LBB31_954:
	s_or_b64 exec, exec, s[4:5]
	s_and_saveexec_b64 s[4:5], s[34:35]
	s_xor_b64 s[4:5], exec, s[4:5]
	s_cbranch_execz .LBB31_953
.LBB31_955:
	s_cmp_lg_u64 s[2:3], 0
	s_cselect_b64 s[6:7], -1, 0
	v_cndmask_b32_e64 v2, 0, 1, s[6:7]
	global_store_byte v[0:1], v2, off
	s_or_b64 exec, exec, s[4:5]
	s_and_saveexec_b64 s[4:5], s[0:1]
	s_cbranch_execz .LBB31_993
.LBB31_956:
	v_cmp_lt_i16_e64 s[4:5], s18, 5
	s_mov_b64 s[0:1], -1
	s_and_b64 vcc, exec, s[4:5]
	s_cbranch_vccnz .LBB31_977
; %bb.957:
	v_cmp_lt_i16_e64 s[4:5], s18, 8
	s_and_b64 vcc, exec, s[4:5]
	s_cbranch_vccnz .LBB31_967
; %bb.958:
	v_cmp_lt_i16_e64 s[4:5], s18, 9
	s_and_b64 vcc, exec, s[4:5]
	s_cbranch_vccnz .LBB31_964
; %bb.959:
	v_cmp_gt_i16_e64 s[4:5], s18, 9
	s_and_b64 vcc, exec, s[4:5]
	s_cbranch_vccz .LBB31_961
; %bb.960:
	v_cvt_f64_i32_e32 v[2:3], s3
	v_ldexp_f64 v[2:3], v[2:3], 32
	v_cvt_f64_u32_e32 v[4:5], s2
	v_add_f64 v[2:3], v[2:3], v[4:5]
	v_mov_b32_e32 v4, 0
	v_mov_b32_e32 v5, v4
	global_store_dwordx4 v[0:1], v[2:5], off
	s_mov_b64 s[0:1], 0
.LBB31_961:
	s_andn2_b64 vcc, exec, s[0:1]
	s_cbranch_vccnz .LBB31_963
; %bb.962:
	s_xor_b32 s1, s2, s3
	s_flbit_i32 s0, s3
	s_ashr_i32 s1, s1, 31
	s_add_i32 s0, s0, -1
	s_add_i32 s1, s1, 32
	s_min_u32 s4, s0, s1
	s_lshl_b64 s[0:1], s[2:3], s4
	s_min_u32 s0, s0, 1
	s_or_b32 s0, s1, s0
	v_cvt_f32_i32_e32 v2, s0
	s_sub_i32 s0, 32, s4
	v_mov_b32_e32 v3, 0
	v_ldexp_f32 v2, v2, s0
	global_store_dwordx2 v[0:1], v[2:3], off
.LBB31_963:
	s_mov_b64 s[0:1], 0
.LBB31_964:
	s_andn2_b64 vcc, exec, s[0:1]
	s_cbranch_vccnz .LBB31_966
; %bb.965:
	s_xor_b32 s1, s2, s3
	s_flbit_i32 s0, s3
	s_ashr_i32 s1, s1, 31
	s_add_i32 s0, s0, -1
	s_add_i32 s1, s1, 32
	s_min_u32 s4, s0, s1
	s_lshl_b64 s[0:1], s[2:3], s4
	s_min_u32 s0, s0, 1
	s_or_b32 s0, s1, s0
	v_cvt_f32_i32_e32 v2, s0
	s_sub_i32 s0, 32, s4
	v_ldexp_f32 v2, v2, s0
	v_cvt_f16_f32_e32 v2, v2
	global_store_dword v[0:1], v2, off
.LBB31_966:
	s_mov_b64 s[0:1], 0
.LBB31_967:
	s_andn2_b64 vcc, exec, s[0:1]
	s_cbranch_vccnz .LBB31_976
; %bb.968:
	v_cmp_lt_i16_e64 s[4:5], s18, 6
	s_mov_b64 s[0:1], -1
	s_and_b64 vcc, exec, s[4:5]
	s_cbranch_vccnz .LBB31_974
; %bb.969:
	v_cmp_gt_i16_e64 s[4:5], s18, 6
	s_and_b64 vcc, exec, s[4:5]
	s_cbranch_vccz .LBB31_971
; %bb.970:
	v_cvt_f64_i32_e32 v[2:3], s3
	v_ldexp_f64 v[2:3], v[2:3], 32
	v_cvt_f64_u32_e32 v[4:5], s2
	v_add_f64 v[2:3], v[2:3], v[4:5]
	global_store_dwordx2 v[0:1], v[2:3], off
	s_mov_b64 s[0:1], 0
.LBB31_971:
	s_andn2_b64 vcc, exec, s[0:1]
	s_cbranch_vccnz .LBB31_973
; %bb.972:
	s_xor_b32 s1, s2, s3
	s_flbit_i32 s0, s3
	s_ashr_i32 s1, s1, 31
	s_add_i32 s0, s0, -1
	s_add_i32 s1, s1, 32
	s_min_u32 s4, s0, s1
	s_lshl_b64 s[0:1], s[2:3], s4
	s_min_u32 s0, s0, 1
	s_or_b32 s0, s1, s0
	v_cvt_f32_i32_e32 v2, s0
	s_sub_i32 s0, 32, s4
	v_ldexp_f32 v2, v2, s0
	global_store_dword v[0:1], v2, off
.LBB31_973:
	s_mov_b64 s[0:1], 0
.LBB31_974:
	s_andn2_b64 vcc, exec, s[0:1]
	s_cbranch_vccnz .LBB31_976
; %bb.975:
	s_xor_b32 s1, s2, s3
	s_flbit_i32 s0, s3
	s_ashr_i32 s1, s1, 31
	s_add_i32 s0, s0, -1
	s_add_i32 s1, s1, 32
	s_min_u32 s4, s0, s1
	s_lshl_b64 s[0:1], s[2:3], s4
	s_min_u32 s0, s0, 1
	s_or_b32 s0, s1, s0
	v_cvt_f32_i32_e32 v2, s0
	s_sub_i32 s0, 32, s4
	v_ldexp_f32 v2, v2, s0
	v_cvt_f16_f32_e32 v2, v2
	global_store_short v[0:1], v2, off
.LBB31_976:
	s_mov_b64 s[0:1], 0
.LBB31_977:
	s_andn2_b64 vcc, exec, s[0:1]
	s_cbranch_vccnz .LBB31_993
; %bb.978:
	v_cmp_lt_i16_e64 s[4:5], s18, 2
	s_mov_b64 s[0:1], -1
	s_and_b64 vcc, exec, s[4:5]
	s_cbranch_vccnz .LBB31_988
; %bb.979:
	v_cmp_lt_i16_e64 s[4:5], s18, 3
	s_and_b64 vcc, exec, s[4:5]
	s_cbranch_vccnz .LBB31_985
; %bb.980:
	v_cmp_gt_i16_e64 s[4:5], s18, 3
	s_and_b64 vcc, exec, s[4:5]
	s_cbranch_vccz .LBB31_982
; %bb.981:
	v_pk_mov_b32 v[2:3], s[2:3], s[2:3] op_sel:[0,1]
	global_store_dwordx2 v[0:1], v[2:3], off
	s_mov_b64 s[0:1], 0
.LBB31_982:
	s_andn2_b64 vcc, exec, s[0:1]
	s_cbranch_vccnz .LBB31_984
; %bb.983:
	v_mov_b32_e32 v2, s2
	global_store_dword v[0:1], v2, off
.LBB31_984:
	s_mov_b64 s[0:1], 0
.LBB31_985:
	s_andn2_b64 vcc, exec, s[0:1]
	s_cbranch_vccnz .LBB31_987
; %bb.986:
	v_mov_b32_e32 v2, s2
	global_store_short v[0:1], v2, off
.LBB31_987:
	s_mov_b64 s[0:1], 0
.LBB31_988:
	s_andn2_b64 vcc, exec, s[0:1]
	s_cbranch_vccnz .LBB31_993
; %bb.989:
	v_cmp_gt_i16_e64 s[4:5], s18, 0
	s_mov_b64 s[0:1], -1
	s_and_b64 vcc, exec, s[4:5]
	s_cbranch_vccz .LBB31_991
; %bb.990:
	v_mov_b32_e32 v2, s2
	global_store_byte v[0:1], v2, off
	s_mov_b64 s[0:1], 0
.LBB31_991:
	s_andn2_b64 vcc, exec, s[0:1]
	s_cbranch_vccnz .LBB31_993
; %bb.992:
	v_mov_b32_e32 v2, s2
	global_store_byte v[0:1], v2, off
	s_endpgm
.LBB31_993:
	s_endpgm
.LBB31_994:
	s_trap 2
	s_or_b64 s[4:5], s[4:5], exec
	s_cbranch_execz .LBB31_909
	s_branch .LBB31_910
.LBB31_995:
	s_mov_b64 s[10:11], -1
	s_mov_b64 s[8:9], 0
                                        ; implicit-def: $sgpr13
.LBB31_996:
	s_andn2_b64 vcc, exec, s[10:11]
	v_mov_b32_e32 v2, s13
                                        ; implicit-def: $sgpr10
	s_cbranch_vccnz .LBB31_998
; %bb.997:
	v_mov_b32_e32 v2, 0x42800000
	v_add_f32_e64 v2, |s12|, v2
	v_and_b32_e32 v2, 0xff, v2
	s_mov_b32 s10, 0
	v_cmp_ne_u32_e64 s[8:9], 0, v2
.LBB31_998:
	s_andn2_b64 vcc, exec, s[8:9]
	v_mov_b32_e32 v3, s10
	s_cbranch_vccnz .LBB31_1000
; %bb.999:
	s_lshr_b32 s8, s12, 24
	s_and_b32 s8, s8, 0x80
	v_or_b32_e32 v3, s8, v2
.LBB31_1000:
	s_mov_b64 s[8:9], 0
	global_store_byte v[0:1], v3, off
.LBB31_1001:
	s_and_b64 vcc, exec, s[8:9]
	s_cbranch_vccz .LBB31_1013
; %bb.1002:
	s_xor_b32 s9, s2, s3
	s_flbit_i32 s8, s3
	s_ashr_i32 s9, s9, 31
	s_add_i32 s8, s8, -1
	s_add_i32 s9, s9, 32
	s_min_u32 s10, s8, s9
	s_lshl_b64 s[8:9], s[2:3], s10
	s_min_u32 s8, s8, 1
	s_or_b32 s8, s9, s8
	v_cvt_f32_i32_e32 v2, s8
	s_sub_i32 s8, 32, s10
	v_ldexp_f32 v2, v2, s8
	v_readfirstlane_b32 s10, v2
	s_and_b32 s11, s10, 0x7fffffff
	s_cmp_lt_u32 s11, 0x43f00000
	s_cbranch_scc0 .LBB31_1005
; %bb.1003:
	s_cmp_gt_u32 s11, 0x3c7fffff
	s_cbranch_scc0 .LBB31_1006
; %bb.1004:
	s_bfe_u32 s8, s10, 0x10014
	s_add_i32 s8, s10, s8
	s_add_i32 s8, s8, 0x407ffff
	s_lshr_b32 s9, s8, 20
	s_and_b32 s8, s8, 0xff00000
	s_cmp_lg_u32 s8, 0x7f00000
	s_cselect_b32 s12, s9, 0x7e
	s_mov_b64 s[8:9], 0
	s_branch .LBB31_1007
.LBB31_1005:
	s_mov_b64 s[8:9], -1
                                        ; implicit-def: $vgpr3
	s_branch .LBB31_1010
.LBB31_1006:
	s_mov_b64 s[8:9], -1
                                        ; implicit-def: $sgpr12
.LBB31_1007:
	s_andn2_b64 vcc, exec, s[8:9]
	v_mov_b32_e32 v3, s12
	s_cbranch_vccnz .LBB31_1009
; %bb.1008:
	s_mov_b32 s8, 0x46800000
	v_add_f32_e64 v3, |v2|, s8
.LBB31_1009:
	s_mov_b64 s[8:9], 0
.LBB31_1010:
	s_andn2_b64 vcc, exec, s[8:9]
	s_cbranch_vccnz .LBB31_1012
; %bb.1011:
	s_cmp_gt_u32 s11, 0x7f800000
	s_movk_i32 s8, 0x7f
	s_cselect_b32 s8, s8, 0x7e
	v_mov_b32_e32 v3, s8
.LBB31_1012:
	s_lshr_b32 s8, s10, 24
	s_and_b32 s8, s8, 0x80
	v_or_b32_e32 v2, s8, v3
	global_store_byte v[0:1], v2, off
.LBB31_1013:
	s_mov_b64 s[8:9], 0
.LBB31_1014:
	s_andn2_b64 vcc, exec, s[8:9]
	s_cbranch_vccnz .LBB31_1026
; %bb.1015:
	s_xor_b32 s9, s2, s3
	s_flbit_i32 s8, s3
	s_ashr_i32 s9, s9, 31
	s_add_i32 s8, s8, -1
	s_add_i32 s9, s9, 32
	s_min_u32 s10, s8, s9
	s_lshl_b64 s[8:9], s[2:3], s10
	s_min_u32 s8, s8, 1
	s_or_b32 s8, s9, s8
	v_cvt_f32_i32_e32 v2, s8
	s_sub_i32 s8, 32, s10
	v_ldexp_f32 v2, v2, s8
	v_readfirstlane_b32 s10, v2
	s_and_b32 s11, s10, 0x7fffffff
	s_cmp_lt_u32 s11, 0x47800000
	s_cbranch_scc0 .LBB31_1018
; %bb.1016:
	s_cmp_gt_u32 s11, 0x387fffff
	s_cbranch_scc0 .LBB31_1019
; %bb.1017:
	s_bfe_u32 s8, s10, 0x10015
	s_add_i32 s8, s10, s8
	s_add_i32 s8, s8, 0x80fffff
	s_lshr_b32 s12, s8, 21
	s_mov_b64 s[8:9], 0
	s_branch .LBB31_1020
.LBB31_1018:
	s_mov_b64 s[8:9], -1
                                        ; implicit-def: $vgpr3
	s_branch .LBB31_1023
.LBB31_1019:
	s_mov_b64 s[8:9], -1
                                        ; implicit-def: $sgpr12
.LBB31_1020:
	s_andn2_b64 vcc, exec, s[8:9]
	v_mov_b32_e32 v3, s12
	s_cbranch_vccnz .LBB31_1022
; %bb.1021:
	s_mov_b32 s8, 0x43000000
	v_add_f32_e64 v3, |v2|, s8
.LBB31_1022:
	s_mov_b64 s[8:9], 0
.LBB31_1023:
	s_andn2_b64 vcc, exec, s[8:9]
	s_cbranch_vccnz .LBB31_1025
; %bb.1024:
	s_cmp_gt_u32 s11, 0x7f800000
	s_movk_i32 s8, 0x7f
	s_cselect_b32 s8, s8, 0x7c
	v_mov_b32_e32 v3, s8
.LBB31_1025:
	s_lshr_b32 s8, s10, 24
	s_and_b32 s8, s8, 0x80
	v_or_b32_e32 v2, s8, v3
	global_store_byte v[0:1], v2, off
.LBB31_1026:
	s_mov_b64 s[8:9], 0
.LBB31_1027:
	s_andn2_b64 vcc, exec, s[8:9]
	s_mov_b64 s[8:9], 0
	s_cbranch_vccnz .LBB31_1034
; %bb.1028:
	v_cmp_gt_i16_e64 s[8:9], s18, 14
	s_mov_b64 s[10:11], -1
	s_and_b64 vcc, exec, s[8:9]
	s_cbranch_vccz .LBB31_1032
; %bb.1029:
	v_cmp_eq_u16_e64 s[8:9], s18, 15
	s_mov_b64 s[0:1], -1
	s_and_b64 vcc, exec, s[8:9]
	s_cbranch_vccz .LBB31_1031
; %bb.1030:
	s_xor_b32 s1, s2, s3
	s_flbit_i32 s0, s3
	s_ashr_i32 s1, s1, 31
	s_add_i32 s0, s0, -1
	s_add_i32 s1, s1, 32
	s_min_u32 s8, s0, s1
	s_lshl_b64 s[0:1], s[2:3], s8
	s_min_u32 s0, s0, 1
	s_or_b32 s0, s1, s0
	v_cvt_f32_i32_e32 v2, s0
	s_sub_i32 s0, 32, s8
	v_ldexp_f32 v2, v2, s0
	v_bfe_u32 v3, v2, 16, 1
	v_add_u32_e32 v2, v2, v3
	v_add_u32_e32 v2, 0x7fff, v2
	global_store_short_d16_hi v[0:1], v2, off
	s_mov_b64 s[0:1], 0
.LBB31_1031:
	s_mov_b64 s[10:11], 0
.LBB31_1032:
	s_mov_b64 s[8:9], 0
	s_and_b64 vcc, exec, s[10:11]
	s_cbranch_vccz .LBB31_1034
; %bb.1033:
	v_cmp_ne_u16_e64 s[0:1], s18, 11
	s_mov_b64 s[8:9], -1
.LBB31_1034:
	s_and_b64 vcc, exec, s[0:1]
	s_cbranch_vccnz .LBB31_1036
.LBB31_1035:
	s_mov_b64 s[0:1], 0
	s_branch .LBB31_950
.LBB31_1036:
	s_mov_b64 s[8:9], 0
	s_or_b64 s[4:5], s[4:5], exec
	s_trap 2
	s_branch .LBB31_1035
	.section	.rodata,"a",@progbits
	.p2align	6, 0x0
	.amdhsa_kernel _ZN2at6native32elementwise_kernel_manual_unrollILi128ELi4EZNS0_15gpu_kernel_implINS0_11FillFunctorIlEEEEvRNS_18TensorIteratorBaseERKT_EUlibE0_EEviT1_
		.amdhsa_group_segment_fixed_size 0
		.amdhsa_private_segment_fixed_size 0
		.amdhsa_kernarg_size 296
		.amdhsa_user_sgpr_count 6
		.amdhsa_user_sgpr_private_segment_buffer 1
		.amdhsa_user_sgpr_dispatch_ptr 0
		.amdhsa_user_sgpr_queue_ptr 0
		.amdhsa_user_sgpr_kernarg_segment_ptr 1
		.amdhsa_user_sgpr_dispatch_id 0
		.amdhsa_user_sgpr_flat_scratch_init 0
		.amdhsa_user_sgpr_kernarg_preload_length 0
		.amdhsa_user_sgpr_kernarg_preload_offset 0
		.amdhsa_user_sgpr_private_segment_size 0
		.amdhsa_uses_dynamic_stack 0
		.amdhsa_system_sgpr_private_segment_wavefront_offset 0
		.amdhsa_system_sgpr_workgroup_id_x 1
		.amdhsa_system_sgpr_workgroup_id_y 0
		.amdhsa_system_sgpr_workgroup_id_z 0
		.amdhsa_system_sgpr_workgroup_info 0
		.amdhsa_system_vgpr_workitem_id 0
		.amdhsa_next_free_vgpr 17
		.amdhsa_next_free_sgpr 95
		.amdhsa_accum_offset 20
		.amdhsa_reserve_vcc 1
		.amdhsa_reserve_flat_scratch 0
		.amdhsa_float_round_mode_32 0
		.amdhsa_float_round_mode_16_64 0
		.amdhsa_float_denorm_mode_32 3
		.amdhsa_float_denorm_mode_16_64 3
		.amdhsa_dx10_clamp 1
		.amdhsa_ieee_mode 1
		.amdhsa_fp16_overflow 0
		.amdhsa_tg_split 0
		.amdhsa_exception_fp_ieee_invalid_op 0
		.amdhsa_exception_fp_denorm_src 0
		.amdhsa_exception_fp_ieee_div_zero 0
		.amdhsa_exception_fp_ieee_overflow 0
		.amdhsa_exception_fp_ieee_underflow 0
		.amdhsa_exception_fp_ieee_inexact 0
		.amdhsa_exception_int_div_zero 0
	.end_amdhsa_kernel
	.section	.text._ZN2at6native32elementwise_kernel_manual_unrollILi128ELi4EZNS0_15gpu_kernel_implINS0_11FillFunctorIlEEEEvRNS_18TensorIteratorBaseERKT_EUlibE0_EEviT1_,"axG",@progbits,_ZN2at6native32elementwise_kernel_manual_unrollILi128ELi4EZNS0_15gpu_kernel_implINS0_11FillFunctorIlEEEEvRNS_18TensorIteratorBaseERKT_EUlibE0_EEviT1_,comdat
.Lfunc_end31:
	.size	_ZN2at6native32elementwise_kernel_manual_unrollILi128ELi4EZNS0_15gpu_kernel_implINS0_11FillFunctorIlEEEEvRNS_18TensorIteratorBaseERKT_EUlibE0_EEviT1_, .Lfunc_end31-_ZN2at6native32elementwise_kernel_manual_unrollILi128ELi4EZNS0_15gpu_kernel_implINS0_11FillFunctorIlEEEEvRNS_18TensorIteratorBaseERKT_EUlibE0_EEviT1_
                                        ; -- End function
	.section	.AMDGPU.csdata,"",@progbits
; Kernel info:
; codeLenInByte = 20824
; NumSgprs: 99
; NumVgprs: 17
; NumAgprs: 0
; TotalNumVgprs: 17
; ScratchSize: 0
; MemoryBound: 0
; FloatMode: 240
; IeeeMode: 1
; LDSByteSize: 0 bytes/workgroup (compile time only)
; SGPRBlocks: 12
; VGPRBlocks: 2
; NumSGPRsForWavesPerEU: 99
; NumVGPRsForWavesPerEU: 17
; AccumOffset: 20
; Occupancy: 8
; WaveLimiterHint : 1
; COMPUTE_PGM_RSRC2:SCRATCH_EN: 0
; COMPUTE_PGM_RSRC2:USER_SGPR: 6
; COMPUTE_PGM_RSRC2:TRAP_HANDLER: 0
; COMPUTE_PGM_RSRC2:TGID_X_EN: 1
; COMPUTE_PGM_RSRC2:TGID_Y_EN: 0
; COMPUTE_PGM_RSRC2:TGID_Z_EN: 0
; COMPUTE_PGM_RSRC2:TIDIG_COMP_CNT: 0
; COMPUTE_PGM_RSRC3_GFX90A:ACCUM_OFFSET: 4
; COMPUTE_PGM_RSRC3_GFX90A:TG_SPLIT: 0
	.section	.text._ZN2at6native29vectorized_elementwise_kernelILi16ENS0_11FillFunctorIsEESt5arrayIPcLm1EEEEviT0_T1_,"axG",@progbits,_ZN2at6native29vectorized_elementwise_kernelILi16ENS0_11FillFunctorIsEESt5arrayIPcLm1EEEEviT0_T1_,comdat
	.protected	_ZN2at6native29vectorized_elementwise_kernelILi16ENS0_11FillFunctorIsEESt5arrayIPcLm1EEEEviT0_T1_ ; -- Begin function _ZN2at6native29vectorized_elementwise_kernelILi16ENS0_11FillFunctorIsEESt5arrayIPcLm1EEEEviT0_T1_
	.globl	_ZN2at6native29vectorized_elementwise_kernelILi16ENS0_11FillFunctorIsEESt5arrayIPcLm1EEEEviT0_T1_
	.p2align	8
	.type	_ZN2at6native29vectorized_elementwise_kernelILi16ENS0_11FillFunctorIsEESt5arrayIPcLm1EEEEviT0_T1_,@function
_ZN2at6native29vectorized_elementwise_kernelILi16ENS0_11FillFunctorIsEESt5arrayIPcLm1EEEEviT0_T1_: ; @_ZN2at6native29vectorized_elementwise_kernelILi16ENS0_11FillFunctorIsEESt5arrayIPcLm1EEEEviT0_T1_
; %bb.0:
	s_load_dwordx4 s[8:11], s[4:5], 0x0
	s_lshl_b32 s2, s6, 11
	s_mov_b64 s[0:1], -1
	s_waitcnt lgkmcnt(0)
	s_sub_i32 s4, s8, s2
	s_cmpk_gt_i32 s4, 0x7ff
	s_pack_ll_b32_b16 s5, s9, s9
	s_cbranch_scc0 .LBB32_2
; %bb.1:
	s_ashr_i32 s3, s2, 31
	s_lshl_b64 s[0:1], s[2:3], 1
	s_add_u32 s0, s10, s0
	s_addc_u32 s1, s11, s1
	v_lshlrev_b32_e32 v1, 4, v0
	v_mov_b32_e32 v2, s5
	v_mov_b32_e32 v3, s5
	;; [unrolled: 1-line block ×4, first 2 shown]
	global_store_dwordx4 v1, v[2:5], s[0:1]
	s_mov_b64 s[0:1], 0
.LBB32_2:
	s_andn2_b64 vcc, exec, s[0:1]
	s_cbranch_vccnz .LBB32_12
; %bb.3:
	v_or_b32_e32 v5, 0x100, v0
	v_mov_b32_e32 v1, s9
	v_mov_b32_e32 v6, s5
	v_cmp_gt_i32_e64 s[0:1], s4, v5
	v_cndmask_b32_e64 v4, v1, v6, s[0:1]
	v_or_b32_e32 v2, 0x300, v0
	s_and_b32 s0, 0xffff, s9
	v_mov_b32_e32 v7, s0
	v_cmp_gt_i32_e64 s[0:1], s4, v2
	v_or_b32_e32 v2, 0x500, v0
	v_cndmask_b32_e64 v3, v7, v6, s[0:1]
	v_cmp_gt_i32_e64 s[0:1], s4, v2
	v_cndmask_b32_e64 v2, v1, v6, s[0:1]
	v_or_b32_e32 v1, 0x700, v0
	v_cmp_gt_i32_e64 s[0:1], s4, v1
	v_cmp_gt_i32_e32 vcc, s4, v0
	v_cndmask_b32_e64 v1, v7, v6, s[0:1]
	s_and_saveexec_b64 s[0:1], vcc
	s_cbranch_execnz .LBB32_13
; %bb.4:
	s_or_b64 exec, exec, s[0:1]
	v_cmp_gt_i32_e32 vcc, s4, v0
	s_and_saveexec_b64 s[0:1], vcc
	s_cbranch_execnz .LBB32_14
.LBB32_5:
	s_or_b64 exec, exec, s[0:1]
	v_cmp_gt_i32_e32 vcc, s4, v0
	s_and_saveexec_b64 s[0:1], vcc
	s_cbranch_execnz .LBB32_15
.LBB32_6:
	s_or_b64 exec, exec, s[0:1]
	v_cmp_gt_i32_e32 vcc, s4, v0
	s_and_saveexec_b64 s[0:1], vcc
	s_cbranch_execnz .LBB32_16
.LBB32_7:
	s_or_b64 exec, exec, s[0:1]
	v_cmp_gt_i32_e32 vcc, s4, v0
	s_and_saveexec_b64 s[0:1], vcc
	s_cbranch_execnz .LBB32_17
.LBB32_8:
	s_or_b64 exec, exec, s[0:1]
	v_cmp_gt_i32_e32 vcc, s4, v0
	s_and_saveexec_b64 s[0:1], vcc
	s_cbranch_execnz .LBB32_18
.LBB32_9:
	s_or_b64 exec, exec, s[0:1]
	v_cmp_gt_i32_e32 vcc, s4, v0
	s_and_saveexec_b64 s[0:1], vcc
	s_cbranch_execnz .LBB32_19
.LBB32_10:
	s_or_b64 exec, exec, s[0:1]
	v_cmp_gt_i32_e32 vcc, s4, v0
	s_and_saveexec_b64 s[0:1], vcc
	s_cbranch_execz .LBB32_12
.LBB32_11:
	v_add_u32_e32 v2, s2, v0
	v_mov_b32_e32 v3, 0
	v_lshlrev_b64 v[2:3], 1, v[2:3]
	v_mov_b32_e32 v0, s11
	v_add_co_u32_e32 v2, vcc, s10, v2
	v_addc_co_u32_e32 v3, vcc, v0, v3, vcc
	global_store_short_d16_hi v[2:3], v1, off
.LBB32_12:
	s_endpgm
.LBB32_13:
	v_or_b32_e32 v6, s2, v0
	v_mov_b32_e32 v7, 0
	v_lshlrev_b64 v[6:7], 1, v[6:7]
	v_mov_b32_e32 v0, s11
	v_add_co_u32_e32 v6, vcc, s10, v6
	v_addc_co_u32_e32 v7, vcc, v0, v7, vcc
	v_mov_b32_e32 v0, v5
	global_store_short v[6:7], v4, off
	s_or_b64 exec, exec, s[0:1]
	v_cmp_gt_i32_e32 vcc, s4, v0
	s_and_saveexec_b64 s[0:1], vcc
	s_cbranch_execz .LBB32_5
.LBB32_14:
	v_add_u32_e32 v6, s2, v0
	v_mov_b32_e32 v7, 0
	v_lshlrev_b64 v[6:7], 1, v[6:7]
	v_mov_b32_e32 v5, s11
	v_add_co_u32_e32 v6, vcc, s10, v6
	v_addc_co_u32_e32 v7, vcc, v5, v7, vcc
	v_add_u32_e32 v0, 0x100, v0
	global_store_short_d16_hi v[6:7], v4, off
	s_or_b64 exec, exec, s[0:1]
	v_cmp_gt_i32_e32 vcc, s4, v0
	s_and_saveexec_b64 s[0:1], vcc
	s_cbranch_execz .LBB32_6
.LBB32_15:
	v_add_u32_e32 v4, s2, v0
	v_mov_b32_e32 v5, 0
	v_lshlrev_b64 v[4:5], 1, v[4:5]
	v_mov_b32_e32 v6, s11
	v_add_co_u32_e32 v4, vcc, s10, v4
	v_addc_co_u32_e32 v5, vcc, v6, v5, vcc
	v_add_u32_e32 v0, 0x100, v0
	global_store_short v[4:5], v3, off
	s_or_b64 exec, exec, s[0:1]
	v_cmp_gt_i32_e32 vcc, s4, v0
	s_and_saveexec_b64 s[0:1], vcc
	s_cbranch_execz .LBB32_7
.LBB32_16:
	v_add_u32_e32 v4, s2, v0
	v_mov_b32_e32 v5, 0
	v_lshlrev_b64 v[4:5], 1, v[4:5]
	v_mov_b32_e32 v6, s11
	v_add_co_u32_e32 v4, vcc, s10, v4
	v_addc_co_u32_e32 v5, vcc, v6, v5, vcc
	v_add_u32_e32 v0, 0x100, v0
	global_store_short_d16_hi v[4:5], v3, off
	s_or_b64 exec, exec, s[0:1]
	v_cmp_gt_i32_e32 vcc, s4, v0
	s_and_saveexec_b64 s[0:1], vcc
	s_cbranch_execz .LBB32_8
.LBB32_17:
	v_add_u32_e32 v4, s2, v0
	v_mov_b32_e32 v5, 0
	v_lshlrev_b64 v[4:5], 1, v[4:5]
	v_mov_b32_e32 v3, s11
	v_add_co_u32_e32 v4, vcc, s10, v4
	v_addc_co_u32_e32 v5, vcc, v3, v5, vcc
	v_add_u32_e32 v0, 0x100, v0
	global_store_short v[4:5], v2, off
	s_or_b64 exec, exec, s[0:1]
	v_cmp_gt_i32_e32 vcc, s4, v0
	s_and_saveexec_b64 s[0:1], vcc
	s_cbranch_execz .LBB32_9
.LBB32_18:
	v_add_u32_e32 v4, s2, v0
	v_mov_b32_e32 v5, 0
	v_lshlrev_b64 v[4:5], 1, v[4:5]
	v_mov_b32_e32 v3, s11
	v_add_co_u32_e32 v4, vcc, s10, v4
	v_addc_co_u32_e32 v5, vcc, v3, v5, vcc
	v_add_u32_e32 v0, 0x100, v0
	global_store_short_d16_hi v[4:5], v2, off
	s_or_b64 exec, exec, s[0:1]
	v_cmp_gt_i32_e32 vcc, s4, v0
	s_and_saveexec_b64 s[0:1], vcc
	s_cbranch_execz .LBB32_10
.LBB32_19:
	v_add_u32_e32 v2, s2, v0
	v_mov_b32_e32 v3, 0
	v_lshlrev_b64 v[2:3], 1, v[2:3]
	v_mov_b32_e32 v4, s11
	v_add_co_u32_e32 v2, vcc, s10, v2
	v_addc_co_u32_e32 v3, vcc, v4, v3, vcc
	v_add_u32_e32 v0, 0x100, v0
	global_store_short v[2:3], v1, off
	s_or_b64 exec, exec, s[0:1]
	v_cmp_gt_i32_e32 vcc, s4, v0
	s_and_saveexec_b64 s[0:1], vcc
	s_cbranch_execnz .LBB32_11
	s_branch .LBB32_12
	.section	.rodata,"a",@progbits
	.p2align	6, 0x0
	.amdhsa_kernel _ZN2at6native29vectorized_elementwise_kernelILi16ENS0_11FillFunctorIsEESt5arrayIPcLm1EEEEviT0_T1_
		.amdhsa_group_segment_fixed_size 0
		.amdhsa_private_segment_fixed_size 0
		.amdhsa_kernarg_size 16
		.amdhsa_user_sgpr_count 6
		.amdhsa_user_sgpr_private_segment_buffer 1
		.amdhsa_user_sgpr_dispatch_ptr 0
		.amdhsa_user_sgpr_queue_ptr 0
		.amdhsa_user_sgpr_kernarg_segment_ptr 1
		.amdhsa_user_sgpr_dispatch_id 0
		.amdhsa_user_sgpr_flat_scratch_init 0
		.amdhsa_user_sgpr_kernarg_preload_length 0
		.amdhsa_user_sgpr_kernarg_preload_offset 0
		.amdhsa_user_sgpr_private_segment_size 0
		.amdhsa_uses_dynamic_stack 0
		.amdhsa_system_sgpr_private_segment_wavefront_offset 0
		.amdhsa_system_sgpr_workgroup_id_x 1
		.amdhsa_system_sgpr_workgroup_id_y 0
		.amdhsa_system_sgpr_workgroup_id_z 0
		.amdhsa_system_sgpr_workgroup_info 0
		.amdhsa_system_vgpr_workitem_id 0
		.amdhsa_next_free_vgpr 8
		.amdhsa_next_free_sgpr 12
		.amdhsa_accum_offset 8
		.amdhsa_reserve_vcc 1
		.amdhsa_reserve_flat_scratch 0
		.amdhsa_float_round_mode_32 0
		.amdhsa_float_round_mode_16_64 0
		.amdhsa_float_denorm_mode_32 3
		.amdhsa_float_denorm_mode_16_64 3
		.amdhsa_dx10_clamp 1
		.amdhsa_ieee_mode 1
		.amdhsa_fp16_overflow 0
		.amdhsa_tg_split 0
		.amdhsa_exception_fp_ieee_invalid_op 0
		.amdhsa_exception_fp_denorm_src 0
		.amdhsa_exception_fp_ieee_div_zero 0
		.amdhsa_exception_fp_ieee_overflow 0
		.amdhsa_exception_fp_ieee_underflow 0
		.amdhsa_exception_fp_ieee_inexact 0
		.amdhsa_exception_int_div_zero 0
	.end_amdhsa_kernel
	.section	.text._ZN2at6native29vectorized_elementwise_kernelILi16ENS0_11FillFunctorIsEESt5arrayIPcLm1EEEEviT0_T1_,"axG",@progbits,_ZN2at6native29vectorized_elementwise_kernelILi16ENS0_11FillFunctorIsEESt5arrayIPcLm1EEEEviT0_T1_,comdat
.Lfunc_end32:
	.size	_ZN2at6native29vectorized_elementwise_kernelILi16ENS0_11FillFunctorIsEESt5arrayIPcLm1EEEEviT0_T1_, .Lfunc_end32-_ZN2at6native29vectorized_elementwise_kernelILi16ENS0_11FillFunctorIsEESt5arrayIPcLm1EEEEviT0_T1_
                                        ; -- End function
	.section	.AMDGPU.csdata,"",@progbits
; Kernel info:
; codeLenInByte = 792
; NumSgprs: 16
; NumVgprs: 8
; NumAgprs: 0
; TotalNumVgprs: 8
; ScratchSize: 0
; MemoryBound: 0
; FloatMode: 240
; IeeeMode: 1
; LDSByteSize: 0 bytes/workgroup (compile time only)
; SGPRBlocks: 1
; VGPRBlocks: 0
; NumSGPRsForWavesPerEU: 16
; NumVGPRsForWavesPerEU: 8
; AccumOffset: 8
; Occupancy: 8
; WaveLimiterHint : 0
; COMPUTE_PGM_RSRC2:SCRATCH_EN: 0
; COMPUTE_PGM_RSRC2:USER_SGPR: 6
; COMPUTE_PGM_RSRC2:TRAP_HANDLER: 0
; COMPUTE_PGM_RSRC2:TGID_X_EN: 1
; COMPUTE_PGM_RSRC2:TGID_Y_EN: 0
; COMPUTE_PGM_RSRC2:TGID_Z_EN: 0
; COMPUTE_PGM_RSRC2:TIDIG_COMP_CNT: 0
; COMPUTE_PGM_RSRC3_GFX90A:ACCUM_OFFSET: 1
; COMPUTE_PGM_RSRC3_GFX90A:TG_SPLIT: 0
	.section	.text._ZN2at6native29vectorized_elementwise_kernelILi8ENS0_11FillFunctorIsEESt5arrayIPcLm1EEEEviT0_T1_,"axG",@progbits,_ZN2at6native29vectorized_elementwise_kernelILi8ENS0_11FillFunctorIsEESt5arrayIPcLm1EEEEviT0_T1_,comdat
	.protected	_ZN2at6native29vectorized_elementwise_kernelILi8ENS0_11FillFunctorIsEESt5arrayIPcLm1EEEEviT0_T1_ ; -- Begin function _ZN2at6native29vectorized_elementwise_kernelILi8ENS0_11FillFunctorIsEESt5arrayIPcLm1EEEEviT0_T1_
	.globl	_ZN2at6native29vectorized_elementwise_kernelILi8ENS0_11FillFunctorIsEESt5arrayIPcLm1EEEEviT0_T1_
	.p2align	8
	.type	_ZN2at6native29vectorized_elementwise_kernelILi8ENS0_11FillFunctorIsEESt5arrayIPcLm1EEEEviT0_T1_,@function
_ZN2at6native29vectorized_elementwise_kernelILi8ENS0_11FillFunctorIsEESt5arrayIPcLm1EEEEviT0_T1_: ; @_ZN2at6native29vectorized_elementwise_kernelILi8ENS0_11FillFunctorIsEESt5arrayIPcLm1EEEEviT0_T1_
; %bb.0:
	s_load_dwordx4 s[8:11], s[4:5], 0x0
	s_lshl_b32 s2, s6, 11
	s_mov_b64 s[0:1], -1
	s_waitcnt lgkmcnt(0)
	s_sub_i32 s4, s8, s2
	s_cmpk_gt_i32 s4, 0x7ff
	s_pack_ll_b32_b16 s5, s9, s9
	s_cbranch_scc0 .LBB33_2
; %bb.1:
	s_ashr_i32 s3, s2, 31
	s_lshl_b64 s[0:1], s[2:3], 1
	s_add_u32 s0, s10, s0
	s_addc_u32 s1, s11, s1
	v_lshlrev_b32_e32 v1, 4, v0
	v_mov_b32_e32 v2, s5
	v_mov_b32_e32 v3, s5
	;; [unrolled: 1-line block ×4, first 2 shown]
	global_store_dwordx4 v1, v[2:5], s[0:1]
	s_mov_b64 s[0:1], 0
.LBB33_2:
	s_andn2_b64 vcc, exec, s[0:1]
	s_cbranch_vccnz .LBB33_12
; %bb.3:
	v_or_b32_e32 v5, 0x100, v0
	v_mov_b32_e32 v1, s9
	v_mov_b32_e32 v6, s5
	v_cmp_gt_i32_e64 s[0:1], s4, v5
	v_cndmask_b32_e64 v4, v1, v6, s[0:1]
	v_or_b32_e32 v2, 0x300, v0
	s_and_b32 s0, 0xffff, s9
	v_mov_b32_e32 v7, s0
	v_cmp_gt_i32_e64 s[0:1], s4, v2
	v_or_b32_e32 v2, 0x500, v0
	v_cndmask_b32_e64 v3, v7, v6, s[0:1]
	v_cmp_gt_i32_e64 s[0:1], s4, v2
	v_cndmask_b32_e64 v2, v1, v6, s[0:1]
	v_or_b32_e32 v1, 0x700, v0
	v_cmp_gt_i32_e64 s[0:1], s4, v1
	v_cmp_gt_i32_e32 vcc, s4, v0
	v_cndmask_b32_e64 v1, v7, v6, s[0:1]
	s_and_saveexec_b64 s[0:1], vcc
	s_cbranch_execnz .LBB33_13
; %bb.4:
	s_or_b64 exec, exec, s[0:1]
	v_cmp_gt_i32_e32 vcc, s4, v0
	s_and_saveexec_b64 s[0:1], vcc
	s_cbranch_execnz .LBB33_14
.LBB33_5:
	s_or_b64 exec, exec, s[0:1]
	v_cmp_gt_i32_e32 vcc, s4, v0
	s_and_saveexec_b64 s[0:1], vcc
	s_cbranch_execnz .LBB33_15
.LBB33_6:
	s_or_b64 exec, exec, s[0:1]
	v_cmp_gt_i32_e32 vcc, s4, v0
	s_and_saveexec_b64 s[0:1], vcc
	s_cbranch_execnz .LBB33_16
.LBB33_7:
	s_or_b64 exec, exec, s[0:1]
	v_cmp_gt_i32_e32 vcc, s4, v0
	s_and_saveexec_b64 s[0:1], vcc
	s_cbranch_execnz .LBB33_17
.LBB33_8:
	s_or_b64 exec, exec, s[0:1]
	v_cmp_gt_i32_e32 vcc, s4, v0
	s_and_saveexec_b64 s[0:1], vcc
	s_cbranch_execnz .LBB33_18
.LBB33_9:
	s_or_b64 exec, exec, s[0:1]
	v_cmp_gt_i32_e32 vcc, s4, v0
	s_and_saveexec_b64 s[0:1], vcc
	s_cbranch_execnz .LBB33_19
.LBB33_10:
	s_or_b64 exec, exec, s[0:1]
	v_cmp_gt_i32_e32 vcc, s4, v0
	s_and_saveexec_b64 s[0:1], vcc
	s_cbranch_execz .LBB33_12
.LBB33_11:
	v_add_u32_e32 v2, s2, v0
	v_mov_b32_e32 v3, 0
	v_lshlrev_b64 v[2:3], 1, v[2:3]
	v_mov_b32_e32 v0, s11
	v_add_co_u32_e32 v2, vcc, s10, v2
	v_addc_co_u32_e32 v3, vcc, v0, v3, vcc
	global_store_short_d16_hi v[2:3], v1, off
.LBB33_12:
	s_endpgm
.LBB33_13:
	v_or_b32_e32 v6, s2, v0
	v_mov_b32_e32 v7, 0
	v_lshlrev_b64 v[6:7], 1, v[6:7]
	v_mov_b32_e32 v0, s11
	v_add_co_u32_e32 v6, vcc, s10, v6
	v_addc_co_u32_e32 v7, vcc, v0, v7, vcc
	v_mov_b32_e32 v0, v5
	global_store_short v[6:7], v4, off
	s_or_b64 exec, exec, s[0:1]
	v_cmp_gt_i32_e32 vcc, s4, v0
	s_and_saveexec_b64 s[0:1], vcc
	s_cbranch_execz .LBB33_5
.LBB33_14:
	v_add_u32_e32 v6, s2, v0
	v_mov_b32_e32 v7, 0
	v_lshlrev_b64 v[6:7], 1, v[6:7]
	v_mov_b32_e32 v5, s11
	v_add_co_u32_e32 v6, vcc, s10, v6
	v_addc_co_u32_e32 v7, vcc, v5, v7, vcc
	v_add_u32_e32 v0, 0x100, v0
	global_store_short_d16_hi v[6:7], v4, off
	s_or_b64 exec, exec, s[0:1]
	v_cmp_gt_i32_e32 vcc, s4, v0
	s_and_saveexec_b64 s[0:1], vcc
	s_cbranch_execz .LBB33_6
.LBB33_15:
	v_add_u32_e32 v4, s2, v0
	v_mov_b32_e32 v5, 0
	v_lshlrev_b64 v[4:5], 1, v[4:5]
	v_mov_b32_e32 v6, s11
	v_add_co_u32_e32 v4, vcc, s10, v4
	v_addc_co_u32_e32 v5, vcc, v6, v5, vcc
	v_add_u32_e32 v0, 0x100, v0
	global_store_short v[4:5], v3, off
	s_or_b64 exec, exec, s[0:1]
	v_cmp_gt_i32_e32 vcc, s4, v0
	s_and_saveexec_b64 s[0:1], vcc
	s_cbranch_execz .LBB33_7
.LBB33_16:
	v_add_u32_e32 v4, s2, v0
	v_mov_b32_e32 v5, 0
	v_lshlrev_b64 v[4:5], 1, v[4:5]
	v_mov_b32_e32 v6, s11
	v_add_co_u32_e32 v4, vcc, s10, v4
	v_addc_co_u32_e32 v5, vcc, v6, v5, vcc
	v_add_u32_e32 v0, 0x100, v0
	global_store_short_d16_hi v[4:5], v3, off
	s_or_b64 exec, exec, s[0:1]
	v_cmp_gt_i32_e32 vcc, s4, v0
	s_and_saveexec_b64 s[0:1], vcc
	s_cbranch_execz .LBB33_8
.LBB33_17:
	v_add_u32_e32 v4, s2, v0
	v_mov_b32_e32 v5, 0
	v_lshlrev_b64 v[4:5], 1, v[4:5]
	v_mov_b32_e32 v3, s11
	v_add_co_u32_e32 v4, vcc, s10, v4
	v_addc_co_u32_e32 v5, vcc, v3, v5, vcc
	v_add_u32_e32 v0, 0x100, v0
	global_store_short v[4:5], v2, off
	s_or_b64 exec, exec, s[0:1]
	v_cmp_gt_i32_e32 vcc, s4, v0
	s_and_saveexec_b64 s[0:1], vcc
	s_cbranch_execz .LBB33_9
.LBB33_18:
	v_add_u32_e32 v4, s2, v0
	v_mov_b32_e32 v5, 0
	v_lshlrev_b64 v[4:5], 1, v[4:5]
	v_mov_b32_e32 v3, s11
	v_add_co_u32_e32 v4, vcc, s10, v4
	v_addc_co_u32_e32 v5, vcc, v3, v5, vcc
	v_add_u32_e32 v0, 0x100, v0
	global_store_short_d16_hi v[4:5], v2, off
	s_or_b64 exec, exec, s[0:1]
	v_cmp_gt_i32_e32 vcc, s4, v0
	s_and_saveexec_b64 s[0:1], vcc
	s_cbranch_execz .LBB33_10
.LBB33_19:
	v_add_u32_e32 v2, s2, v0
	v_mov_b32_e32 v3, 0
	v_lshlrev_b64 v[2:3], 1, v[2:3]
	v_mov_b32_e32 v4, s11
	v_add_co_u32_e32 v2, vcc, s10, v2
	v_addc_co_u32_e32 v3, vcc, v4, v3, vcc
	v_add_u32_e32 v0, 0x100, v0
	global_store_short v[2:3], v1, off
	s_or_b64 exec, exec, s[0:1]
	v_cmp_gt_i32_e32 vcc, s4, v0
	s_and_saveexec_b64 s[0:1], vcc
	s_cbranch_execnz .LBB33_11
	s_branch .LBB33_12
	.section	.rodata,"a",@progbits
	.p2align	6, 0x0
	.amdhsa_kernel _ZN2at6native29vectorized_elementwise_kernelILi8ENS0_11FillFunctorIsEESt5arrayIPcLm1EEEEviT0_T1_
		.amdhsa_group_segment_fixed_size 0
		.amdhsa_private_segment_fixed_size 0
		.amdhsa_kernarg_size 16
		.amdhsa_user_sgpr_count 6
		.amdhsa_user_sgpr_private_segment_buffer 1
		.amdhsa_user_sgpr_dispatch_ptr 0
		.amdhsa_user_sgpr_queue_ptr 0
		.amdhsa_user_sgpr_kernarg_segment_ptr 1
		.amdhsa_user_sgpr_dispatch_id 0
		.amdhsa_user_sgpr_flat_scratch_init 0
		.amdhsa_user_sgpr_kernarg_preload_length 0
		.amdhsa_user_sgpr_kernarg_preload_offset 0
		.amdhsa_user_sgpr_private_segment_size 0
		.amdhsa_uses_dynamic_stack 0
		.amdhsa_system_sgpr_private_segment_wavefront_offset 0
		.amdhsa_system_sgpr_workgroup_id_x 1
		.amdhsa_system_sgpr_workgroup_id_y 0
		.amdhsa_system_sgpr_workgroup_id_z 0
		.amdhsa_system_sgpr_workgroup_info 0
		.amdhsa_system_vgpr_workitem_id 0
		.amdhsa_next_free_vgpr 8
		.amdhsa_next_free_sgpr 12
		.amdhsa_accum_offset 8
		.amdhsa_reserve_vcc 1
		.amdhsa_reserve_flat_scratch 0
		.amdhsa_float_round_mode_32 0
		.amdhsa_float_round_mode_16_64 0
		.amdhsa_float_denorm_mode_32 3
		.amdhsa_float_denorm_mode_16_64 3
		.amdhsa_dx10_clamp 1
		.amdhsa_ieee_mode 1
		.amdhsa_fp16_overflow 0
		.amdhsa_tg_split 0
		.amdhsa_exception_fp_ieee_invalid_op 0
		.amdhsa_exception_fp_denorm_src 0
		.amdhsa_exception_fp_ieee_div_zero 0
		.amdhsa_exception_fp_ieee_overflow 0
		.amdhsa_exception_fp_ieee_underflow 0
		.amdhsa_exception_fp_ieee_inexact 0
		.amdhsa_exception_int_div_zero 0
	.end_amdhsa_kernel
	.section	.text._ZN2at6native29vectorized_elementwise_kernelILi8ENS0_11FillFunctorIsEESt5arrayIPcLm1EEEEviT0_T1_,"axG",@progbits,_ZN2at6native29vectorized_elementwise_kernelILi8ENS0_11FillFunctorIsEESt5arrayIPcLm1EEEEviT0_T1_,comdat
.Lfunc_end33:
	.size	_ZN2at6native29vectorized_elementwise_kernelILi8ENS0_11FillFunctorIsEESt5arrayIPcLm1EEEEviT0_T1_, .Lfunc_end33-_ZN2at6native29vectorized_elementwise_kernelILi8ENS0_11FillFunctorIsEESt5arrayIPcLm1EEEEviT0_T1_
                                        ; -- End function
	.section	.AMDGPU.csdata,"",@progbits
; Kernel info:
; codeLenInByte = 792
; NumSgprs: 16
; NumVgprs: 8
; NumAgprs: 0
; TotalNumVgprs: 8
; ScratchSize: 0
; MemoryBound: 0
; FloatMode: 240
; IeeeMode: 1
; LDSByteSize: 0 bytes/workgroup (compile time only)
; SGPRBlocks: 1
; VGPRBlocks: 0
; NumSGPRsForWavesPerEU: 16
; NumVGPRsForWavesPerEU: 8
; AccumOffset: 8
; Occupancy: 8
; WaveLimiterHint : 0
; COMPUTE_PGM_RSRC2:SCRATCH_EN: 0
; COMPUTE_PGM_RSRC2:USER_SGPR: 6
; COMPUTE_PGM_RSRC2:TRAP_HANDLER: 0
; COMPUTE_PGM_RSRC2:TGID_X_EN: 1
; COMPUTE_PGM_RSRC2:TGID_Y_EN: 0
; COMPUTE_PGM_RSRC2:TGID_Z_EN: 0
; COMPUTE_PGM_RSRC2:TIDIG_COMP_CNT: 0
; COMPUTE_PGM_RSRC3_GFX90A:ACCUM_OFFSET: 1
; COMPUTE_PGM_RSRC3_GFX90A:TG_SPLIT: 0
	.section	.text._ZN2at6native29vectorized_elementwise_kernelILi4ENS0_11FillFunctorIsEESt5arrayIPcLm1EEEEviT0_T1_,"axG",@progbits,_ZN2at6native29vectorized_elementwise_kernelILi4ENS0_11FillFunctorIsEESt5arrayIPcLm1EEEEviT0_T1_,comdat
	.protected	_ZN2at6native29vectorized_elementwise_kernelILi4ENS0_11FillFunctorIsEESt5arrayIPcLm1EEEEviT0_T1_ ; -- Begin function _ZN2at6native29vectorized_elementwise_kernelILi4ENS0_11FillFunctorIsEESt5arrayIPcLm1EEEEviT0_T1_
	.globl	_ZN2at6native29vectorized_elementwise_kernelILi4ENS0_11FillFunctorIsEESt5arrayIPcLm1EEEEviT0_T1_
	.p2align	8
	.type	_ZN2at6native29vectorized_elementwise_kernelILi4ENS0_11FillFunctorIsEESt5arrayIPcLm1EEEEviT0_T1_,@function
_ZN2at6native29vectorized_elementwise_kernelILi4ENS0_11FillFunctorIsEESt5arrayIPcLm1EEEEviT0_T1_: ; @_ZN2at6native29vectorized_elementwise_kernelILi4ENS0_11FillFunctorIsEESt5arrayIPcLm1EEEEviT0_T1_
; %bb.0:
	s_load_dwordx4 s[8:11], s[4:5], 0x0
	s_lshl_b32 s2, s6, 11
	s_mov_b64 s[0:1], -1
	s_waitcnt lgkmcnt(0)
	s_sub_i32 s4, s8, s2
	s_cmpk_gt_i32 s4, 0x7ff
	s_cbranch_scc0 .LBB34_2
; %bb.1:
	s_ashr_i32 s3, s2, 31
	s_lshl_b64 s[0:1], s[2:3], 1
	s_add_u32 s0, s10, s0
	s_addc_u32 s1, s11, s1
	s_and_b32 s3, 0xffff, s9
	s_mul_i32 s6, s3, 0x10001
	s_mov_b32 s7, s6
	v_lshlrev_b32_e32 v1, 3, v0
	v_pk_mov_b32 v[2:3], s[6:7], s[6:7] op_sel:[0,1]
	global_store_dwordx2 v1, v[2:3], s[0:1]
	global_store_dwordx2 v1, v[2:3], s[0:1] offset:2048
	s_mov_b64 s[0:1], 0
.LBB34_2:
	s_andn2_b64 vcc, exec, s[0:1]
	s_cbranch_vccnz .LBB34_12
; %bb.3:
	v_or_b32_e32 v5, 0x100, v0
	s_pack_ll_b32_b16 s0, s9, s9
	v_mov_b32_e32 v1, s9
	v_mov_b32_e32 v6, s0
	v_cmp_gt_i32_e64 s[0:1], s4, v5
	v_cndmask_b32_e64 v4, v1, v6, s[0:1]
	v_or_b32_e32 v2, 0x300, v0
	s_and_b32 s0, 0xffff, s9
	v_mov_b32_e32 v7, s0
	v_cmp_gt_i32_e64 s[0:1], s4, v2
	v_or_b32_e32 v2, 0x500, v0
	v_cndmask_b32_e64 v3, v7, v6, s[0:1]
	v_cmp_gt_i32_e64 s[0:1], s4, v2
	v_cndmask_b32_e64 v2, v1, v6, s[0:1]
	v_or_b32_e32 v1, 0x700, v0
	v_cmp_gt_i32_e64 s[0:1], s4, v1
	v_cmp_gt_i32_e32 vcc, s4, v0
	v_cndmask_b32_e64 v1, v7, v6, s[0:1]
	s_and_saveexec_b64 s[0:1], vcc
	s_cbranch_execnz .LBB34_13
; %bb.4:
	s_or_b64 exec, exec, s[0:1]
	v_cmp_gt_i32_e32 vcc, s4, v0
	s_and_saveexec_b64 s[0:1], vcc
	s_cbranch_execnz .LBB34_14
.LBB34_5:
	s_or_b64 exec, exec, s[0:1]
	v_cmp_gt_i32_e32 vcc, s4, v0
	s_and_saveexec_b64 s[0:1], vcc
	s_cbranch_execnz .LBB34_15
.LBB34_6:
	s_or_b64 exec, exec, s[0:1]
	v_cmp_gt_i32_e32 vcc, s4, v0
	s_and_saveexec_b64 s[0:1], vcc
	s_cbranch_execnz .LBB34_16
.LBB34_7:
	s_or_b64 exec, exec, s[0:1]
	v_cmp_gt_i32_e32 vcc, s4, v0
	s_and_saveexec_b64 s[0:1], vcc
	s_cbranch_execnz .LBB34_17
.LBB34_8:
	s_or_b64 exec, exec, s[0:1]
	v_cmp_gt_i32_e32 vcc, s4, v0
	s_and_saveexec_b64 s[0:1], vcc
	s_cbranch_execnz .LBB34_18
.LBB34_9:
	s_or_b64 exec, exec, s[0:1]
	v_cmp_gt_i32_e32 vcc, s4, v0
	s_and_saveexec_b64 s[0:1], vcc
	s_cbranch_execnz .LBB34_19
.LBB34_10:
	s_or_b64 exec, exec, s[0:1]
	v_cmp_gt_i32_e32 vcc, s4, v0
	s_and_saveexec_b64 s[0:1], vcc
	s_cbranch_execz .LBB34_12
.LBB34_11:
	v_add_u32_e32 v2, s2, v0
	v_mov_b32_e32 v3, 0
	v_lshlrev_b64 v[2:3], 1, v[2:3]
	v_mov_b32_e32 v0, s11
	v_add_co_u32_e32 v2, vcc, s10, v2
	v_addc_co_u32_e32 v3, vcc, v0, v3, vcc
	global_store_short_d16_hi v[2:3], v1, off
.LBB34_12:
	s_endpgm
.LBB34_13:
	v_or_b32_e32 v6, s2, v0
	v_mov_b32_e32 v7, 0
	v_lshlrev_b64 v[6:7], 1, v[6:7]
	v_mov_b32_e32 v0, s11
	v_add_co_u32_e32 v6, vcc, s10, v6
	v_addc_co_u32_e32 v7, vcc, v0, v7, vcc
	v_mov_b32_e32 v0, v5
	global_store_short v[6:7], v4, off
	s_or_b64 exec, exec, s[0:1]
	v_cmp_gt_i32_e32 vcc, s4, v0
	s_and_saveexec_b64 s[0:1], vcc
	s_cbranch_execz .LBB34_5
.LBB34_14:
	v_add_u32_e32 v6, s2, v0
	v_mov_b32_e32 v7, 0
	v_lshlrev_b64 v[6:7], 1, v[6:7]
	v_mov_b32_e32 v5, s11
	v_add_co_u32_e32 v6, vcc, s10, v6
	v_addc_co_u32_e32 v7, vcc, v5, v7, vcc
	v_add_u32_e32 v0, 0x100, v0
	global_store_short_d16_hi v[6:7], v4, off
	s_or_b64 exec, exec, s[0:1]
	v_cmp_gt_i32_e32 vcc, s4, v0
	s_and_saveexec_b64 s[0:1], vcc
	s_cbranch_execz .LBB34_6
.LBB34_15:
	v_add_u32_e32 v4, s2, v0
	v_mov_b32_e32 v5, 0
	v_lshlrev_b64 v[4:5], 1, v[4:5]
	v_mov_b32_e32 v6, s11
	v_add_co_u32_e32 v4, vcc, s10, v4
	v_addc_co_u32_e32 v5, vcc, v6, v5, vcc
	v_add_u32_e32 v0, 0x100, v0
	global_store_short v[4:5], v3, off
	s_or_b64 exec, exec, s[0:1]
	v_cmp_gt_i32_e32 vcc, s4, v0
	s_and_saveexec_b64 s[0:1], vcc
	s_cbranch_execz .LBB34_7
.LBB34_16:
	v_add_u32_e32 v4, s2, v0
	v_mov_b32_e32 v5, 0
	v_lshlrev_b64 v[4:5], 1, v[4:5]
	v_mov_b32_e32 v6, s11
	v_add_co_u32_e32 v4, vcc, s10, v4
	v_addc_co_u32_e32 v5, vcc, v6, v5, vcc
	v_add_u32_e32 v0, 0x100, v0
	global_store_short_d16_hi v[4:5], v3, off
	s_or_b64 exec, exec, s[0:1]
	v_cmp_gt_i32_e32 vcc, s4, v0
	s_and_saveexec_b64 s[0:1], vcc
	s_cbranch_execz .LBB34_8
.LBB34_17:
	v_add_u32_e32 v4, s2, v0
	v_mov_b32_e32 v5, 0
	v_lshlrev_b64 v[4:5], 1, v[4:5]
	v_mov_b32_e32 v3, s11
	v_add_co_u32_e32 v4, vcc, s10, v4
	v_addc_co_u32_e32 v5, vcc, v3, v5, vcc
	v_add_u32_e32 v0, 0x100, v0
	global_store_short v[4:5], v2, off
	s_or_b64 exec, exec, s[0:1]
	v_cmp_gt_i32_e32 vcc, s4, v0
	s_and_saveexec_b64 s[0:1], vcc
	s_cbranch_execz .LBB34_9
.LBB34_18:
	v_add_u32_e32 v4, s2, v0
	v_mov_b32_e32 v5, 0
	v_lshlrev_b64 v[4:5], 1, v[4:5]
	v_mov_b32_e32 v3, s11
	v_add_co_u32_e32 v4, vcc, s10, v4
	v_addc_co_u32_e32 v5, vcc, v3, v5, vcc
	v_add_u32_e32 v0, 0x100, v0
	global_store_short_d16_hi v[4:5], v2, off
	s_or_b64 exec, exec, s[0:1]
	v_cmp_gt_i32_e32 vcc, s4, v0
	s_and_saveexec_b64 s[0:1], vcc
	s_cbranch_execz .LBB34_10
.LBB34_19:
	v_add_u32_e32 v2, s2, v0
	v_mov_b32_e32 v3, 0
	v_lshlrev_b64 v[2:3], 1, v[2:3]
	v_mov_b32_e32 v4, s11
	v_add_co_u32_e32 v2, vcc, s10, v2
	v_addc_co_u32_e32 v3, vcc, v4, v3, vcc
	v_add_u32_e32 v0, 0x100, v0
	global_store_short v[2:3], v1, off
	s_or_b64 exec, exec, s[0:1]
	v_cmp_gt_i32_e32 vcc, s4, v0
	s_and_saveexec_b64 s[0:1], vcc
	s_cbranch_execnz .LBB34_11
	s_branch .LBB34_12
	.section	.rodata,"a",@progbits
	.p2align	6, 0x0
	.amdhsa_kernel _ZN2at6native29vectorized_elementwise_kernelILi4ENS0_11FillFunctorIsEESt5arrayIPcLm1EEEEviT0_T1_
		.amdhsa_group_segment_fixed_size 0
		.amdhsa_private_segment_fixed_size 0
		.amdhsa_kernarg_size 16
		.amdhsa_user_sgpr_count 6
		.amdhsa_user_sgpr_private_segment_buffer 1
		.amdhsa_user_sgpr_dispatch_ptr 0
		.amdhsa_user_sgpr_queue_ptr 0
		.amdhsa_user_sgpr_kernarg_segment_ptr 1
		.amdhsa_user_sgpr_dispatch_id 0
		.amdhsa_user_sgpr_flat_scratch_init 0
		.amdhsa_user_sgpr_kernarg_preload_length 0
		.amdhsa_user_sgpr_kernarg_preload_offset 0
		.amdhsa_user_sgpr_private_segment_size 0
		.amdhsa_uses_dynamic_stack 0
		.amdhsa_system_sgpr_private_segment_wavefront_offset 0
		.amdhsa_system_sgpr_workgroup_id_x 1
		.amdhsa_system_sgpr_workgroup_id_y 0
		.amdhsa_system_sgpr_workgroup_id_z 0
		.amdhsa_system_sgpr_workgroup_info 0
		.amdhsa_system_vgpr_workitem_id 0
		.amdhsa_next_free_vgpr 8
		.amdhsa_next_free_sgpr 12
		.amdhsa_accum_offset 8
		.amdhsa_reserve_vcc 1
		.amdhsa_reserve_flat_scratch 0
		.amdhsa_float_round_mode_32 0
		.amdhsa_float_round_mode_16_64 0
		.amdhsa_float_denorm_mode_32 3
		.amdhsa_float_denorm_mode_16_64 3
		.amdhsa_dx10_clamp 1
		.amdhsa_ieee_mode 1
		.amdhsa_fp16_overflow 0
		.amdhsa_tg_split 0
		.amdhsa_exception_fp_ieee_invalid_op 0
		.amdhsa_exception_fp_denorm_src 0
		.amdhsa_exception_fp_ieee_div_zero 0
		.amdhsa_exception_fp_ieee_overflow 0
		.amdhsa_exception_fp_ieee_underflow 0
		.amdhsa_exception_fp_ieee_inexact 0
		.amdhsa_exception_int_div_zero 0
	.end_amdhsa_kernel
	.section	.text._ZN2at6native29vectorized_elementwise_kernelILi4ENS0_11FillFunctorIsEESt5arrayIPcLm1EEEEviT0_T1_,"axG",@progbits,_ZN2at6native29vectorized_elementwise_kernelILi4ENS0_11FillFunctorIsEESt5arrayIPcLm1EEEEviT0_T1_,comdat
.Lfunc_end34:
	.size	_ZN2at6native29vectorized_elementwise_kernelILi4ENS0_11FillFunctorIsEESt5arrayIPcLm1EEEEviT0_T1_, .Lfunc_end34-_ZN2at6native29vectorized_elementwise_kernelILi4ENS0_11FillFunctorIsEESt5arrayIPcLm1EEEEviT0_T1_
                                        ; -- End function
	.section	.AMDGPU.csdata,"",@progbits
; Kernel info:
; codeLenInByte = 812
; NumSgprs: 16
; NumVgprs: 8
; NumAgprs: 0
; TotalNumVgprs: 8
; ScratchSize: 0
; MemoryBound: 0
; FloatMode: 240
; IeeeMode: 1
; LDSByteSize: 0 bytes/workgroup (compile time only)
; SGPRBlocks: 1
; VGPRBlocks: 0
; NumSGPRsForWavesPerEU: 16
; NumVGPRsForWavesPerEU: 8
; AccumOffset: 8
; Occupancy: 8
; WaveLimiterHint : 1
; COMPUTE_PGM_RSRC2:SCRATCH_EN: 0
; COMPUTE_PGM_RSRC2:USER_SGPR: 6
; COMPUTE_PGM_RSRC2:TRAP_HANDLER: 0
; COMPUTE_PGM_RSRC2:TGID_X_EN: 1
; COMPUTE_PGM_RSRC2:TGID_Y_EN: 0
; COMPUTE_PGM_RSRC2:TGID_Z_EN: 0
; COMPUTE_PGM_RSRC2:TIDIG_COMP_CNT: 0
; COMPUTE_PGM_RSRC3_GFX90A:ACCUM_OFFSET: 1
; COMPUTE_PGM_RSRC3_GFX90A:TG_SPLIT: 0
	.section	.text._ZN2at6native29vectorized_elementwise_kernelILi2ENS0_11FillFunctorIsEESt5arrayIPcLm1EEEEviT0_T1_,"axG",@progbits,_ZN2at6native29vectorized_elementwise_kernelILi2ENS0_11FillFunctorIsEESt5arrayIPcLm1EEEEviT0_T1_,comdat
	.protected	_ZN2at6native29vectorized_elementwise_kernelILi2ENS0_11FillFunctorIsEESt5arrayIPcLm1EEEEviT0_T1_ ; -- Begin function _ZN2at6native29vectorized_elementwise_kernelILi2ENS0_11FillFunctorIsEESt5arrayIPcLm1EEEEviT0_T1_
	.globl	_ZN2at6native29vectorized_elementwise_kernelILi2ENS0_11FillFunctorIsEESt5arrayIPcLm1EEEEviT0_T1_
	.p2align	8
	.type	_ZN2at6native29vectorized_elementwise_kernelILi2ENS0_11FillFunctorIsEESt5arrayIPcLm1EEEEviT0_T1_,@function
_ZN2at6native29vectorized_elementwise_kernelILi2ENS0_11FillFunctorIsEESt5arrayIPcLm1EEEEviT0_T1_: ; @_ZN2at6native29vectorized_elementwise_kernelILi2ENS0_11FillFunctorIsEESt5arrayIPcLm1EEEEviT0_T1_
; %bb.0:
	s_load_dwordx4 s[8:11], s[4:5], 0x0
	s_lshl_b32 s2, s6, 11
	s_mov_b64 s[0:1], -1
	s_waitcnt lgkmcnt(0)
	s_sub_i32 s4, s8, s2
	s_cmpk_gt_i32 s4, 0x7ff
	s_cbranch_scc0 .LBB35_2
; %bb.1:
	s_ashr_i32 s3, s2, 31
	s_lshl_b64 s[0:1], s[2:3], 1
	s_add_u32 s0, s10, s0
	s_addc_u32 s1, s11, s1
	s_and_b32 s3, 0xffff, s9
	s_mul_i32 s3, s3, 0x10001
	v_lshlrev_b32_e32 v1, 2, v0
	v_mov_b32_e32 v2, s3
	global_store_dword v1, v2, s[0:1]
	global_store_dword v1, v2, s[0:1] offset:1024
	global_store_dword v1, v2, s[0:1] offset:2048
	global_store_dword v1, v2, s[0:1] offset:3072
	s_mov_b64 s[0:1], 0
.LBB35_2:
	s_andn2_b64 vcc, exec, s[0:1]
	s_cbranch_vccnz .LBB35_12
; %bb.3:
	v_or_b32_e32 v5, 0x100, v0
	s_pack_ll_b32_b16 s0, s9, s9
	v_mov_b32_e32 v1, s9
	v_mov_b32_e32 v6, s0
	v_cmp_gt_i32_e64 s[0:1], s4, v5
	v_cndmask_b32_e64 v4, v1, v6, s[0:1]
	v_or_b32_e32 v2, 0x300, v0
	s_and_b32 s0, 0xffff, s9
	v_mov_b32_e32 v7, s0
	v_cmp_gt_i32_e64 s[0:1], s4, v2
	v_or_b32_e32 v2, 0x500, v0
	v_cndmask_b32_e64 v3, v7, v6, s[0:1]
	v_cmp_gt_i32_e64 s[0:1], s4, v2
	v_cndmask_b32_e64 v2, v1, v6, s[0:1]
	v_or_b32_e32 v1, 0x700, v0
	v_cmp_gt_i32_e64 s[0:1], s4, v1
	v_cmp_gt_i32_e32 vcc, s4, v0
	v_cndmask_b32_e64 v1, v7, v6, s[0:1]
	s_and_saveexec_b64 s[0:1], vcc
	s_cbranch_execnz .LBB35_13
; %bb.4:
	s_or_b64 exec, exec, s[0:1]
	v_cmp_gt_i32_e32 vcc, s4, v0
	s_and_saveexec_b64 s[0:1], vcc
	s_cbranch_execnz .LBB35_14
.LBB35_5:
	s_or_b64 exec, exec, s[0:1]
	v_cmp_gt_i32_e32 vcc, s4, v0
	s_and_saveexec_b64 s[0:1], vcc
	s_cbranch_execnz .LBB35_15
.LBB35_6:
	s_or_b64 exec, exec, s[0:1]
	v_cmp_gt_i32_e32 vcc, s4, v0
	s_and_saveexec_b64 s[0:1], vcc
	s_cbranch_execnz .LBB35_16
.LBB35_7:
	s_or_b64 exec, exec, s[0:1]
	v_cmp_gt_i32_e32 vcc, s4, v0
	s_and_saveexec_b64 s[0:1], vcc
	s_cbranch_execnz .LBB35_17
.LBB35_8:
	s_or_b64 exec, exec, s[0:1]
	v_cmp_gt_i32_e32 vcc, s4, v0
	s_and_saveexec_b64 s[0:1], vcc
	s_cbranch_execnz .LBB35_18
.LBB35_9:
	s_or_b64 exec, exec, s[0:1]
	v_cmp_gt_i32_e32 vcc, s4, v0
	s_and_saveexec_b64 s[0:1], vcc
	s_cbranch_execnz .LBB35_19
.LBB35_10:
	s_or_b64 exec, exec, s[0:1]
	v_cmp_gt_i32_e32 vcc, s4, v0
	s_and_saveexec_b64 s[0:1], vcc
	s_cbranch_execz .LBB35_12
.LBB35_11:
	v_add_u32_e32 v2, s2, v0
	v_mov_b32_e32 v3, 0
	v_lshlrev_b64 v[2:3], 1, v[2:3]
	v_mov_b32_e32 v0, s11
	v_add_co_u32_e32 v2, vcc, s10, v2
	v_addc_co_u32_e32 v3, vcc, v0, v3, vcc
	global_store_short_d16_hi v[2:3], v1, off
.LBB35_12:
	s_endpgm
.LBB35_13:
	v_or_b32_e32 v6, s2, v0
	v_mov_b32_e32 v7, 0
	v_lshlrev_b64 v[6:7], 1, v[6:7]
	v_mov_b32_e32 v0, s11
	v_add_co_u32_e32 v6, vcc, s10, v6
	v_addc_co_u32_e32 v7, vcc, v0, v7, vcc
	v_mov_b32_e32 v0, v5
	global_store_short v[6:7], v4, off
	s_or_b64 exec, exec, s[0:1]
	v_cmp_gt_i32_e32 vcc, s4, v0
	s_and_saveexec_b64 s[0:1], vcc
	s_cbranch_execz .LBB35_5
.LBB35_14:
	v_add_u32_e32 v6, s2, v0
	v_mov_b32_e32 v7, 0
	v_lshlrev_b64 v[6:7], 1, v[6:7]
	v_mov_b32_e32 v5, s11
	v_add_co_u32_e32 v6, vcc, s10, v6
	v_addc_co_u32_e32 v7, vcc, v5, v7, vcc
	v_add_u32_e32 v0, 0x100, v0
	global_store_short_d16_hi v[6:7], v4, off
	s_or_b64 exec, exec, s[0:1]
	v_cmp_gt_i32_e32 vcc, s4, v0
	s_and_saveexec_b64 s[0:1], vcc
	s_cbranch_execz .LBB35_6
.LBB35_15:
	v_add_u32_e32 v4, s2, v0
	v_mov_b32_e32 v5, 0
	v_lshlrev_b64 v[4:5], 1, v[4:5]
	v_mov_b32_e32 v6, s11
	v_add_co_u32_e32 v4, vcc, s10, v4
	v_addc_co_u32_e32 v5, vcc, v6, v5, vcc
	v_add_u32_e32 v0, 0x100, v0
	global_store_short v[4:5], v3, off
	s_or_b64 exec, exec, s[0:1]
	v_cmp_gt_i32_e32 vcc, s4, v0
	s_and_saveexec_b64 s[0:1], vcc
	s_cbranch_execz .LBB35_7
.LBB35_16:
	v_add_u32_e32 v4, s2, v0
	v_mov_b32_e32 v5, 0
	v_lshlrev_b64 v[4:5], 1, v[4:5]
	v_mov_b32_e32 v6, s11
	v_add_co_u32_e32 v4, vcc, s10, v4
	v_addc_co_u32_e32 v5, vcc, v6, v5, vcc
	v_add_u32_e32 v0, 0x100, v0
	global_store_short_d16_hi v[4:5], v3, off
	s_or_b64 exec, exec, s[0:1]
	v_cmp_gt_i32_e32 vcc, s4, v0
	s_and_saveexec_b64 s[0:1], vcc
	s_cbranch_execz .LBB35_8
.LBB35_17:
	v_add_u32_e32 v4, s2, v0
	v_mov_b32_e32 v5, 0
	v_lshlrev_b64 v[4:5], 1, v[4:5]
	v_mov_b32_e32 v3, s11
	v_add_co_u32_e32 v4, vcc, s10, v4
	v_addc_co_u32_e32 v5, vcc, v3, v5, vcc
	v_add_u32_e32 v0, 0x100, v0
	global_store_short v[4:5], v2, off
	s_or_b64 exec, exec, s[0:1]
	v_cmp_gt_i32_e32 vcc, s4, v0
	s_and_saveexec_b64 s[0:1], vcc
	s_cbranch_execz .LBB35_9
.LBB35_18:
	v_add_u32_e32 v4, s2, v0
	v_mov_b32_e32 v5, 0
	v_lshlrev_b64 v[4:5], 1, v[4:5]
	v_mov_b32_e32 v3, s11
	v_add_co_u32_e32 v4, vcc, s10, v4
	v_addc_co_u32_e32 v5, vcc, v3, v5, vcc
	v_add_u32_e32 v0, 0x100, v0
	global_store_short_d16_hi v[4:5], v2, off
	s_or_b64 exec, exec, s[0:1]
	v_cmp_gt_i32_e32 vcc, s4, v0
	s_and_saveexec_b64 s[0:1], vcc
	s_cbranch_execz .LBB35_10
.LBB35_19:
	v_add_u32_e32 v2, s2, v0
	v_mov_b32_e32 v3, 0
	v_lshlrev_b64 v[2:3], 1, v[2:3]
	v_mov_b32_e32 v4, s11
	v_add_co_u32_e32 v2, vcc, s10, v2
	v_addc_co_u32_e32 v3, vcc, v4, v3, vcc
	v_add_u32_e32 v0, 0x100, v0
	global_store_short v[2:3], v1, off
	s_or_b64 exec, exec, s[0:1]
	v_cmp_gt_i32_e32 vcc, s4, v0
	s_and_saveexec_b64 s[0:1], vcc
	s_cbranch_execnz .LBB35_11
	s_branch .LBB35_12
	.section	.rodata,"a",@progbits
	.p2align	6, 0x0
	.amdhsa_kernel _ZN2at6native29vectorized_elementwise_kernelILi2ENS0_11FillFunctorIsEESt5arrayIPcLm1EEEEviT0_T1_
		.amdhsa_group_segment_fixed_size 0
		.amdhsa_private_segment_fixed_size 0
		.amdhsa_kernarg_size 16
		.amdhsa_user_sgpr_count 6
		.amdhsa_user_sgpr_private_segment_buffer 1
		.amdhsa_user_sgpr_dispatch_ptr 0
		.amdhsa_user_sgpr_queue_ptr 0
		.amdhsa_user_sgpr_kernarg_segment_ptr 1
		.amdhsa_user_sgpr_dispatch_id 0
		.amdhsa_user_sgpr_flat_scratch_init 0
		.amdhsa_user_sgpr_kernarg_preload_length 0
		.amdhsa_user_sgpr_kernarg_preload_offset 0
		.amdhsa_user_sgpr_private_segment_size 0
		.amdhsa_uses_dynamic_stack 0
		.amdhsa_system_sgpr_private_segment_wavefront_offset 0
		.amdhsa_system_sgpr_workgroup_id_x 1
		.amdhsa_system_sgpr_workgroup_id_y 0
		.amdhsa_system_sgpr_workgroup_id_z 0
		.amdhsa_system_sgpr_workgroup_info 0
		.amdhsa_system_vgpr_workitem_id 0
		.amdhsa_next_free_vgpr 8
		.amdhsa_next_free_sgpr 12
		.amdhsa_accum_offset 8
		.amdhsa_reserve_vcc 1
		.amdhsa_reserve_flat_scratch 0
		.amdhsa_float_round_mode_32 0
		.amdhsa_float_round_mode_16_64 0
		.amdhsa_float_denorm_mode_32 3
		.amdhsa_float_denorm_mode_16_64 3
		.amdhsa_dx10_clamp 1
		.amdhsa_ieee_mode 1
		.amdhsa_fp16_overflow 0
		.amdhsa_tg_split 0
		.amdhsa_exception_fp_ieee_invalid_op 0
		.amdhsa_exception_fp_denorm_src 0
		.amdhsa_exception_fp_ieee_div_zero 0
		.amdhsa_exception_fp_ieee_overflow 0
		.amdhsa_exception_fp_ieee_underflow 0
		.amdhsa_exception_fp_ieee_inexact 0
		.amdhsa_exception_int_div_zero 0
	.end_amdhsa_kernel
	.section	.text._ZN2at6native29vectorized_elementwise_kernelILi2ENS0_11FillFunctorIsEESt5arrayIPcLm1EEEEviT0_T1_,"axG",@progbits,_ZN2at6native29vectorized_elementwise_kernelILi2ENS0_11FillFunctorIsEESt5arrayIPcLm1EEEEviT0_T1_,comdat
.Lfunc_end35:
	.size	_ZN2at6native29vectorized_elementwise_kernelILi2ENS0_11FillFunctorIsEESt5arrayIPcLm1EEEEviT0_T1_, .Lfunc_end35-_ZN2at6native29vectorized_elementwise_kernelILi2ENS0_11FillFunctorIsEESt5arrayIPcLm1EEEEviT0_T1_
                                        ; -- End function
	.section	.AMDGPU.csdata,"",@progbits
; Kernel info:
; codeLenInByte = 820
; NumSgprs: 16
; NumVgprs: 8
; NumAgprs: 0
; TotalNumVgprs: 8
; ScratchSize: 0
; MemoryBound: 0
; FloatMode: 240
; IeeeMode: 1
; LDSByteSize: 0 bytes/workgroup (compile time only)
; SGPRBlocks: 1
; VGPRBlocks: 0
; NumSGPRsForWavesPerEU: 16
; NumVGPRsForWavesPerEU: 8
; AccumOffset: 8
; Occupancy: 8
; WaveLimiterHint : 1
; COMPUTE_PGM_RSRC2:SCRATCH_EN: 0
; COMPUTE_PGM_RSRC2:USER_SGPR: 6
; COMPUTE_PGM_RSRC2:TRAP_HANDLER: 0
; COMPUTE_PGM_RSRC2:TGID_X_EN: 1
; COMPUTE_PGM_RSRC2:TGID_Y_EN: 0
; COMPUTE_PGM_RSRC2:TGID_Z_EN: 0
; COMPUTE_PGM_RSRC2:TIDIG_COMP_CNT: 0
; COMPUTE_PGM_RSRC3_GFX90A:ACCUM_OFFSET: 1
; COMPUTE_PGM_RSRC3_GFX90A:TG_SPLIT: 0
	.section	.text._ZN2at6native27unrolled_elementwise_kernelINS0_11FillFunctorIsEESt5arrayIPcLm1EELi4E23TrivialOffsetCalculatorILi0EjES7_ILi1EjENS0_6memory15LoadWithoutCastENSA_16StoreWithoutCastEEEviT_T0_T2_T3_T4_T5_,"axG",@progbits,_ZN2at6native27unrolled_elementwise_kernelINS0_11FillFunctorIsEESt5arrayIPcLm1EELi4E23TrivialOffsetCalculatorILi0EjES7_ILi1EjENS0_6memory15LoadWithoutCastENSA_16StoreWithoutCastEEEviT_T0_T2_T3_T4_T5_,comdat
	.protected	_ZN2at6native27unrolled_elementwise_kernelINS0_11FillFunctorIsEESt5arrayIPcLm1EELi4E23TrivialOffsetCalculatorILi0EjES7_ILi1EjENS0_6memory15LoadWithoutCastENSA_16StoreWithoutCastEEEviT_T0_T2_T3_T4_T5_ ; -- Begin function _ZN2at6native27unrolled_elementwise_kernelINS0_11FillFunctorIsEESt5arrayIPcLm1EELi4E23TrivialOffsetCalculatorILi0EjES7_ILi1EjENS0_6memory15LoadWithoutCastENSA_16StoreWithoutCastEEEviT_T0_T2_T3_T4_T5_
	.globl	_ZN2at6native27unrolled_elementwise_kernelINS0_11FillFunctorIsEESt5arrayIPcLm1EELi4E23TrivialOffsetCalculatorILi0EjES7_ILi1EjENS0_6memory15LoadWithoutCastENSA_16StoreWithoutCastEEEviT_T0_T2_T3_T4_T5_
	.p2align	8
	.type	_ZN2at6native27unrolled_elementwise_kernelINS0_11FillFunctorIsEESt5arrayIPcLm1EELi4E23TrivialOffsetCalculatorILi0EjES7_ILi1EjENS0_6memory15LoadWithoutCastENSA_16StoreWithoutCastEEEviT_T0_T2_T3_T4_T5_,@function
_ZN2at6native27unrolled_elementwise_kernelINS0_11FillFunctorIsEESt5arrayIPcLm1EELi4E23TrivialOffsetCalculatorILi0EjES7_ILi1EjENS0_6memory15LoadWithoutCastENSA_16StoreWithoutCastEEEviT_T0_T2_T3_T4_T5_: ; @_ZN2at6native27unrolled_elementwise_kernelINS0_11FillFunctorIsEESt5arrayIPcLm1EELi4E23TrivialOffsetCalculatorILi0EjES7_ILi1EjENS0_6memory15LoadWithoutCastENSA_16StoreWithoutCastEEEviT_T0_T2_T3_T4_T5_
; %bb.0:
	s_load_dwordx4 s[8:11], s[4:5], 0x0
	s_lshl_b32 s2, s6, 10
	v_or_b32_e32 v3, 0x100, v0
	s_waitcnt lgkmcnt(0)
	s_sub_i32 s3, s8, s2
	s_pack_ll_b32_b16 s0, s9, s9
	v_mov_b32_e32 v1, s9
	v_mov_b32_e32 v4, s0
	v_cmp_gt_i32_e64 s[0:1], s3, v3
	v_cndmask_b32_e64 v2, v1, v4, s[0:1]
	s_and_b32 s0, 0xffff, s9
	v_or_b32_e32 v1, 0x300, v0
	v_mov_b32_e32 v5, s0
	v_cmp_gt_i32_e64 s[0:1], s3, v1
	v_cmp_gt_i32_e32 vcc, s3, v0
	v_cndmask_b32_e64 v1, v5, v4, s[0:1]
	s_and_saveexec_b64 s[0:1], vcc
	s_cbranch_execnz .LBB36_5
; %bb.1:
	s_or_b64 exec, exec, s[0:1]
	v_cmp_gt_i32_e32 vcc, s3, v0
	s_and_saveexec_b64 s[0:1], vcc
	s_cbranch_execnz .LBB36_6
.LBB36_2:
	s_or_b64 exec, exec, s[0:1]
	v_cmp_gt_i32_e32 vcc, s3, v0
	s_and_saveexec_b64 s[0:1], vcc
	s_cbranch_execnz .LBB36_7
.LBB36_3:
	s_or_b64 exec, exec, s[0:1]
	v_cmp_gt_i32_e32 vcc, s3, v0
	s_and_saveexec_b64 s[0:1], vcc
	s_cbranch_execnz .LBB36_8
.LBB36_4:
	s_endpgm
.LBB36_5:
	v_or_b32_e32 v4, s2, v0
	v_mov_b32_e32 v5, 0
	v_lshlrev_b64 v[4:5], 1, v[4:5]
	v_mov_b32_e32 v0, s11
	v_add_co_u32_e32 v4, vcc, s10, v4
	v_addc_co_u32_e32 v5, vcc, v0, v5, vcc
	v_mov_b32_e32 v0, v3
	global_store_short v[4:5], v2, off
	s_or_b64 exec, exec, s[0:1]
	v_cmp_gt_i32_e32 vcc, s3, v0
	s_and_saveexec_b64 s[0:1], vcc
	s_cbranch_execz .LBB36_2
.LBB36_6:
	v_add_u32_e32 v4, s2, v0
	v_mov_b32_e32 v5, 0
	v_lshlrev_b64 v[4:5], 1, v[4:5]
	v_add_u32_e32 v3, 0x100, v0
	v_mov_b32_e32 v0, s11
	v_add_co_u32_e32 v4, vcc, s10, v4
	v_addc_co_u32_e32 v5, vcc, v0, v5, vcc
	v_mov_b32_e32 v0, v3
	global_store_short_d16_hi v[4:5], v2, off
	s_or_b64 exec, exec, s[0:1]
	v_cmp_gt_i32_e32 vcc, s3, v0
	s_and_saveexec_b64 s[0:1], vcc
	s_cbranch_execz .LBB36_3
.LBB36_7:
	v_add_u32_e32 v2, s2, v0
	v_mov_b32_e32 v3, 0
	v_lshlrev_b64 v[2:3], 1, v[2:3]
	v_add_u32_e32 v4, 0x100, v0
	v_mov_b32_e32 v0, s11
	v_add_co_u32_e32 v2, vcc, s10, v2
	v_addc_co_u32_e32 v3, vcc, v0, v3, vcc
	v_mov_b32_e32 v0, v4
	global_store_short v[2:3], v1, off
	s_or_b64 exec, exec, s[0:1]
	v_cmp_gt_i32_e32 vcc, s3, v0
	s_and_saveexec_b64 s[0:1], vcc
	s_cbranch_execz .LBB36_4
.LBB36_8:
	v_add_u32_e32 v2, s2, v0
	v_mov_b32_e32 v3, 0
	v_lshlrev_b64 v[2:3], 1, v[2:3]
	v_mov_b32_e32 v0, s11
	v_add_co_u32_e32 v2, vcc, s10, v2
	v_addc_co_u32_e32 v3, vcc, v0, v3, vcc
	global_store_short_d16_hi v[2:3], v1, off
	s_endpgm
	.section	.rodata,"a",@progbits
	.p2align	6, 0x0
	.amdhsa_kernel _ZN2at6native27unrolled_elementwise_kernelINS0_11FillFunctorIsEESt5arrayIPcLm1EELi4E23TrivialOffsetCalculatorILi0EjES7_ILi1EjENS0_6memory15LoadWithoutCastENSA_16StoreWithoutCastEEEviT_T0_T2_T3_T4_T5_
		.amdhsa_group_segment_fixed_size 0
		.amdhsa_private_segment_fixed_size 0
		.amdhsa_kernarg_size 20
		.amdhsa_user_sgpr_count 6
		.amdhsa_user_sgpr_private_segment_buffer 1
		.amdhsa_user_sgpr_dispatch_ptr 0
		.amdhsa_user_sgpr_queue_ptr 0
		.amdhsa_user_sgpr_kernarg_segment_ptr 1
		.amdhsa_user_sgpr_dispatch_id 0
		.amdhsa_user_sgpr_flat_scratch_init 0
		.amdhsa_user_sgpr_kernarg_preload_length 0
		.amdhsa_user_sgpr_kernarg_preload_offset 0
		.amdhsa_user_sgpr_private_segment_size 0
		.amdhsa_uses_dynamic_stack 0
		.amdhsa_system_sgpr_private_segment_wavefront_offset 0
		.amdhsa_system_sgpr_workgroup_id_x 1
		.amdhsa_system_sgpr_workgroup_id_y 0
		.amdhsa_system_sgpr_workgroup_id_z 0
		.amdhsa_system_sgpr_workgroup_info 0
		.amdhsa_system_vgpr_workitem_id 0
		.amdhsa_next_free_vgpr 6
		.amdhsa_next_free_sgpr 12
		.amdhsa_accum_offset 8
		.amdhsa_reserve_vcc 1
		.amdhsa_reserve_flat_scratch 0
		.amdhsa_float_round_mode_32 0
		.amdhsa_float_round_mode_16_64 0
		.amdhsa_float_denorm_mode_32 3
		.amdhsa_float_denorm_mode_16_64 3
		.amdhsa_dx10_clamp 1
		.amdhsa_ieee_mode 1
		.amdhsa_fp16_overflow 0
		.amdhsa_tg_split 0
		.amdhsa_exception_fp_ieee_invalid_op 0
		.amdhsa_exception_fp_denorm_src 0
		.amdhsa_exception_fp_ieee_div_zero 0
		.amdhsa_exception_fp_ieee_overflow 0
		.amdhsa_exception_fp_ieee_underflow 0
		.amdhsa_exception_fp_ieee_inexact 0
		.amdhsa_exception_int_div_zero 0
	.end_amdhsa_kernel
	.section	.text._ZN2at6native27unrolled_elementwise_kernelINS0_11FillFunctorIsEESt5arrayIPcLm1EELi4E23TrivialOffsetCalculatorILi0EjES7_ILi1EjENS0_6memory15LoadWithoutCastENSA_16StoreWithoutCastEEEviT_T0_T2_T3_T4_T5_,"axG",@progbits,_ZN2at6native27unrolled_elementwise_kernelINS0_11FillFunctorIsEESt5arrayIPcLm1EELi4E23TrivialOffsetCalculatorILi0EjES7_ILi1EjENS0_6memory15LoadWithoutCastENSA_16StoreWithoutCastEEEviT_T0_T2_T3_T4_T5_,comdat
.Lfunc_end36:
	.size	_ZN2at6native27unrolled_elementwise_kernelINS0_11FillFunctorIsEESt5arrayIPcLm1EELi4E23TrivialOffsetCalculatorILi0EjES7_ILi1EjENS0_6memory15LoadWithoutCastENSA_16StoreWithoutCastEEEviT_T0_T2_T3_T4_T5_, .Lfunc_end36-_ZN2at6native27unrolled_elementwise_kernelINS0_11FillFunctorIsEESt5arrayIPcLm1EELi4E23TrivialOffsetCalculatorILi0EjES7_ILi1EjENS0_6memory15LoadWithoutCastENSA_16StoreWithoutCastEEEviT_T0_T2_T3_T4_T5_
                                        ; -- End function
	.section	.AMDGPU.csdata,"",@progbits
; Kernel info:
; codeLenInByte = 380
; NumSgprs: 16
; NumVgprs: 6
; NumAgprs: 0
; TotalNumVgprs: 6
; ScratchSize: 0
; MemoryBound: 0
; FloatMode: 240
; IeeeMode: 1
; LDSByteSize: 0 bytes/workgroup (compile time only)
; SGPRBlocks: 1
; VGPRBlocks: 0
; NumSGPRsForWavesPerEU: 16
; NumVGPRsForWavesPerEU: 6
; AccumOffset: 8
; Occupancy: 8
; WaveLimiterHint : 0
; COMPUTE_PGM_RSRC2:SCRATCH_EN: 0
; COMPUTE_PGM_RSRC2:USER_SGPR: 6
; COMPUTE_PGM_RSRC2:TRAP_HANDLER: 0
; COMPUTE_PGM_RSRC2:TGID_X_EN: 1
; COMPUTE_PGM_RSRC2:TGID_Y_EN: 0
; COMPUTE_PGM_RSRC2:TGID_Z_EN: 0
; COMPUTE_PGM_RSRC2:TIDIG_COMP_CNT: 0
; COMPUTE_PGM_RSRC3_GFX90A:ACCUM_OFFSET: 1
; COMPUTE_PGM_RSRC3_GFX90A:TG_SPLIT: 0
	.section	.text._ZN2at6native32elementwise_kernel_manual_unrollILi128ELi8EZNS0_22gpu_kernel_impl_nocastINS0_11FillFunctorIsEEEEvRNS_18TensorIteratorBaseERKT_EUlibE_EEviT1_,"axG",@progbits,_ZN2at6native32elementwise_kernel_manual_unrollILi128ELi8EZNS0_22gpu_kernel_impl_nocastINS0_11FillFunctorIsEEEEvRNS_18TensorIteratorBaseERKT_EUlibE_EEviT1_,comdat
	.protected	_ZN2at6native32elementwise_kernel_manual_unrollILi128ELi8EZNS0_22gpu_kernel_impl_nocastINS0_11FillFunctorIsEEEEvRNS_18TensorIteratorBaseERKT_EUlibE_EEviT1_ ; -- Begin function _ZN2at6native32elementwise_kernel_manual_unrollILi128ELi8EZNS0_22gpu_kernel_impl_nocastINS0_11FillFunctorIsEEEEvRNS_18TensorIteratorBaseERKT_EUlibE_EEviT1_
	.globl	_ZN2at6native32elementwise_kernel_manual_unrollILi128ELi8EZNS0_22gpu_kernel_impl_nocastINS0_11FillFunctorIsEEEEvRNS_18TensorIteratorBaseERKT_EUlibE_EEviT1_
	.p2align	8
	.type	_ZN2at6native32elementwise_kernel_manual_unrollILi128ELi8EZNS0_22gpu_kernel_impl_nocastINS0_11FillFunctorIsEEEEvRNS_18TensorIteratorBaseERKT_EUlibE_EEviT1_,@function
_ZN2at6native32elementwise_kernel_manual_unrollILi128ELi8EZNS0_22gpu_kernel_impl_nocastINS0_11FillFunctorIsEEEEvRNS_18TensorIteratorBaseERKT_EUlibE_EEviT1_: ; @_ZN2at6native32elementwise_kernel_manual_unrollILi128ELi8EZNS0_22gpu_kernel_impl_nocastINS0_11FillFunctorIsEEEEvRNS_18TensorIteratorBaseERKT_EUlibE_EEviT1_
; %bb.0:
	s_load_dword s48, s[4:5], 0x0
	s_load_dword s33, s[4:5], 0x8
	s_or_b32 s4, s4, 8
	v_lshl_or_b32 v12, s6, 10, v0
	v_or_b32_e32 v16, 0x380, v12
	s_waitcnt lgkmcnt(0)
	v_cmp_le_i32_e32 vcc, s48, v16
	s_add_i32 s46, s33, -1
	s_cmp_gt_u32 s46, 1
	s_cselect_b64 s[6:7], -1, 0
	s_and_saveexec_b64 s[0:1], vcc
	s_xor_b64 s[24:25], exec, s[0:1]
	s_cbranch_execz .LBB37_7
; %bb.1:
	s_load_dwordx4 s[0:3], s[4:5], 0x4
	s_load_dwordx2 s[30:31], s[4:5], 0x14
	s_load_dwordx2 s[28:29], s[4:5], 0xc4
	;; [unrolled: 1-line block ×3, first 2 shown]
	s_load_dword s47, s[4:5], 0x110
	s_cmp_lg_u32 s33, 0
	s_cselect_b64 s[38:39], -1, 0
	s_add_u32 s36, s4, 0xc4
	s_addc_u32 s37, s5, 0
	s_min_u32 s49, s46, 15
	s_cmp_gt_u32 s33, 1
	s_cselect_b64 s[34:35], -1, 0
	v_cmp_gt_i32_e32 vcc, s48, v12
	s_and_saveexec_b64 s[40:41], vcc
	s_cbranch_execz .LBB37_14
; %bb.2:
	s_andn2_b64 vcc, exec, s[6:7]
	s_cbranch_vccnz .LBB37_21
; %bb.3:
	s_andn2_b64 vcc, exec, s[38:39]
	s_cbranch_vccnz .LBB37_121
; %bb.4:
	s_add_i32 s51, s49, 1
	s_mov_b32 s50, 0
	s_cmp_eq_u32 s46, 2
	v_mov_b32_e32 v0, 0
	s_cbranch_scc1 .LBB37_123
; %bb.5:
	s_and_b32 s50, s51, 28
	s_mov_b32 s52, 0
	v_mov_b32_e32 v0, 0
	s_mov_b64 s[42:43], s[4:5]
	s_mov_b64 s[44:45], s[36:37]
	v_mov_b32_e32 v2, v12
.LBB37_6:                               ; =>This Inner Loop Header: Depth=1
	s_load_dwordx8 s[8:15], s[42:43], 0x4
	s_load_dwordx4 s[16:19], s[42:43], 0x24
	s_load_dwordx4 s[20:23], s[44:45], 0x0
	s_add_u32 s42, s42, 48
	s_addc_u32 s43, s43, 0
	s_waitcnt lgkmcnt(0)
	v_mul_hi_u32 v1, s9, v2
	v_add_u32_e32 v1, v2, v1
	v_lshrrev_b32_e32 v1, s10, v1
	v_mul_lo_u32 v3, v1, s8
	v_mul_hi_u32 v4, s12, v1
	v_sub_u32_e32 v2, v2, v3
	v_add_u32_e32 v3, v1, v4
	v_lshrrev_b32_e32 v3, s13, v3
	v_mul_lo_u32 v4, v3, s11
	v_mul_hi_u32 v5, s15, v3
	v_sub_u32_e32 v1, v1, v4
	v_add_u32_e32 v4, v3, v5
	v_mul_lo_u32 v2, v2, s20
	v_mul_lo_u32 v1, v1, s21
	v_lshrrev_b32_e32 v4, s16, v4
	v_add3_u32 v0, v2, v0, v1
	v_mul_hi_u32 v2, s18, v4
	v_add_u32_e32 v2, v4, v2
	v_mul_lo_u32 v1, v4, s14
	v_lshrrev_b32_e32 v2, s19, v2
	s_add_i32 s52, s52, 4
	v_sub_u32_e32 v1, v3, v1
	v_mul_lo_u32 v3, v2, s17
	s_add_u32 s44, s44, 16
	v_sub_u32_e32 v3, v4, v3
	s_addc_u32 s45, s45, 0
	v_mul_lo_u32 v1, v1, s22
	v_mul_lo_u32 v3, v3, s23
	s_cmp_lg_u32 s50, s52
	v_add3_u32 v0, v1, v0, v3
	s_cbranch_scc1 .LBB37_6
	s_branch .LBB37_124
.LBB37_7:
	s_andn2_saveexec_b64 s[0:1], s[24:25]
	s_cbranch_execz .LBB37_213
.LBB37_8:
	v_cndmask_b32_e64 v0, 0, 1, s[6:7]
	v_cmp_ne_u32_e64 s[0:1], 1, v0
	s_andn2_b64 vcc, exec, s[6:7]
	s_cbranch_vccnz .LBB37_20
; %bb.9:
	s_mov_b32 s24, 0
	s_cmp_eq_u32 s33, 0
	v_mov_b32_e32 v0, 0
	s_cbranch_scc1 .LBB37_26
; %bb.10:
	s_min_u32 s25, s46, 15
	s_add_i32 s25, s25, 1
	s_cmp_eq_u32 s46, 2
	v_mov_b32_e32 v0, 0
	s_cbranch_scc1 .LBB37_23
; %bb.11:
	s_add_u32 s2, s4, 0xc4
	s_addc_u32 s3, s5, 0
	s_and_b32 s24, s25, 28
	s_mov_b32 s26, 0
	v_mov_b32_e32 v0, 0
	s_mov_b64 s[6:7], s[4:5]
	v_mov_b32_e32 v2, v12
.LBB37_12:                              ; =>This Inner Loop Header: Depth=1
	s_load_dwordx8 s[8:15], s[6:7], 0x4
	s_load_dwordx4 s[16:19], s[6:7], 0x24
	s_load_dwordx4 s[20:23], s[2:3], 0x0
	s_add_u32 s6, s6, 48
	s_addc_u32 s7, s7, 0
	s_waitcnt lgkmcnt(0)
	v_mul_hi_u32 v1, s9, v2
	v_add_u32_e32 v1, v2, v1
	v_lshrrev_b32_e32 v1, s10, v1
	v_mul_lo_u32 v3, v1, s8
	v_mul_hi_u32 v4, s12, v1
	v_sub_u32_e32 v2, v2, v3
	v_add_u32_e32 v3, v1, v4
	v_lshrrev_b32_e32 v3, s13, v3
	v_mul_lo_u32 v4, v3, s11
	v_mul_hi_u32 v5, s15, v3
	v_sub_u32_e32 v1, v1, v4
	v_add_u32_e32 v4, v3, v5
	v_mul_lo_u32 v2, v2, s20
	v_mul_lo_u32 v1, v1, s21
	v_lshrrev_b32_e32 v4, s16, v4
	v_add3_u32 v0, v2, v0, v1
	v_mul_hi_u32 v2, s18, v4
	v_add_u32_e32 v2, v4, v2
	v_mul_lo_u32 v1, v4, s14
	v_lshrrev_b32_e32 v2, s19, v2
	s_add_i32 s26, s26, 4
	v_sub_u32_e32 v1, v3, v1
	v_mul_lo_u32 v3, v2, s17
	s_add_u32 s2, s2, 16
	v_sub_u32_e32 v3, v4, v3
	s_addc_u32 s3, s3, 0
	v_mul_lo_u32 v1, v1, s22
	v_mul_lo_u32 v3, v3, s23
	s_cmp_lg_u32 s24, s26
	v_add3_u32 v0, v1, v0, v3
	s_cbranch_scc1 .LBB37_12
; %bb.13:
	s_and_b32 s8, s25, 3
	s_cmp_eq_u32 s8, 0
	s_cbranch_scc0 .LBB37_24
	s_branch .LBB37_26
.LBB37_14:
	s_or_b64 exec, exec, s[40:41]
	v_cmp_gt_i32_e32 vcc, s48, v12
	s_and_saveexec_b64 s[40:41], vcc
	s_cbranch_execz .LBB37_131
.LBB37_15:
	s_andn2_b64 vcc, exec, s[6:7]
	s_cbranch_vccnz .LBB37_22
; %bb.16:
	s_andn2_b64 vcc, exec, s[38:39]
	s_cbranch_vccnz .LBB37_122
; %bb.17:
	s_add_i32 s51, s49, 1
	s_mov_b32 s50, 0
	s_cmp_eq_u32 s46, 2
	v_mov_b32_e32 v0, 0
	s_cbranch_scc1 .LBB37_139
; %bb.18:
	s_and_b32 s50, s51, 28
	s_mov_b32 s52, 0
	v_mov_b32_e32 v0, 0
	s_mov_b64 s[42:43], s[4:5]
	s_mov_b64 s[44:45], s[36:37]
	v_mov_b32_e32 v2, v12
.LBB37_19:                              ; =>This Inner Loop Header: Depth=1
	s_load_dwordx8 s[8:15], s[42:43], 0x4
	s_load_dwordx4 s[16:19], s[42:43], 0x24
	s_load_dwordx4 s[20:23], s[44:45], 0x0
	s_add_u32 s42, s42, 48
	s_addc_u32 s43, s43, 0
	s_waitcnt lgkmcnt(0)
	v_mul_hi_u32 v1, s9, v2
	v_add_u32_e32 v1, v2, v1
	v_lshrrev_b32_e32 v1, s10, v1
	v_mul_lo_u32 v3, v1, s8
	v_mul_hi_u32 v4, s12, v1
	v_sub_u32_e32 v2, v2, v3
	v_add_u32_e32 v3, v1, v4
	v_lshrrev_b32_e32 v3, s13, v3
	v_mul_lo_u32 v4, v3, s11
	v_mul_hi_u32 v5, s15, v3
	v_sub_u32_e32 v1, v1, v4
	v_add_u32_e32 v4, v3, v5
	v_mul_lo_u32 v2, v2, s20
	v_mul_lo_u32 v1, v1, s21
	v_lshrrev_b32_e32 v4, s16, v4
	v_add3_u32 v0, v2, v0, v1
	v_mul_hi_u32 v2, s18, v4
	v_add_u32_e32 v2, v4, v2
	v_mul_lo_u32 v1, v4, s14
	v_lshrrev_b32_e32 v2, s19, v2
	s_add_i32 s52, s52, 4
	v_sub_u32_e32 v1, v3, v1
	v_mul_lo_u32 v3, v2, s17
	s_add_u32 s44, s44, 16
	v_sub_u32_e32 v3, v4, v3
	s_addc_u32 s45, s45, 0
	v_mul_lo_u32 v1, v1, s22
	v_mul_lo_u32 v3, v3, s23
	s_cmp_eq_u32 s50, s52
	v_add3_u32 v0, v1, v0, v3
	s_cbranch_scc0 .LBB37_19
	s_branch .LBB37_140
.LBB37_20:
                                        ; implicit-def: $vgpr0
	s_branch .LBB37_27
.LBB37_21:
                                        ; implicit-def: $vgpr0
	s_branch .LBB37_128
.LBB37_22:
                                        ; implicit-def: $vgpr0
	s_branch .LBB37_144
.LBB37_23:
	v_mov_b32_e32 v2, v12
	s_and_b32 s8, s25, 3
	s_cmp_eq_u32 s8, 0
	s_cbranch_scc1 .LBB37_26
.LBB37_24:
	s_lshl_b32 s2, s24, 2
	s_add_u32 s2, s2, s4
	s_addc_u32 s3, 0, s5
	s_add_u32 s2, s2, 0xc4
	s_addc_u32 s3, s3, 0
	s_mul_i32 s6, s24, 12
	s_add_u32 s6, s4, s6
	s_addc_u32 s7, 0, s5
.LBB37_25:                              ; =>This Inner Loop Header: Depth=1
	s_load_dwordx2 s[10:11], s[6:7], 0x4
	s_load_dword s9, s[6:7], 0xc
	s_load_dword s12, s[2:3], 0x0
	s_add_u32 s6, s6, 12
	s_addc_u32 s7, s7, 0
	s_waitcnt lgkmcnt(0)
	v_mul_hi_u32 v1, s11, v2
	v_add_u32_e32 v1, v2, v1
	v_lshrrev_b32_e32 v1, s9, v1
	s_add_u32 s2, s2, 4
	v_mul_lo_u32 v3, v1, s10
	s_addc_u32 s3, s3, 0
	s_add_i32 s8, s8, -1
	v_sub_u32_e32 v3, v2, v3
	s_cmp_lg_u32 s8, 0
	v_mov_b32_e32 v2, v1
	v_mad_u64_u32 v[0:1], s[10:11], v3, s12, v[0:1]
	s_cbranch_scc1 .LBB37_25
.LBB37_26:
	s_cbranch_execnz .LBB37_29
.LBB37_27:
	s_load_dwordx4 s[8:11], s[4:5], 0x4
	s_load_dword s2, s[4:5], 0xc4
	s_cmp_lt_u32 s33, 2
	s_waitcnt lgkmcnt(0)
	v_mul_hi_u32 v0, s9, v12
	v_add_u32_e32 v0, v12, v0
	v_lshrrev_b32_e32 v1, s10, v0
	v_mul_lo_u32 v0, v1, s8
	v_sub_u32_e32 v0, v12, v0
	v_mul_lo_u32 v0, v0, s2
	s_cbranch_scc1 .LBB37_29
; %bb.28:
	s_load_dwordx4 s[8:11], s[4:5], 0x10
	s_load_dword s2, s[4:5], 0xc8
	s_waitcnt lgkmcnt(0)
	v_mul_hi_u32 v2, s9, v1
	v_add_u32_e32 v2, v1, v2
	v_lshrrev_b32_e32 v2, s10, v2
	v_mul_lo_u32 v2, v2, s8
	v_sub_u32_e32 v1, v1, v2
	v_mad_u64_u32 v[0:1], s[2:3], v1, s2, v[0:1]
.LBB37_29:
	s_and_b64 vcc, exec, s[0:1]
	v_add_u32_e32 v1, 0x80, v12
	s_cbranch_vccnz .LBB37_35
; %bb.30:
	s_mov_b32 s24, 0
	s_cmp_eq_u32 s33, 0
	v_mov_b32_e32 v2, 0
	s_cbranch_scc1 .LBB37_39
; %bb.31:
	s_min_u32 s25, s46, 15
	s_add_i32 s25, s25, 1
	s_cmp_eq_u32 s46, 2
	v_mov_b32_e32 v2, 0
	s_cbranch_scc1 .LBB37_36
; %bb.32:
	s_add_u32 s2, s4, 0xc4
	s_addc_u32 s3, s5, 0
	s_and_b32 s24, s25, 28
	s_mov_b32 s26, 0
	v_mov_b32_e32 v2, 0
	s_mov_b64 s[6:7], s[4:5]
	v_mov_b32_e32 v4, v1
.LBB37_33:                              ; =>This Inner Loop Header: Depth=1
	s_load_dwordx8 s[8:15], s[6:7], 0x4
	s_load_dwordx4 s[16:19], s[6:7], 0x24
	s_load_dwordx4 s[20:23], s[2:3], 0x0
	s_add_u32 s6, s6, 48
	s_addc_u32 s7, s7, 0
	s_waitcnt lgkmcnt(0)
	v_mul_hi_u32 v3, s9, v4
	v_add_u32_e32 v3, v4, v3
	v_lshrrev_b32_e32 v3, s10, v3
	v_mul_lo_u32 v5, v3, s8
	v_mul_hi_u32 v6, s12, v3
	v_sub_u32_e32 v4, v4, v5
	v_add_u32_e32 v5, v3, v6
	v_lshrrev_b32_e32 v5, s13, v5
	v_mul_lo_u32 v6, v5, s11
	v_mul_hi_u32 v7, s15, v5
	v_sub_u32_e32 v3, v3, v6
	v_add_u32_e32 v6, v5, v7
	v_mul_lo_u32 v4, v4, s20
	v_mul_lo_u32 v3, v3, s21
	v_lshrrev_b32_e32 v6, s16, v6
	v_add3_u32 v2, v4, v2, v3
	v_mul_hi_u32 v4, s18, v6
	v_add_u32_e32 v4, v6, v4
	v_mul_lo_u32 v3, v6, s14
	v_lshrrev_b32_e32 v4, s19, v4
	s_add_i32 s26, s26, 4
	v_sub_u32_e32 v3, v5, v3
	v_mul_lo_u32 v5, v4, s17
	s_add_u32 s2, s2, 16
	v_sub_u32_e32 v5, v6, v5
	s_addc_u32 s3, s3, 0
	v_mul_lo_u32 v3, v3, s22
	v_mul_lo_u32 v5, v5, s23
	s_cmp_lg_u32 s24, s26
	v_add3_u32 v2, v3, v2, v5
	s_cbranch_scc1 .LBB37_33
; %bb.34:
	s_and_b32 s8, s25, 3
	s_cmp_eq_u32 s8, 0
	s_cbranch_scc0 .LBB37_37
	s_branch .LBB37_39
.LBB37_35:
                                        ; implicit-def: $vgpr2
	s_branch .LBB37_40
.LBB37_36:
	v_mov_b32_e32 v4, v1
	s_and_b32 s8, s25, 3
	s_cmp_eq_u32 s8, 0
	s_cbranch_scc1 .LBB37_39
.LBB37_37:
	s_lshl_b32 s2, s24, 2
	s_add_u32 s2, s2, s4
	s_addc_u32 s3, 0, s5
	s_add_u32 s2, s2, 0xc4
	s_addc_u32 s3, s3, 0
	s_mul_i32 s6, s24, 12
	s_add_u32 s6, s4, s6
	s_addc_u32 s7, 0, s5
.LBB37_38:                              ; =>This Inner Loop Header: Depth=1
	s_load_dwordx2 s[10:11], s[6:7], 0x4
	s_load_dword s9, s[6:7], 0xc
	s_load_dword s12, s[2:3], 0x0
	s_add_u32 s6, s6, 12
	s_addc_u32 s7, s7, 0
	s_waitcnt lgkmcnt(0)
	v_mul_hi_u32 v3, s11, v4
	v_add_u32_e32 v3, v4, v3
	v_lshrrev_b32_e32 v3, s9, v3
	s_add_u32 s2, s2, 4
	v_mul_lo_u32 v5, v3, s10
	s_addc_u32 s3, s3, 0
	s_add_i32 s8, s8, -1
	v_sub_u32_e32 v5, v4, v5
	s_cmp_lg_u32 s8, 0
	v_mov_b32_e32 v4, v3
	v_mad_u64_u32 v[2:3], s[10:11], v5, s12, v[2:3]
	s_cbranch_scc1 .LBB37_38
.LBB37_39:
	s_cbranch_execnz .LBB37_42
.LBB37_40:
	s_load_dwordx4 s[8:11], s[4:5], 0x4
	s_load_dword s2, s[4:5], 0xc4
	s_cmp_lt_u32 s33, 2
	s_waitcnt lgkmcnt(0)
	v_mul_hi_u32 v2, s9, v1
	v_add_u32_e32 v2, v1, v2
	v_lshrrev_b32_e32 v3, s10, v2
	v_mul_lo_u32 v2, v3, s8
	v_sub_u32_e32 v1, v1, v2
	v_mul_lo_u32 v2, v1, s2
	s_cbranch_scc1 .LBB37_42
; %bb.41:
	s_load_dwordx4 s[8:11], s[4:5], 0x10
	s_load_dword s2, s[4:5], 0xc8
	s_waitcnt lgkmcnt(0)
	v_mul_hi_u32 v1, s9, v3
	v_add_u32_e32 v1, v3, v1
	v_lshrrev_b32_e32 v1, s10, v1
	v_mul_lo_u32 v1, v1, s8
	v_sub_u32_e32 v1, v3, v1
	v_mad_u64_u32 v[2:3], s[2:3], v1, s2, v[2:3]
.LBB37_42:
	s_and_b64 vcc, exec, s[0:1]
	v_add_u32_e32 v1, 0x100, v12
	s_cbranch_vccnz .LBB37_48
; %bb.43:
	s_mov_b32 s24, 0
	s_cmp_eq_u32 s33, 0
	v_mov_b32_e32 v4, 0
	s_cbranch_scc1 .LBB37_52
; %bb.44:
	s_min_u32 s25, s46, 15
	s_add_i32 s25, s25, 1
	s_cmp_eq_u32 s46, 2
	v_mov_b32_e32 v4, 0
	s_cbranch_scc1 .LBB37_49
; %bb.45:
	s_add_u32 s2, s4, 0xc4
	s_addc_u32 s3, s5, 0
	s_and_b32 s24, s25, 28
	s_mov_b32 s26, 0
	v_mov_b32_e32 v4, 0
	s_mov_b64 s[6:7], s[4:5]
	v_mov_b32_e32 v3, v1
.LBB37_46:                              ; =>This Inner Loop Header: Depth=1
	s_load_dwordx8 s[8:15], s[6:7], 0x4
	s_load_dwordx4 s[16:19], s[6:7], 0x24
	s_load_dwordx4 s[20:23], s[2:3], 0x0
	s_add_u32 s6, s6, 48
	s_addc_u32 s7, s7, 0
	s_waitcnt lgkmcnt(0)
	v_mul_hi_u32 v5, s9, v3
	v_add_u32_e32 v5, v3, v5
	v_lshrrev_b32_e32 v5, s10, v5
	v_mul_lo_u32 v6, v5, s8
	v_mul_hi_u32 v7, s12, v5
	v_sub_u32_e32 v3, v3, v6
	v_add_u32_e32 v6, v5, v7
	v_lshrrev_b32_e32 v6, s13, v6
	v_mul_lo_u32 v7, v6, s11
	v_mul_hi_u32 v8, s15, v6
	v_sub_u32_e32 v5, v5, v7
	v_add_u32_e32 v7, v6, v8
	v_mul_lo_u32 v3, v3, s20
	v_mul_lo_u32 v5, v5, s21
	v_lshrrev_b32_e32 v7, s16, v7
	v_add3_u32 v4, v3, v4, v5
	v_mul_lo_u32 v3, v7, s14
	v_mul_hi_u32 v5, s18, v7
	v_sub_u32_e32 v3, v6, v3
	v_add_u32_e32 v5, v7, v5
	v_mul_lo_u32 v6, v3, s22
	v_lshrrev_b32_e32 v3, s19, v5
	s_add_i32 s26, s26, 4
	v_mul_lo_u32 v5, v3, s17
	s_add_u32 s2, s2, 16
	v_sub_u32_e32 v5, v7, v5
	s_addc_u32 s3, s3, 0
	v_mul_lo_u32 v5, v5, s23
	s_cmp_lg_u32 s24, s26
	v_add3_u32 v4, v6, v4, v5
	s_cbranch_scc1 .LBB37_46
; %bb.47:
	s_and_b32 s8, s25, 3
	s_cmp_eq_u32 s8, 0
	s_cbranch_scc0 .LBB37_50
	s_branch .LBB37_52
.LBB37_48:
                                        ; implicit-def: $vgpr4
	s_branch .LBB37_53
.LBB37_49:
	v_mov_b32_e32 v3, v1
	s_and_b32 s8, s25, 3
	s_cmp_eq_u32 s8, 0
	s_cbranch_scc1 .LBB37_52
.LBB37_50:
	s_lshl_b32 s2, s24, 2
	s_add_u32 s2, s2, s4
	s_addc_u32 s3, 0, s5
	s_add_u32 s2, s2, 0xc4
	s_addc_u32 s3, s3, 0
	s_mul_i32 s6, s24, 12
	s_add_u32 s6, s4, s6
	s_addc_u32 s7, 0, s5
.LBB37_51:                              ; =>This Inner Loop Header: Depth=1
	s_load_dwordx2 s[10:11], s[6:7], 0x4
	s_load_dword s9, s[6:7], 0xc
	s_load_dword s12, s[2:3], 0x0
	s_add_u32 s6, s6, 12
	s_addc_u32 s7, s7, 0
	s_waitcnt lgkmcnt(0)
	v_mul_hi_u32 v5, s11, v3
	v_add_u32_e32 v5, v3, v5
	v_lshrrev_b32_e32 v5, s9, v5
	s_add_u32 s2, s2, 4
	v_mul_lo_u32 v6, v5, s10
	s_addc_u32 s3, s3, 0
	s_add_i32 s8, s8, -1
	v_sub_u32_e32 v6, v3, v6
	s_cmp_lg_u32 s8, 0
	v_mov_b32_e32 v3, v5
	v_mad_u64_u32 v[4:5], s[10:11], v6, s12, v[4:5]
	s_cbranch_scc1 .LBB37_51
.LBB37_52:
	s_cbranch_execnz .LBB37_55
.LBB37_53:
	s_load_dwordx4 s[8:11], s[4:5], 0x4
	s_load_dword s2, s[4:5], 0xc4
	s_cmp_lt_u32 s33, 2
	s_waitcnt lgkmcnt(0)
	v_mul_hi_u32 v3, s9, v1
	v_add_u32_e32 v3, v1, v3
	v_lshrrev_b32_e32 v3, s10, v3
	v_mul_lo_u32 v4, v3, s8
	v_sub_u32_e32 v1, v1, v4
	v_mul_lo_u32 v4, v1, s2
	s_cbranch_scc1 .LBB37_55
; %bb.54:
	s_load_dwordx4 s[8:11], s[4:5], 0x10
	s_load_dword s2, s[4:5], 0xc8
	s_waitcnt lgkmcnt(0)
	v_mul_hi_u32 v1, s9, v3
	v_add_u32_e32 v1, v3, v1
	v_lshrrev_b32_e32 v1, s10, v1
	v_mul_lo_u32 v1, v1, s8
	v_sub_u32_e32 v1, v3, v1
	v_mad_u64_u32 v[4:5], s[2:3], v1, s2, v[4:5]
.LBB37_55:
	s_and_b64 vcc, exec, s[0:1]
	v_add_u32_e32 v1, 0x180, v12
	s_cbranch_vccnz .LBB37_61
; %bb.56:
	s_mov_b32 s24, 0
	s_cmp_eq_u32 s33, 0
	v_mov_b32_e32 v6, 0
	s_cbranch_scc1 .LBB37_65
; %bb.57:
	s_min_u32 s25, s46, 15
	s_add_i32 s25, s25, 1
	s_cmp_eq_u32 s46, 2
	v_mov_b32_e32 v6, 0
	s_cbranch_scc1 .LBB37_62
; %bb.58:
	s_add_u32 s2, s4, 0xc4
	s_addc_u32 s3, s5, 0
	s_and_b32 s24, s25, 28
	s_mov_b32 s26, 0
	v_mov_b32_e32 v6, 0
	s_mov_b64 s[6:7], s[4:5]
	v_mov_b32_e32 v3, v1
.LBB37_59:                              ; =>This Inner Loop Header: Depth=1
	s_load_dwordx8 s[8:15], s[6:7], 0x4
	s_load_dwordx4 s[16:19], s[6:7], 0x24
	s_load_dwordx4 s[20:23], s[2:3], 0x0
	s_add_u32 s6, s6, 48
	s_addc_u32 s7, s7, 0
	s_waitcnt lgkmcnt(0)
	v_mul_hi_u32 v5, s9, v3
	v_add_u32_e32 v5, v3, v5
	v_lshrrev_b32_e32 v5, s10, v5
	v_mul_lo_u32 v7, v5, s8
	v_mul_hi_u32 v8, s12, v5
	v_sub_u32_e32 v3, v3, v7
	v_add_u32_e32 v7, v5, v8
	v_lshrrev_b32_e32 v7, s13, v7
	v_mul_lo_u32 v8, v7, s11
	v_mul_hi_u32 v9, s15, v7
	v_sub_u32_e32 v5, v5, v8
	v_add_u32_e32 v8, v7, v9
	v_mul_lo_u32 v3, v3, s20
	v_mul_lo_u32 v5, v5, s21
	v_lshrrev_b32_e32 v8, s16, v8
	v_add3_u32 v5, v3, v6, v5
	v_mul_lo_u32 v3, v8, s14
	v_mul_hi_u32 v6, s18, v8
	v_sub_u32_e32 v3, v7, v3
	v_add_u32_e32 v6, v8, v6
	v_mul_lo_u32 v7, v3, s22
	v_lshrrev_b32_e32 v3, s19, v6
	s_add_i32 s26, s26, 4
	v_mul_lo_u32 v6, v3, s17
	s_add_u32 s2, s2, 16
	v_sub_u32_e32 v6, v8, v6
	s_addc_u32 s3, s3, 0
	v_mul_lo_u32 v6, v6, s23
	s_cmp_lg_u32 s24, s26
	v_add3_u32 v6, v7, v5, v6
	s_cbranch_scc1 .LBB37_59
; %bb.60:
	s_and_b32 s8, s25, 3
	s_cmp_eq_u32 s8, 0
	s_cbranch_scc0 .LBB37_63
	s_branch .LBB37_65
.LBB37_61:
                                        ; implicit-def: $vgpr6
	s_branch .LBB37_66
.LBB37_62:
	v_mov_b32_e32 v3, v1
	s_and_b32 s8, s25, 3
	s_cmp_eq_u32 s8, 0
	s_cbranch_scc1 .LBB37_65
.LBB37_63:
	s_lshl_b32 s2, s24, 2
	s_add_u32 s2, s2, s4
	s_addc_u32 s3, 0, s5
	s_add_u32 s2, s2, 0xc4
	s_addc_u32 s3, s3, 0
	s_mul_i32 s6, s24, 12
	s_add_u32 s6, s4, s6
	s_addc_u32 s7, 0, s5
.LBB37_64:                              ; =>This Inner Loop Header: Depth=1
	s_load_dwordx2 s[10:11], s[6:7], 0x4
	s_load_dword s9, s[6:7], 0xc
	s_load_dword s12, s[2:3], 0x0
	s_add_u32 s6, s6, 12
	s_addc_u32 s7, s7, 0
	s_waitcnt lgkmcnt(0)
	v_mul_hi_u32 v5, s11, v3
	v_add_u32_e32 v5, v3, v5
	v_lshrrev_b32_e32 v5, s9, v5
	s_add_u32 s2, s2, 4
	v_mul_lo_u32 v7, v5, s10
	s_addc_u32 s3, s3, 0
	s_add_i32 s8, s8, -1
	v_sub_u32_e32 v7, v3, v7
	s_cmp_lg_u32 s8, 0
	v_mov_b32_e32 v3, v5
	v_mad_u64_u32 v[6:7], s[10:11], v7, s12, v[6:7]
	s_cbranch_scc1 .LBB37_64
.LBB37_65:
	s_cbranch_execnz .LBB37_68
.LBB37_66:
	s_load_dwordx4 s[8:11], s[4:5], 0x4
	s_load_dword s2, s[4:5], 0xc4
	s_cmp_lt_u32 s33, 2
	s_waitcnt lgkmcnt(0)
	v_mul_hi_u32 v3, s9, v1
	v_add_u32_e32 v3, v1, v3
	v_lshrrev_b32_e32 v3, s10, v3
	v_mul_lo_u32 v5, v3, s8
	v_sub_u32_e32 v1, v1, v5
	v_mul_lo_u32 v6, v1, s2
	s_cbranch_scc1 .LBB37_68
; %bb.67:
	s_load_dwordx4 s[8:11], s[4:5], 0x10
	s_load_dword s2, s[4:5], 0xc8
	s_waitcnt lgkmcnt(0)
	v_mul_hi_u32 v1, s9, v3
	v_add_u32_e32 v1, v3, v1
	v_lshrrev_b32_e32 v1, s10, v1
	v_mul_lo_u32 v1, v1, s8
	v_sub_u32_e32 v1, v3, v1
	v_mad_u64_u32 v[6:7], s[2:3], v1, s2, v[6:7]
.LBB37_68:
	s_and_b64 vcc, exec, s[0:1]
	v_add_u32_e32 v1, 0x200, v12
	s_cbranch_vccnz .LBB37_74
; %bb.69:
	s_mov_b32 s24, 0
	s_cmp_eq_u32 s33, 0
	v_mov_b32_e32 v8, 0
	s_cbranch_scc1 .LBB37_78
; %bb.70:
	s_min_u32 s25, s46, 15
	s_add_i32 s25, s25, 1
	s_cmp_eq_u32 s46, 2
	v_mov_b32_e32 v8, 0
	s_cbranch_scc1 .LBB37_75
; %bb.71:
	s_add_u32 s2, s4, 0xc4
	s_addc_u32 s3, s5, 0
	s_and_b32 s24, s25, 28
	s_mov_b32 s26, 0
	v_mov_b32_e32 v8, 0
	s_mov_b64 s[6:7], s[4:5]
	v_mov_b32_e32 v3, v1
.LBB37_72:                              ; =>This Inner Loop Header: Depth=1
	s_load_dwordx8 s[8:15], s[6:7], 0x4
	s_load_dwordx4 s[16:19], s[6:7], 0x24
	s_load_dwordx4 s[20:23], s[2:3], 0x0
	s_add_u32 s6, s6, 48
	s_addc_u32 s7, s7, 0
	s_waitcnt lgkmcnt(0)
	v_mul_hi_u32 v5, s9, v3
	v_add_u32_e32 v5, v3, v5
	v_lshrrev_b32_e32 v5, s10, v5
	v_mul_lo_u32 v7, v5, s8
	v_mul_hi_u32 v9, s12, v5
	v_sub_u32_e32 v3, v3, v7
	v_add_u32_e32 v7, v5, v9
	v_lshrrev_b32_e32 v7, s13, v7
	v_mul_lo_u32 v9, v7, s11
	v_mul_hi_u32 v10, s15, v7
	v_sub_u32_e32 v5, v5, v9
	v_add_u32_e32 v9, v7, v10
	v_mul_lo_u32 v3, v3, s20
	v_mul_lo_u32 v5, v5, s21
	v_lshrrev_b32_e32 v9, s16, v9
	v_add3_u32 v5, v3, v8, v5
	v_mul_lo_u32 v3, v9, s14
	v_mul_hi_u32 v8, s18, v9
	v_sub_u32_e32 v3, v7, v3
	v_add_u32_e32 v7, v9, v8
	v_mul_lo_u32 v8, v3, s22
	v_lshrrev_b32_e32 v3, s19, v7
	s_add_i32 s26, s26, 4
	v_mul_lo_u32 v7, v3, s17
	s_add_u32 s2, s2, 16
	v_sub_u32_e32 v7, v9, v7
	s_addc_u32 s3, s3, 0
	v_mul_lo_u32 v7, v7, s23
	s_cmp_lg_u32 s24, s26
	v_add3_u32 v8, v8, v5, v7
	s_cbranch_scc1 .LBB37_72
; %bb.73:
	s_and_b32 s8, s25, 3
	s_cmp_eq_u32 s8, 0
	s_cbranch_scc0 .LBB37_76
	s_branch .LBB37_78
.LBB37_74:
                                        ; implicit-def: $vgpr8
	s_branch .LBB37_79
.LBB37_75:
	v_mov_b32_e32 v3, v1
	s_and_b32 s8, s25, 3
	s_cmp_eq_u32 s8, 0
	s_cbranch_scc1 .LBB37_78
.LBB37_76:
	s_lshl_b32 s2, s24, 2
	s_add_u32 s2, s2, s4
	s_addc_u32 s3, 0, s5
	s_add_u32 s2, s2, 0xc4
	s_addc_u32 s3, s3, 0
	s_mul_i32 s6, s24, 12
	s_add_u32 s6, s4, s6
	s_addc_u32 s7, 0, s5
.LBB37_77:                              ; =>This Inner Loop Header: Depth=1
	s_load_dwordx2 s[10:11], s[6:7], 0x4
	s_load_dword s9, s[6:7], 0xc
	s_load_dword s12, s[2:3], 0x0
	s_add_u32 s6, s6, 12
	s_addc_u32 s7, s7, 0
	s_waitcnt lgkmcnt(0)
	v_mul_hi_u32 v5, s11, v3
	v_add_u32_e32 v5, v3, v5
	v_lshrrev_b32_e32 v5, s9, v5
	s_add_u32 s2, s2, 4
	v_mul_lo_u32 v7, v5, s10
	s_addc_u32 s3, s3, 0
	s_add_i32 s8, s8, -1
	v_sub_u32_e32 v7, v3, v7
	s_cmp_lg_u32 s8, 0
	v_mov_b32_e32 v3, v5
	v_mad_u64_u32 v[8:9], s[10:11], v7, s12, v[8:9]
	s_cbranch_scc1 .LBB37_77
.LBB37_78:
	s_cbranch_execnz .LBB37_81
.LBB37_79:
	s_load_dwordx4 s[8:11], s[4:5], 0x4
	s_load_dword s2, s[4:5], 0xc4
	s_cmp_lt_u32 s33, 2
	s_waitcnt lgkmcnt(0)
	v_mul_hi_u32 v3, s9, v1
	v_add_u32_e32 v3, v1, v3
	v_lshrrev_b32_e32 v3, s10, v3
	v_mul_lo_u32 v5, v3, s8
	v_sub_u32_e32 v1, v1, v5
	v_mul_lo_u32 v8, v1, s2
	s_cbranch_scc1 .LBB37_81
; %bb.80:
	s_load_dwordx4 s[8:11], s[4:5], 0x10
	s_load_dword s2, s[4:5], 0xc8
	s_waitcnt lgkmcnt(0)
	v_mul_hi_u32 v1, s9, v3
	v_add_u32_e32 v1, v3, v1
	v_lshrrev_b32_e32 v1, s10, v1
	v_mul_lo_u32 v1, v1, s8
	v_sub_u32_e32 v1, v3, v1
	v_mad_u64_u32 v[8:9], s[2:3], v1, s2, v[8:9]
.LBB37_81:
	s_and_b64 vcc, exec, s[0:1]
	v_add_u32_e32 v1, 0x280, v12
	s_cbranch_vccnz .LBB37_87
; %bb.82:
	s_mov_b32 s24, 0
	s_cmp_eq_u32 s33, 0
	v_mov_b32_e32 v10, 0
	s_cbranch_scc1 .LBB37_91
; %bb.83:
	s_min_u32 s25, s46, 15
	s_add_i32 s25, s25, 1
	s_cmp_eq_u32 s46, 2
	v_mov_b32_e32 v10, 0
	s_cbranch_scc1 .LBB37_88
; %bb.84:
	s_add_u32 s2, s4, 0xc4
	s_addc_u32 s3, s5, 0
	s_and_b32 s24, s25, 28
	s_mov_b32 s26, 0
	v_mov_b32_e32 v10, 0
	s_mov_b64 s[6:7], s[4:5]
	v_mov_b32_e32 v3, v1
.LBB37_85:                              ; =>This Inner Loop Header: Depth=1
	s_load_dwordx8 s[8:15], s[6:7], 0x4
	s_load_dwordx4 s[16:19], s[6:7], 0x24
	s_load_dwordx4 s[20:23], s[2:3], 0x0
	s_add_u32 s6, s6, 48
	s_addc_u32 s7, s7, 0
	s_waitcnt lgkmcnt(0)
	v_mul_hi_u32 v5, s9, v3
	v_add_u32_e32 v5, v3, v5
	v_lshrrev_b32_e32 v5, s10, v5
	v_mul_lo_u32 v7, v5, s8
	v_mul_hi_u32 v9, s12, v5
	v_sub_u32_e32 v3, v3, v7
	v_add_u32_e32 v7, v5, v9
	v_lshrrev_b32_e32 v7, s13, v7
	v_mul_lo_u32 v9, v7, s11
	v_mul_hi_u32 v11, s15, v7
	v_sub_u32_e32 v5, v5, v9
	v_add_u32_e32 v9, v7, v11
	v_mul_lo_u32 v3, v3, s20
	v_mul_lo_u32 v5, v5, s21
	v_lshrrev_b32_e32 v9, s16, v9
	v_add3_u32 v5, v3, v10, v5
	v_mul_lo_u32 v3, v9, s14
	v_mul_hi_u32 v10, s18, v9
	v_sub_u32_e32 v3, v7, v3
	v_add_u32_e32 v7, v9, v10
	v_mul_lo_u32 v10, v3, s22
	v_lshrrev_b32_e32 v3, s19, v7
	s_add_i32 s26, s26, 4
	v_mul_lo_u32 v7, v3, s17
	s_add_u32 s2, s2, 16
	v_sub_u32_e32 v7, v9, v7
	s_addc_u32 s3, s3, 0
	v_mul_lo_u32 v7, v7, s23
	s_cmp_lg_u32 s24, s26
	v_add3_u32 v10, v10, v5, v7
	s_cbranch_scc1 .LBB37_85
; %bb.86:
	s_and_b32 s8, s25, 3
	s_cmp_eq_u32 s8, 0
	s_cbranch_scc0 .LBB37_89
	s_branch .LBB37_91
.LBB37_87:
                                        ; implicit-def: $vgpr10
	s_branch .LBB37_92
.LBB37_88:
	v_mov_b32_e32 v3, v1
	s_and_b32 s8, s25, 3
	s_cmp_eq_u32 s8, 0
	s_cbranch_scc1 .LBB37_91
.LBB37_89:
	s_lshl_b32 s2, s24, 2
	s_add_u32 s2, s2, s4
	s_addc_u32 s3, 0, s5
	s_add_u32 s2, s2, 0xc4
	s_addc_u32 s3, s3, 0
	s_mul_i32 s6, s24, 12
	s_add_u32 s6, s4, s6
	s_addc_u32 s7, 0, s5
.LBB37_90:                              ; =>This Inner Loop Header: Depth=1
	s_load_dwordx2 s[10:11], s[6:7], 0x4
	s_load_dword s9, s[6:7], 0xc
	s_load_dword s12, s[2:3], 0x0
	s_add_u32 s6, s6, 12
	s_addc_u32 s7, s7, 0
	s_waitcnt lgkmcnt(0)
	v_mul_hi_u32 v5, s11, v3
	v_add_u32_e32 v5, v3, v5
	v_lshrrev_b32_e32 v5, s9, v5
	s_add_u32 s2, s2, 4
	v_mul_lo_u32 v7, v5, s10
	s_addc_u32 s3, s3, 0
	s_add_i32 s8, s8, -1
	v_sub_u32_e32 v7, v3, v7
	s_cmp_lg_u32 s8, 0
	v_mov_b32_e32 v3, v5
	v_mad_u64_u32 v[10:11], s[10:11], v7, s12, v[10:11]
	s_cbranch_scc1 .LBB37_90
.LBB37_91:
	s_cbranch_execnz .LBB37_94
.LBB37_92:
	s_load_dwordx4 s[8:11], s[4:5], 0x4
	s_load_dword s2, s[4:5], 0xc4
	s_cmp_lt_u32 s33, 2
	s_waitcnt lgkmcnt(0)
	v_mul_hi_u32 v3, s9, v1
	v_add_u32_e32 v3, v1, v3
	v_lshrrev_b32_e32 v3, s10, v3
	v_mul_lo_u32 v5, v3, s8
	v_sub_u32_e32 v1, v1, v5
	v_mul_lo_u32 v10, v1, s2
	s_cbranch_scc1 .LBB37_94
; %bb.93:
	s_load_dwordx4 s[8:11], s[4:5], 0x10
	s_load_dword s2, s[4:5], 0xc8
	s_waitcnt lgkmcnt(0)
	v_mul_hi_u32 v1, s9, v3
	v_add_u32_e32 v1, v3, v1
	v_lshrrev_b32_e32 v1, s10, v1
	v_mul_lo_u32 v1, v1, s8
	v_sub_u32_e32 v1, v3, v1
	v_mad_u64_u32 v[10:11], s[2:3], v1, s2, v[10:11]
.LBB37_94:
	s_and_b64 vcc, exec, s[0:1]
	v_add_u32_e32 v1, 0x300, v12
	s_cbranch_vccnz .LBB37_100
; %bb.95:
	s_mov_b32 s24, 0
	s_cmp_eq_u32 s33, 0
	v_mov_b32_e32 v12, 0
	s_cbranch_scc1 .LBB37_104
; %bb.96:
	s_min_u32 s25, s46, 15
	s_add_i32 s25, s25, 1
	s_cmp_eq_u32 s46, 2
	v_mov_b32_e32 v12, 0
	s_cbranch_scc1 .LBB37_101
; %bb.97:
	s_add_u32 s2, s4, 0xc4
	s_addc_u32 s3, s5, 0
	s_and_b32 s24, s25, 28
	s_mov_b32 s26, 0
	v_mov_b32_e32 v12, 0
	s_mov_b64 s[6:7], s[4:5]
	v_mov_b32_e32 v3, v1
.LBB37_98:                              ; =>This Inner Loop Header: Depth=1
	s_load_dwordx8 s[8:15], s[6:7], 0x4
	s_load_dwordx4 s[16:19], s[6:7], 0x24
	s_load_dwordx4 s[20:23], s[2:3], 0x0
	s_add_u32 s6, s6, 48
	s_addc_u32 s7, s7, 0
	s_waitcnt lgkmcnt(0)
	v_mul_hi_u32 v5, s9, v3
	v_add_u32_e32 v5, v3, v5
	v_lshrrev_b32_e32 v5, s10, v5
	v_mul_lo_u32 v7, v5, s8
	v_mul_hi_u32 v9, s12, v5
	v_sub_u32_e32 v3, v3, v7
	v_add_u32_e32 v7, v5, v9
	v_lshrrev_b32_e32 v7, s13, v7
	v_mul_lo_u32 v9, v7, s11
	v_mul_hi_u32 v11, s15, v7
	v_sub_u32_e32 v5, v5, v9
	v_add_u32_e32 v9, v7, v11
	v_mul_lo_u32 v3, v3, s20
	v_mul_lo_u32 v5, v5, s21
	v_lshrrev_b32_e32 v9, s16, v9
	v_add3_u32 v5, v3, v12, v5
	v_mul_lo_u32 v3, v9, s14
	v_mul_hi_u32 v11, s18, v9
	v_sub_u32_e32 v3, v7, v3
	v_add_u32_e32 v7, v9, v11
	v_mul_lo_u32 v11, v3, s22
	v_lshrrev_b32_e32 v3, s19, v7
	s_add_i32 s26, s26, 4
	v_mul_lo_u32 v7, v3, s17
	s_add_u32 s2, s2, 16
	v_sub_u32_e32 v7, v9, v7
	s_addc_u32 s3, s3, 0
	v_mul_lo_u32 v7, v7, s23
	s_cmp_lg_u32 s24, s26
	v_add3_u32 v12, v11, v5, v7
	s_cbranch_scc1 .LBB37_98
; %bb.99:
	s_and_b32 s8, s25, 3
	s_cmp_eq_u32 s8, 0
	s_cbranch_scc0 .LBB37_102
	s_branch .LBB37_104
.LBB37_100:
                                        ; implicit-def: $vgpr12
	s_branch .LBB37_105
.LBB37_101:
	v_mov_b32_e32 v3, v1
	s_and_b32 s8, s25, 3
	s_cmp_eq_u32 s8, 0
	s_cbranch_scc1 .LBB37_104
.LBB37_102:
	s_lshl_b32 s2, s24, 2
	s_add_u32 s2, s2, s4
	s_addc_u32 s3, 0, s5
	s_add_u32 s2, s2, 0xc4
	s_addc_u32 s3, s3, 0
	s_mul_i32 s6, s24, 12
	s_add_u32 s6, s4, s6
	s_addc_u32 s7, 0, s5
.LBB37_103:                             ; =>This Inner Loop Header: Depth=1
	s_load_dwordx2 s[10:11], s[6:7], 0x4
	s_load_dword s9, s[6:7], 0xc
	s_load_dword s12, s[2:3], 0x0
	s_add_u32 s6, s6, 12
	s_addc_u32 s7, s7, 0
	s_waitcnt lgkmcnt(0)
	v_mul_hi_u32 v5, s11, v3
	v_add_u32_e32 v5, v3, v5
	v_lshrrev_b32_e32 v5, s9, v5
	s_add_u32 s2, s2, 4
	v_mul_lo_u32 v7, v5, s10
	s_addc_u32 s3, s3, 0
	s_add_i32 s8, s8, -1
	v_sub_u32_e32 v7, v3, v7
	s_cmp_lg_u32 s8, 0
	v_mov_b32_e32 v3, v5
	v_mad_u64_u32 v[12:13], s[10:11], v7, s12, v[12:13]
	s_cbranch_scc1 .LBB37_103
.LBB37_104:
	s_cbranch_execnz .LBB37_107
.LBB37_105:
	s_load_dwordx4 s[8:11], s[4:5], 0x4
	s_load_dword s2, s[4:5], 0xc4
	s_cmp_lt_u32 s33, 2
	s_waitcnt lgkmcnt(0)
	v_mul_hi_u32 v3, s9, v1
	v_add_u32_e32 v3, v1, v3
	v_lshrrev_b32_e32 v3, s10, v3
	v_mul_lo_u32 v5, v3, s8
	v_sub_u32_e32 v1, v1, v5
	v_mul_lo_u32 v12, v1, s2
	s_cbranch_scc1 .LBB37_107
; %bb.106:
	s_load_dwordx4 s[8:11], s[4:5], 0x10
	s_load_dword s2, s[4:5], 0xc8
	s_waitcnt lgkmcnt(0)
	v_mul_hi_u32 v1, s9, v3
	v_add_u32_e32 v1, v3, v1
	v_lshrrev_b32_e32 v1, s10, v1
	v_mul_lo_u32 v1, v1, s8
	v_sub_u32_e32 v1, v3, v1
	v_mad_u64_u32 v[12:13], s[2:3], v1, s2, v[12:13]
.LBB37_107:
	s_and_b64 vcc, exec, s[0:1]
	s_cbranch_vccnz .LBB37_113
; %bb.108:
	s_mov_b32 s22, 0
	s_cmp_eq_u32 s33, 0
	v_mov_b32_e32 v14, 0
	s_cbranch_scc1 .LBB37_117
; %bb.109:
	s_min_u32 s23, s46, 15
	s_add_i32 s23, s23, 1
	s_cmp_eq_u32 s46, 2
	v_mov_b32_e32 v14, 0
	s_cbranch_scc1 .LBB37_114
; %bb.110:
	s_add_u32 s6, s4, 0xc4
	s_addc_u32 s7, s5, 0
	s_and_b32 s22, s23, 28
	s_mov_b32 s24, 0
	v_mov_b32_e32 v14, 0
	s_mov_b64 s[20:21], s[4:5]
	v_mov_b32_e32 v1, v16
.LBB37_111:                             ; =>This Inner Loop Header: Depth=1
	s_load_dwordx8 s[8:15], s[20:21], 0x4
	s_load_dwordx4 s[0:3], s[20:21], 0x24
	s_load_dwordx4 s[16:19], s[6:7], 0x0
	s_add_u32 s20, s20, 48
	s_addc_u32 s21, s21, 0
	s_waitcnt lgkmcnt(0)
	v_mul_hi_u32 v3, s9, v1
	v_add_u32_e32 v3, v1, v3
	v_lshrrev_b32_e32 v3, s10, v3
	v_mul_lo_u32 v5, v3, s8
	v_mul_hi_u32 v7, s12, v3
	v_sub_u32_e32 v1, v1, v5
	v_add_u32_e32 v5, v3, v7
	v_lshrrev_b32_e32 v5, s13, v5
	v_mul_lo_u32 v7, v5, s11
	v_mul_hi_u32 v9, s15, v5
	v_sub_u32_e32 v3, v3, v7
	v_add_u32_e32 v7, v5, v9
	v_mul_lo_u32 v1, v1, s16
	v_mul_lo_u32 v3, v3, s17
	v_lshrrev_b32_e32 v7, s0, v7
	v_add3_u32 v3, v1, v14, v3
	v_mul_lo_u32 v1, v7, s14
	v_mul_hi_u32 v9, s2, v7
	v_sub_u32_e32 v1, v5, v1
	v_add_u32_e32 v5, v7, v9
	v_mul_lo_u32 v9, v1, s18
	v_lshrrev_b32_e32 v1, s3, v5
	s_add_i32 s24, s24, 4
	v_mul_lo_u32 v5, v1, s1
	s_add_u32 s6, s6, 16
	v_sub_u32_e32 v5, v7, v5
	s_addc_u32 s7, s7, 0
	v_mul_lo_u32 v5, v5, s19
	s_cmp_lg_u32 s22, s24
	v_add3_u32 v14, v9, v3, v5
	s_cbranch_scc1 .LBB37_111
; %bb.112:
	s_and_b32 s6, s23, 3
	s_cmp_eq_u32 s6, 0
	s_cbranch_scc0 .LBB37_115
	s_branch .LBB37_117
.LBB37_113:
                                        ; implicit-def: $vgpr14
	s_branch .LBB37_118
.LBB37_114:
	v_mov_b32_e32 v1, v16
	s_and_b32 s6, s23, 3
	s_cmp_eq_u32 s6, 0
	s_cbranch_scc1 .LBB37_117
.LBB37_115:
	s_lshl_b32 s0, s22, 2
	s_add_u32 s0, s0, s4
	s_addc_u32 s1, 0, s5
	s_add_u32 s0, s0, 0xc4
	s_addc_u32 s1, s1, 0
	s_mul_i32 s2, s22, 12
	s_add_u32 s2, s4, s2
	s_addc_u32 s3, 0, s5
.LBB37_116:                             ; =>This Inner Loop Header: Depth=1
	s_load_dwordx2 s[8:9], s[2:3], 0x4
	s_load_dword s7, s[2:3], 0xc
	s_load_dword s10, s[0:1], 0x0
	s_add_u32 s2, s2, 12
	s_addc_u32 s3, s3, 0
	s_waitcnt lgkmcnt(0)
	v_mul_hi_u32 v3, s9, v1
	v_add_u32_e32 v3, v1, v3
	v_lshrrev_b32_e32 v3, s7, v3
	s_add_u32 s0, s0, 4
	v_mul_lo_u32 v5, v3, s8
	s_addc_u32 s1, s1, 0
	s_add_i32 s6, s6, -1
	v_sub_u32_e32 v5, v1, v5
	s_cmp_lg_u32 s6, 0
	v_mov_b32_e32 v1, v3
	v_mad_u64_u32 v[14:15], s[8:9], v5, s10, v[14:15]
	s_cbranch_scc1 .LBB37_116
.LBB37_117:
	s_cbranch_execnz .LBB37_120
.LBB37_118:
	s_load_dwordx4 s[0:3], s[4:5], 0x4
	s_waitcnt lgkmcnt(0)
	s_load_dword s3, s[4:5], 0xc4
	s_cmp_lt_u32 s33, 2
	v_mul_hi_u32 v1, s1, v16
	v_add_u32_e32 v1, v16, v1
	v_lshrrev_b32_e32 v1, s2, v1
	v_mul_lo_u32 v3, v1, s0
	v_sub_u32_e32 v3, v16, v3
	s_waitcnt lgkmcnt(0)
	v_mul_lo_u32 v14, v3, s3
	s_cbranch_scc1 .LBB37_120
; %bb.119:
	s_load_dwordx4 s[0:3], s[4:5], 0x10
	s_waitcnt lgkmcnt(0)
	s_load_dword s3, s[4:5], 0xc8
	v_mul_hi_u32 v3, s1, v1
	v_add_u32_e32 v3, v1, v3
	v_lshrrev_b32_e32 v3, s2, v3
	v_mul_lo_u32 v3, v3, s0
	v_sub_u32_e32 v1, v1, v3
	s_waitcnt lgkmcnt(0)
	v_mad_u64_u32 v[14:15], s[0:1], v1, s3, v[14:15]
.LBB37_120:
	s_load_dword s2, s[4:5], 0x110
	s_load_dwordx2 s[0:1], s[4:5], 0x108
	s_waitcnt lgkmcnt(0)
	v_mov_b32_e32 v1, s2
	s_nop 0
	global_store_short v0, v1, s[0:1]
	global_store_short v2, v1, s[0:1]
	global_store_short v4, v1, s[0:1]
	global_store_short v6, v1, s[0:1]
	global_store_short v8, v1, s[0:1]
	global_store_short v10, v1, s[0:1]
	global_store_short v12, v1, s[0:1]
	global_store_short v14, v1, s[0:1]
	s_endpgm
.LBB37_121:
	v_mov_b32_e32 v0, 0
	s_branch .LBB37_127
.LBB37_122:
	v_mov_b32_e32 v0, 0
	s_branch .LBB37_143
.LBB37_123:
	v_mov_b32_e32 v2, v12
.LBB37_124:
	s_and_b32 s12, s51, 3
	s_cmp_eq_u32 s12, 0
	s_cbranch_scc1 .LBB37_127
; %bb.125:
	s_lshl_b32 s8, s50, 2
	s_add_u32 s8, s8, s4
	s_addc_u32 s9, s5, 0
	s_add_u32 s8, s8, 0xc4
	s_addc_u32 s9, s9, 0
	s_mul_i32 s10, s50, 12
	s_add_u32 s10, s4, s10
	s_addc_u32 s11, s5, 0
.LBB37_126:                             ; =>This Inner Loop Header: Depth=1
	s_load_dwordx2 s[14:15], s[10:11], 0x4
	s_load_dword s13, s[10:11], 0xc
	s_load_dword s16, s[8:9], 0x0
	s_add_u32 s10, s10, 12
	s_addc_u32 s11, s11, 0
	s_waitcnt lgkmcnt(0)
	v_mul_hi_u32 v1, s15, v2
	v_add_u32_e32 v1, v2, v1
	v_lshrrev_b32_e32 v1, s13, v1
	s_add_u32 s8, s8, 4
	v_mul_lo_u32 v3, v1, s14
	s_addc_u32 s9, s9, 0
	s_add_i32 s12, s12, -1
	v_sub_u32_e32 v3, v2, v3
	s_cmp_lg_u32 s12, 0
	v_mov_b32_e32 v2, v1
	v_mad_u64_u32 v[0:1], s[14:15], v3, s16, v[0:1]
	s_cbranch_scc1 .LBB37_126
.LBB37_127:
	s_cbranch_execnz .LBB37_130
.LBB37_128:
	s_waitcnt lgkmcnt(0)
	v_mul_hi_u32 v0, s1, v12
	v_add_u32_e32 v0, v12, v0
	v_lshrrev_b32_e32 v1, s2, v0
	v_mul_lo_u32 v0, v1, s0
	v_sub_u32_e32 v0, v12, v0
	s_andn2_b64 vcc, exec, s[34:35]
	v_mul_lo_u32 v0, v0, s28
	s_cbranch_vccnz .LBB37_130
; %bb.129:
	v_mul_hi_u32 v2, s30, v1
	v_add_u32_e32 v2, v1, v2
	v_lshrrev_b32_e32 v2, s31, v2
	v_mul_lo_u32 v2, v2, s3
	v_sub_u32_e32 v1, v1, v2
	v_mad_u64_u32 v[0:1], s[8:9], v1, s29, v[0:1]
.LBB37_130:
	s_waitcnt lgkmcnt(0)
	v_mov_b32_e32 v1, s47
	v_add_u32_e32 v12, 0x80, v12
	global_store_short v0, v1, s[26:27]
	s_or_b64 exec, exec, s[40:41]
	v_cmp_gt_i32_e32 vcc, s48, v12
	s_and_saveexec_b64 s[40:41], vcc
	s_cbranch_execnz .LBB37_15
.LBB37_131:
	s_or_b64 exec, exec, s[40:41]
	v_cmp_gt_i32_e32 vcc, s48, v12
	s_and_saveexec_b64 s[40:41], vcc
	s_cbranch_execz .LBB37_147
.LBB37_132:
	s_andn2_b64 vcc, exec, s[6:7]
	s_cbranch_vccnz .LBB37_137
; %bb.133:
	s_andn2_b64 vcc, exec, s[38:39]
	s_cbranch_vccnz .LBB37_138
; %bb.134:
	s_add_i32 s51, s49, 1
	s_mov_b32 s50, 0
	s_cmp_eq_u32 s46, 2
	v_mov_b32_e32 v0, 0
	s_cbranch_scc1 .LBB37_155
; %bb.135:
	s_and_b32 s50, s51, 28
	s_mov_b32 s52, 0
	v_mov_b32_e32 v0, 0
	s_mov_b64 s[42:43], s[4:5]
	s_mov_b64 s[44:45], s[36:37]
	v_mov_b32_e32 v2, v12
.LBB37_136:                             ; =>This Inner Loop Header: Depth=1
	s_load_dwordx8 s[8:15], s[42:43], 0x4
	s_load_dwordx4 s[16:19], s[42:43], 0x24
	s_load_dwordx4 s[20:23], s[44:45], 0x0
	s_add_u32 s42, s42, 48
	s_addc_u32 s43, s43, 0
	s_waitcnt lgkmcnt(0)
	v_mul_hi_u32 v1, s9, v2
	v_add_u32_e32 v1, v2, v1
	v_lshrrev_b32_e32 v1, s10, v1
	v_mul_lo_u32 v3, v1, s8
	v_mul_hi_u32 v4, s12, v1
	v_sub_u32_e32 v2, v2, v3
	v_add_u32_e32 v3, v1, v4
	v_lshrrev_b32_e32 v3, s13, v3
	v_mul_lo_u32 v4, v3, s11
	v_mul_hi_u32 v5, s15, v3
	v_sub_u32_e32 v1, v1, v4
	v_add_u32_e32 v4, v3, v5
	v_mul_lo_u32 v2, v2, s20
	v_mul_lo_u32 v1, v1, s21
	v_lshrrev_b32_e32 v4, s16, v4
	v_add3_u32 v0, v2, v0, v1
	v_mul_hi_u32 v2, s18, v4
	v_add_u32_e32 v2, v4, v2
	v_mul_lo_u32 v1, v4, s14
	v_lshrrev_b32_e32 v2, s19, v2
	s_add_i32 s52, s52, 4
	v_sub_u32_e32 v1, v3, v1
	v_mul_lo_u32 v3, v2, s17
	s_add_u32 s44, s44, 16
	v_sub_u32_e32 v3, v4, v3
	s_addc_u32 s45, s45, 0
	v_mul_lo_u32 v1, v1, s22
	v_mul_lo_u32 v3, v3, s23
	s_cmp_eq_u32 s50, s52
	v_add3_u32 v0, v1, v0, v3
	s_cbranch_scc0 .LBB37_136
	s_branch .LBB37_156
.LBB37_137:
                                        ; implicit-def: $vgpr0
	s_branch .LBB37_160
.LBB37_138:
	v_mov_b32_e32 v0, 0
	s_branch .LBB37_159
.LBB37_139:
	v_mov_b32_e32 v2, v12
.LBB37_140:
	s_and_b32 s12, s51, 3
	s_cmp_eq_u32 s12, 0
	s_cbranch_scc1 .LBB37_143
; %bb.141:
	s_lshl_b32 s8, s50, 2
	s_add_u32 s8, s8, s4
	s_addc_u32 s9, s5, 0
	s_add_u32 s8, s8, 0xc4
	s_addc_u32 s9, s9, 0
	s_mul_i32 s10, s50, 12
	s_add_u32 s10, s4, s10
	s_addc_u32 s11, s5, 0
.LBB37_142:                             ; =>This Inner Loop Header: Depth=1
	s_load_dwordx2 s[14:15], s[10:11], 0x4
	s_load_dword s13, s[10:11], 0xc
	s_load_dword s16, s[8:9], 0x0
	s_add_u32 s10, s10, 12
	s_addc_u32 s11, s11, 0
	s_waitcnt lgkmcnt(0)
	v_mul_hi_u32 v1, s15, v2
	v_add_u32_e32 v1, v2, v1
	v_lshrrev_b32_e32 v1, s13, v1
	s_add_u32 s8, s8, 4
	v_mul_lo_u32 v3, v1, s14
	s_addc_u32 s9, s9, 0
	s_add_i32 s12, s12, -1
	v_sub_u32_e32 v3, v2, v3
	s_cmp_lg_u32 s12, 0
	v_mov_b32_e32 v2, v1
	v_mad_u64_u32 v[0:1], s[14:15], v3, s16, v[0:1]
	s_cbranch_scc1 .LBB37_142
.LBB37_143:
	s_cbranch_execnz .LBB37_146
.LBB37_144:
	s_waitcnt lgkmcnt(0)
	v_mul_hi_u32 v0, s1, v12
	v_add_u32_e32 v0, v12, v0
	v_lshrrev_b32_e32 v1, s2, v0
	v_mul_lo_u32 v0, v1, s0
	v_sub_u32_e32 v0, v12, v0
	s_andn2_b64 vcc, exec, s[34:35]
	v_mul_lo_u32 v0, v0, s28
	s_cbranch_vccnz .LBB37_146
; %bb.145:
	v_mul_hi_u32 v2, s30, v1
	v_add_u32_e32 v2, v1, v2
	v_lshrrev_b32_e32 v2, s31, v2
	v_mul_lo_u32 v2, v2, s3
	v_sub_u32_e32 v1, v1, v2
	v_mad_u64_u32 v[0:1], s[8:9], v1, s29, v[0:1]
.LBB37_146:
	s_waitcnt lgkmcnt(0)
	v_mov_b32_e32 v1, s47
	v_add_u32_e32 v12, 0x80, v12
	global_store_short v0, v1, s[26:27]
	s_or_b64 exec, exec, s[40:41]
	v_cmp_gt_i32_e32 vcc, s48, v12
	s_and_saveexec_b64 s[40:41], vcc
	s_cbranch_execnz .LBB37_132
.LBB37_147:
	s_or_b64 exec, exec, s[40:41]
	v_cmp_gt_i32_e32 vcc, s48, v12
	s_and_saveexec_b64 s[40:41], vcc
	s_cbranch_execz .LBB37_163
.LBB37_148:
	s_andn2_b64 vcc, exec, s[6:7]
	s_cbranch_vccnz .LBB37_153
; %bb.149:
	s_andn2_b64 vcc, exec, s[38:39]
	s_cbranch_vccnz .LBB37_154
; %bb.150:
	s_add_i32 s51, s49, 1
	s_mov_b32 s50, 0
	s_cmp_eq_u32 s46, 2
	v_mov_b32_e32 v0, 0
	s_cbranch_scc1 .LBB37_171
; %bb.151:
	s_and_b32 s50, s51, 28
	s_mov_b32 s52, 0
	v_mov_b32_e32 v0, 0
	s_mov_b64 s[42:43], s[4:5]
	s_mov_b64 s[44:45], s[36:37]
	v_mov_b32_e32 v2, v12
.LBB37_152:                             ; =>This Inner Loop Header: Depth=1
	s_load_dwordx8 s[8:15], s[42:43], 0x4
	s_load_dwordx4 s[16:19], s[42:43], 0x24
	s_load_dwordx4 s[20:23], s[44:45], 0x0
	s_add_u32 s42, s42, 48
	s_addc_u32 s43, s43, 0
	s_waitcnt lgkmcnt(0)
	v_mul_hi_u32 v1, s9, v2
	v_add_u32_e32 v1, v2, v1
	v_lshrrev_b32_e32 v1, s10, v1
	v_mul_lo_u32 v3, v1, s8
	v_mul_hi_u32 v4, s12, v1
	v_sub_u32_e32 v2, v2, v3
	v_add_u32_e32 v3, v1, v4
	v_lshrrev_b32_e32 v3, s13, v3
	v_mul_lo_u32 v4, v3, s11
	v_mul_hi_u32 v5, s15, v3
	v_sub_u32_e32 v1, v1, v4
	v_add_u32_e32 v4, v3, v5
	v_mul_lo_u32 v2, v2, s20
	v_mul_lo_u32 v1, v1, s21
	v_lshrrev_b32_e32 v4, s16, v4
	v_add3_u32 v0, v2, v0, v1
	v_mul_hi_u32 v2, s18, v4
	v_add_u32_e32 v2, v4, v2
	v_mul_lo_u32 v1, v4, s14
	v_lshrrev_b32_e32 v2, s19, v2
	s_add_i32 s52, s52, 4
	v_sub_u32_e32 v1, v3, v1
	v_mul_lo_u32 v3, v2, s17
	s_add_u32 s44, s44, 16
	v_sub_u32_e32 v3, v4, v3
	s_addc_u32 s45, s45, 0
	v_mul_lo_u32 v1, v1, s22
	v_mul_lo_u32 v3, v3, s23
	s_cmp_eq_u32 s50, s52
	v_add3_u32 v0, v1, v0, v3
	s_cbranch_scc0 .LBB37_152
	s_branch .LBB37_172
.LBB37_153:
                                        ; implicit-def: $vgpr0
	s_branch .LBB37_176
.LBB37_154:
	v_mov_b32_e32 v0, 0
	s_branch .LBB37_175
.LBB37_155:
	v_mov_b32_e32 v2, v12
.LBB37_156:
	s_and_b32 s12, s51, 3
	s_cmp_eq_u32 s12, 0
	s_cbranch_scc1 .LBB37_159
; %bb.157:
	s_lshl_b32 s8, s50, 2
	s_add_u32 s8, s8, s4
	s_addc_u32 s9, s5, 0
	s_add_u32 s8, s8, 0xc4
	s_addc_u32 s9, s9, 0
	s_mul_i32 s10, s50, 12
	s_add_u32 s10, s4, s10
	s_addc_u32 s11, s5, 0
.LBB37_158:                             ; =>This Inner Loop Header: Depth=1
	s_load_dwordx2 s[14:15], s[10:11], 0x4
	s_load_dword s13, s[10:11], 0xc
	s_load_dword s16, s[8:9], 0x0
	s_add_u32 s10, s10, 12
	s_addc_u32 s11, s11, 0
	s_waitcnt lgkmcnt(0)
	v_mul_hi_u32 v1, s15, v2
	v_add_u32_e32 v1, v2, v1
	v_lshrrev_b32_e32 v1, s13, v1
	s_add_u32 s8, s8, 4
	v_mul_lo_u32 v3, v1, s14
	s_addc_u32 s9, s9, 0
	s_add_i32 s12, s12, -1
	v_sub_u32_e32 v3, v2, v3
	s_cmp_lg_u32 s12, 0
	v_mov_b32_e32 v2, v1
	v_mad_u64_u32 v[0:1], s[14:15], v3, s16, v[0:1]
	s_cbranch_scc1 .LBB37_158
.LBB37_159:
	s_cbranch_execnz .LBB37_162
.LBB37_160:
	s_waitcnt lgkmcnt(0)
	v_mul_hi_u32 v0, s1, v12
	v_add_u32_e32 v0, v12, v0
	v_lshrrev_b32_e32 v1, s2, v0
	v_mul_lo_u32 v0, v1, s0
	v_sub_u32_e32 v0, v12, v0
	s_andn2_b64 vcc, exec, s[34:35]
	v_mul_lo_u32 v0, v0, s28
	s_cbranch_vccnz .LBB37_162
; %bb.161:
	v_mul_hi_u32 v2, s30, v1
	v_add_u32_e32 v2, v1, v2
	v_lshrrev_b32_e32 v2, s31, v2
	v_mul_lo_u32 v2, v2, s3
	v_sub_u32_e32 v1, v1, v2
	v_mad_u64_u32 v[0:1], s[8:9], v1, s29, v[0:1]
.LBB37_162:
	s_waitcnt lgkmcnt(0)
	v_mov_b32_e32 v1, s47
	v_add_u32_e32 v12, 0x80, v12
	global_store_short v0, v1, s[26:27]
	s_or_b64 exec, exec, s[40:41]
	v_cmp_gt_i32_e32 vcc, s48, v12
	s_and_saveexec_b64 s[40:41], vcc
	s_cbranch_execnz .LBB37_148
.LBB37_163:
	s_or_b64 exec, exec, s[40:41]
	v_cmp_gt_i32_e32 vcc, s48, v12
	s_and_saveexec_b64 s[40:41], vcc
	s_cbranch_execz .LBB37_179
.LBB37_164:
	s_andn2_b64 vcc, exec, s[6:7]
	s_cbranch_vccnz .LBB37_169
; %bb.165:
	s_andn2_b64 vcc, exec, s[38:39]
	s_cbranch_vccnz .LBB37_170
; %bb.166:
	s_add_i32 s51, s49, 1
	s_mov_b32 s50, 0
	s_cmp_eq_u32 s46, 2
	v_mov_b32_e32 v0, 0
	s_cbranch_scc1 .LBB37_187
; %bb.167:
	s_and_b32 s50, s51, 28
	s_mov_b32 s52, 0
	v_mov_b32_e32 v0, 0
	s_mov_b64 s[42:43], s[4:5]
	s_mov_b64 s[44:45], s[36:37]
	v_mov_b32_e32 v2, v12
.LBB37_168:                             ; =>This Inner Loop Header: Depth=1
	s_load_dwordx8 s[8:15], s[42:43], 0x4
	s_load_dwordx4 s[16:19], s[42:43], 0x24
	s_load_dwordx4 s[20:23], s[44:45], 0x0
	s_add_u32 s42, s42, 48
	s_addc_u32 s43, s43, 0
	s_waitcnt lgkmcnt(0)
	v_mul_hi_u32 v1, s9, v2
	v_add_u32_e32 v1, v2, v1
	v_lshrrev_b32_e32 v1, s10, v1
	v_mul_lo_u32 v3, v1, s8
	v_mul_hi_u32 v4, s12, v1
	v_sub_u32_e32 v2, v2, v3
	v_add_u32_e32 v3, v1, v4
	v_lshrrev_b32_e32 v3, s13, v3
	v_mul_lo_u32 v4, v3, s11
	v_mul_hi_u32 v5, s15, v3
	v_sub_u32_e32 v1, v1, v4
	v_add_u32_e32 v4, v3, v5
	v_mul_lo_u32 v2, v2, s20
	v_mul_lo_u32 v1, v1, s21
	v_lshrrev_b32_e32 v4, s16, v4
	v_add3_u32 v0, v2, v0, v1
	v_mul_hi_u32 v2, s18, v4
	v_add_u32_e32 v2, v4, v2
	v_mul_lo_u32 v1, v4, s14
	v_lshrrev_b32_e32 v2, s19, v2
	s_add_i32 s52, s52, 4
	v_sub_u32_e32 v1, v3, v1
	v_mul_lo_u32 v3, v2, s17
	s_add_u32 s44, s44, 16
	v_sub_u32_e32 v3, v4, v3
	s_addc_u32 s45, s45, 0
	v_mul_lo_u32 v1, v1, s22
	v_mul_lo_u32 v3, v3, s23
	s_cmp_eq_u32 s50, s52
	v_add3_u32 v0, v1, v0, v3
	s_cbranch_scc0 .LBB37_168
	s_branch .LBB37_188
.LBB37_169:
                                        ; implicit-def: $vgpr0
	s_branch .LBB37_192
.LBB37_170:
	v_mov_b32_e32 v0, 0
	s_branch .LBB37_191
.LBB37_171:
	v_mov_b32_e32 v2, v12
.LBB37_172:
	s_and_b32 s12, s51, 3
	s_cmp_eq_u32 s12, 0
	s_cbranch_scc1 .LBB37_175
; %bb.173:
	s_lshl_b32 s8, s50, 2
	s_add_u32 s8, s8, s4
	s_addc_u32 s9, s5, 0
	s_add_u32 s8, s8, 0xc4
	s_addc_u32 s9, s9, 0
	s_mul_i32 s10, s50, 12
	s_add_u32 s10, s4, s10
	s_addc_u32 s11, s5, 0
.LBB37_174:                             ; =>This Inner Loop Header: Depth=1
	s_load_dwordx2 s[14:15], s[10:11], 0x4
	s_load_dword s13, s[10:11], 0xc
	s_load_dword s16, s[8:9], 0x0
	s_add_u32 s10, s10, 12
	s_addc_u32 s11, s11, 0
	s_waitcnt lgkmcnt(0)
	v_mul_hi_u32 v1, s15, v2
	v_add_u32_e32 v1, v2, v1
	v_lshrrev_b32_e32 v1, s13, v1
	s_add_u32 s8, s8, 4
	v_mul_lo_u32 v3, v1, s14
	s_addc_u32 s9, s9, 0
	s_add_i32 s12, s12, -1
	v_sub_u32_e32 v3, v2, v3
	s_cmp_lg_u32 s12, 0
	v_mov_b32_e32 v2, v1
	v_mad_u64_u32 v[0:1], s[14:15], v3, s16, v[0:1]
	s_cbranch_scc1 .LBB37_174
.LBB37_175:
	s_cbranch_execnz .LBB37_178
.LBB37_176:
	s_waitcnt lgkmcnt(0)
	v_mul_hi_u32 v0, s1, v12
	v_add_u32_e32 v0, v12, v0
	v_lshrrev_b32_e32 v1, s2, v0
	v_mul_lo_u32 v0, v1, s0
	v_sub_u32_e32 v0, v12, v0
	s_andn2_b64 vcc, exec, s[34:35]
	v_mul_lo_u32 v0, v0, s28
	s_cbranch_vccnz .LBB37_178
; %bb.177:
	v_mul_hi_u32 v2, s30, v1
	v_add_u32_e32 v2, v1, v2
	v_lshrrev_b32_e32 v2, s31, v2
	v_mul_lo_u32 v2, v2, s3
	v_sub_u32_e32 v1, v1, v2
	v_mad_u64_u32 v[0:1], s[8:9], v1, s29, v[0:1]
.LBB37_178:
	s_waitcnt lgkmcnt(0)
	v_mov_b32_e32 v1, s47
	v_add_u32_e32 v12, 0x80, v12
	global_store_short v0, v1, s[26:27]
	s_or_b64 exec, exec, s[40:41]
	v_cmp_gt_i32_e32 vcc, s48, v12
	s_and_saveexec_b64 s[40:41], vcc
	s_cbranch_execnz .LBB37_164
.LBB37_179:
	s_or_b64 exec, exec, s[40:41]
	v_cmp_gt_i32_e32 vcc, s48, v12
	s_and_saveexec_b64 s[40:41], vcc
	s_cbranch_execz .LBB37_195
.LBB37_180:
	s_andn2_b64 vcc, exec, s[6:7]
	s_cbranch_vccnz .LBB37_185
; %bb.181:
	s_andn2_b64 vcc, exec, s[38:39]
	s_cbranch_vccnz .LBB37_186
; %bb.182:
	s_add_i32 s51, s49, 1
	s_mov_b32 s50, 0
	s_cmp_eq_u32 s46, 2
	v_mov_b32_e32 v0, 0
	s_cbranch_scc1 .LBB37_203
; %bb.183:
	s_and_b32 s50, s51, 28
	s_mov_b32 s52, 0
	v_mov_b32_e32 v0, 0
	s_mov_b64 s[42:43], s[4:5]
	s_mov_b64 s[44:45], s[36:37]
	v_mov_b32_e32 v2, v12
.LBB37_184:                             ; =>This Inner Loop Header: Depth=1
	s_load_dwordx8 s[8:15], s[42:43], 0x4
	s_load_dwordx4 s[16:19], s[42:43], 0x24
	s_load_dwordx4 s[20:23], s[44:45], 0x0
	s_add_u32 s42, s42, 48
	s_addc_u32 s43, s43, 0
	s_waitcnt lgkmcnt(0)
	v_mul_hi_u32 v1, s9, v2
	v_add_u32_e32 v1, v2, v1
	v_lshrrev_b32_e32 v1, s10, v1
	v_mul_lo_u32 v3, v1, s8
	v_mul_hi_u32 v4, s12, v1
	v_sub_u32_e32 v2, v2, v3
	v_add_u32_e32 v3, v1, v4
	v_lshrrev_b32_e32 v3, s13, v3
	v_mul_lo_u32 v4, v3, s11
	v_mul_hi_u32 v5, s15, v3
	v_sub_u32_e32 v1, v1, v4
	v_add_u32_e32 v4, v3, v5
	v_mul_lo_u32 v2, v2, s20
	v_mul_lo_u32 v1, v1, s21
	v_lshrrev_b32_e32 v4, s16, v4
	v_add3_u32 v0, v2, v0, v1
	v_mul_hi_u32 v2, s18, v4
	v_add_u32_e32 v2, v4, v2
	v_mul_lo_u32 v1, v4, s14
	v_lshrrev_b32_e32 v2, s19, v2
	s_add_i32 s52, s52, 4
	v_sub_u32_e32 v1, v3, v1
	v_mul_lo_u32 v3, v2, s17
	s_add_u32 s44, s44, 16
	v_sub_u32_e32 v3, v4, v3
	s_addc_u32 s45, s45, 0
	v_mul_lo_u32 v1, v1, s22
	v_mul_lo_u32 v3, v3, s23
	s_cmp_eq_u32 s50, s52
	v_add3_u32 v0, v1, v0, v3
	s_cbranch_scc0 .LBB37_184
	s_branch .LBB37_204
.LBB37_185:
                                        ; implicit-def: $vgpr0
	s_branch .LBB37_208
.LBB37_186:
	v_mov_b32_e32 v0, 0
	s_branch .LBB37_207
.LBB37_187:
	v_mov_b32_e32 v2, v12
.LBB37_188:
	s_and_b32 s12, s51, 3
	s_cmp_eq_u32 s12, 0
	s_cbranch_scc1 .LBB37_191
; %bb.189:
	s_lshl_b32 s8, s50, 2
	s_add_u32 s8, s8, s4
	s_addc_u32 s9, s5, 0
	s_add_u32 s8, s8, 0xc4
	s_addc_u32 s9, s9, 0
	s_mul_i32 s10, s50, 12
	s_add_u32 s10, s4, s10
	s_addc_u32 s11, s5, 0
.LBB37_190:                             ; =>This Inner Loop Header: Depth=1
	s_load_dwordx2 s[14:15], s[10:11], 0x4
	s_load_dword s13, s[10:11], 0xc
	s_load_dword s16, s[8:9], 0x0
	s_add_u32 s10, s10, 12
	s_addc_u32 s11, s11, 0
	s_waitcnt lgkmcnt(0)
	v_mul_hi_u32 v1, s15, v2
	v_add_u32_e32 v1, v2, v1
	v_lshrrev_b32_e32 v1, s13, v1
	s_add_u32 s8, s8, 4
	v_mul_lo_u32 v3, v1, s14
	s_addc_u32 s9, s9, 0
	s_add_i32 s12, s12, -1
	v_sub_u32_e32 v3, v2, v3
	s_cmp_lg_u32 s12, 0
	v_mov_b32_e32 v2, v1
	v_mad_u64_u32 v[0:1], s[14:15], v3, s16, v[0:1]
	s_cbranch_scc1 .LBB37_190
.LBB37_191:
	s_cbranch_execnz .LBB37_194
.LBB37_192:
	s_waitcnt lgkmcnt(0)
	v_mul_hi_u32 v0, s1, v12
	v_add_u32_e32 v0, v12, v0
	v_lshrrev_b32_e32 v1, s2, v0
	v_mul_lo_u32 v0, v1, s0
	v_sub_u32_e32 v0, v12, v0
	s_andn2_b64 vcc, exec, s[34:35]
	v_mul_lo_u32 v0, v0, s28
	s_cbranch_vccnz .LBB37_194
; %bb.193:
	v_mul_hi_u32 v2, s30, v1
	v_add_u32_e32 v2, v1, v2
	v_lshrrev_b32_e32 v2, s31, v2
	v_mul_lo_u32 v2, v2, s3
	v_sub_u32_e32 v1, v1, v2
	v_mad_u64_u32 v[0:1], s[8:9], v1, s29, v[0:1]
.LBB37_194:
	s_waitcnt lgkmcnt(0)
	v_mov_b32_e32 v1, s47
	v_add_u32_e32 v12, 0x80, v12
	global_store_short v0, v1, s[26:27]
	s_or_b64 exec, exec, s[40:41]
	v_cmp_gt_i32_e32 vcc, s48, v12
	s_and_saveexec_b64 s[40:41], vcc
	s_cbranch_execnz .LBB37_180
.LBB37_195:
	s_or_b64 exec, exec, s[40:41]
	v_cmp_gt_i32_e32 vcc, s48, v12
	s_and_saveexec_b64 s[40:41], vcc
	s_cbranch_execz .LBB37_211
.LBB37_196:
	s_andn2_b64 vcc, exec, s[6:7]
	s_cbranch_vccnz .LBB37_201
; %bb.197:
	s_andn2_b64 vcc, exec, s[38:39]
	s_cbranch_vccnz .LBB37_202
; %bb.198:
	s_add_i32 s51, s49, 1
	s_mov_b32 s50, 0
	s_cmp_eq_u32 s46, 2
	v_mov_b32_e32 v0, 0
	s_cbranch_scc1 .LBB37_214
; %bb.199:
	s_and_b32 s50, s51, 28
	s_mov_b32 s52, 0
	v_mov_b32_e32 v0, 0
	s_mov_b64 s[42:43], s[4:5]
	s_mov_b64 s[44:45], s[36:37]
	v_mov_b32_e32 v2, v12
.LBB37_200:                             ; =>This Inner Loop Header: Depth=1
	s_load_dwordx8 s[8:15], s[42:43], 0x4
	s_load_dwordx4 s[16:19], s[42:43], 0x24
	s_load_dwordx4 s[20:23], s[44:45], 0x0
	s_add_u32 s42, s42, 48
	s_addc_u32 s43, s43, 0
	s_waitcnt lgkmcnt(0)
	v_mul_hi_u32 v1, s9, v2
	v_add_u32_e32 v1, v2, v1
	v_lshrrev_b32_e32 v1, s10, v1
	v_mul_lo_u32 v3, v1, s8
	v_mul_hi_u32 v4, s12, v1
	v_sub_u32_e32 v2, v2, v3
	v_add_u32_e32 v3, v1, v4
	v_lshrrev_b32_e32 v3, s13, v3
	v_mul_lo_u32 v4, v3, s11
	v_mul_hi_u32 v5, s15, v3
	v_sub_u32_e32 v1, v1, v4
	v_add_u32_e32 v4, v3, v5
	v_mul_lo_u32 v2, v2, s20
	v_mul_lo_u32 v1, v1, s21
	v_lshrrev_b32_e32 v4, s16, v4
	v_add3_u32 v0, v2, v0, v1
	v_mul_hi_u32 v2, s18, v4
	v_add_u32_e32 v2, v4, v2
	v_mul_lo_u32 v1, v4, s14
	v_lshrrev_b32_e32 v2, s19, v2
	s_add_i32 s52, s52, 4
	v_sub_u32_e32 v1, v3, v1
	v_mul_lo_u32 v3, v2, s17
	s_add_u32 s44, s44, 16
	v_sub_u32_e32 v3, v4, v3
	s_addc_u32 s45, s45, 0
	v_mul_lo_u32 v1, v1, s22
	v_mul_lo_u32 v3, v3, s23
	s_cmp_eq_u32 s50, s52
	v_add3_u32 v0, v1, v0, v3
	s_cbranch_scc0 .LBB37_200
	s_branch .LBB37_215
.LBB37_201:
                                        ; implicit-def: $vgpr0
	s_branch .LBB37_219
.LBB37_202:
	v_mov_b32_e32 v0, 0
	s_branch .LBB37_218
.LBB37_203:
	v_mov_b32_e32 v2, v12
.LBB37_204:
	s_and_b32 s12, s51, 3
	s_cmp_eq_u32 s12, 0
	s_cbranch_scc1 .LBB37_207
; %bb.205:
	s_lshl_b32 s8, s50, 2
	s_add_u32 s8, s8, s4
	s_addc_u32 s9, s5, 0
	s_add_u32 s8, s8, 0xc4
	s_addc_u32 s9, s9, 0
	s_mul_i32 s10, s50, 12
	s_add_u32 s10, s4, s10
	s_addc_u32 s11, s5, 0
.LBB37_206:                             ; =>This Inner Loop Header: Depth=1
	s_load_dwordx2 s[14:15], s[10:11], 0x4
	s_load_dword s13, s[10:11], 0xc
	s_load_dword s16, s[8:9], 0x0
	s_add_u32 s10, s10, 12
	s_addc_u32 s11, s11, 0
	s_waitcnt lgkmcnt(0)
	v_mul_hi_u32 v1, s15, v2
	v_add_u32_e32 v1, v2, v1
	v_lshrrev_b32_e32 v1, s13, v1
	s_add_u32 s8, s8, 4
	v_mul_lo_u32 v3, v1, s14
	s_addc_u32 s9, s9, 0
	s_add_i32 s12, s12, -1
	v_sub_u32_e32 v3, v2, v3
	s_cmp_lg_u32 s12, 0
	v_mov_b32_e32 v2, v1
	v_mad_u64_u32 v[0:1], s[14:15], v3, s16, v[0:1]
	s_cbranch_scc1 .LBB37_206
.LBB37_207:
	s_cbranch_execnz .LBB37_210
.LBB37_208:
	s_waitcnt lgkmcnt(0)
	v_mul_hi_u32 v0, s1, v12
	v_add_u32_e32 v0, v12, v0
	v_lshrrev_b32_e32 v1, s2, v0
	v_mul_lo_u32 v0, v1, s0
	v_sub_u32_e32 v0, v12, v0
	s_andn2_b64 vcc, exec, s[34:35]
	v_mul_lo_u32 v0, v0, s28
	s_cbranch_vccnz .LBB37_210
; %bb.209:
	v_mul_hi_u32 v2, s30, v1
	v_add_u32_e32 v2, v1, v2
	v_lshrrev_b32_e32 v2, s31, v2
	v_mul_lo_u32 v2, v2, s3
	v_sub_u32_e32 v1, v1, v2
	v_mad_u64_u32 v[0:1], s[8:9], v1, s29, v[0:1]
.LBB37_210:
	s_waitcnt lgkmcnt(0)
	v_mov_b32_e32 v1, s47
	v_add_u32_e32 v12, 0x80, v12
	global_store_short v0, v1, s[26:27]
	s_or_b64 exec, exec, s[40:41]
	v_cmp_gt_i32_e32 vcc, s48, v12
	s_and_saveexec_b64 s[40:41], vcc
	s_cbranch_execnz .LBB37_196
.LBB37_211:
	s_or_b64 exec, exec, s[40:41]
	v_cmp_gt_i32_e32 vcc, s48, v12
	s_and_saveexec_b64 s[40:41], vcc
	s_cbranch_execnz .LBB37_222
.LBB37_212:
	s_or_b64 exec, exec, s[40:41]
                                        ; implicit-def: $vgpr16
                                        ; implicit-def: $vgpr12
	s_waitcnt lgkmcnt(0)
	s_andn2_saveexec_b64 s[0:1], s[24:25]
	s_cbranch_execnz .LBB37_8
.LBB37_213:
	s_endpgm
.LBB37_214:
	v_mov_b32_e32 v2, v12
.LBB37_215:
	s_and_b32 s12, s51, 3
	s_cmp_eq_u32 s12, 0
	s_cbranch_scc1 .LBB37_218
; %bb.216:
	s_lshl_b32 s8, s50, 2
	s_add_u32 s8, s8, s4
	s_addc_u32 s9, s5, 0
	s_add_u32 s8, s8, 0xc4
	s_addc_u32 s9, s9, 0
	s_mul_i32 s10, s50, 12
	s_add_u32 s10, s4, s10
	s_addc_u32 s11, s5, 0
.LBB37_217:                             ; =>This Inner Loop Header: Depth=1
	s_load_dwordx2 s[14:15], s[10:11], 0x4
	s_load_dword s13, s[10:11], 0xc
	s_load_dword s16, s[8:9], 0x0
	s_add_u32 s10, s10, 12
	s_addc_u32 s11, s11, 0
	s_waitcnt lgkmcnt(0)
	v_mul_hi_u32 v1, s15, v2
	v_add_u32_e32 v1, v2, v1
	v_lshrrev_b32_e32 v1, s13, v1
	s_add_u32 s8, s8, 4
	v_mul_lo_u32 v3, v1, s14
	s_addc_u32 s9, s9, 0
	s_add_i32 s12, s12, -1
	v_sub_u32_e32 v3, v2, v3
	s_cmp_lg_u32 s12, 0
	v_mov_b32_e32 v2, v1
	v_mad_u64_u32 v[0:1], s[14:15], v3, s16, v[0:1]
	s_cbranch_scc1 .LBB37_217
.LBB37_218:
	s_cbranch_execnz .LBB37_221
.LBB37_219:
	s_waitcnt lgkmcnt(0)
	v_mul_hi_u32 v0, s1, v12
	v_add_u32_e32 v0, v12, v0
	v_lshrrev_b32_e32 v1, s2, v0
	v_mul_lo_u32 v0, v1, s0
	v_sub_u32_e32 v0, v12, v0
	s_andn2_b64 vcc, exec, s[34:35]
	v_mul_lo_u32 v0, v0, s28
	s_cbranch_vccnz .LBB37_221
; %bb.220:
	v_mul_hi_u32 v2, s30, v1
	v_add_u32_e32 v2, v1, v2
	v_lshrrev_b32_e32 v2, s31, v2
	v_mul_lo_u32 v2, v2, s3
	v_sub_u32_e32 v1, v1, v2
	v_mad_u64_u32 v[0:1], s[8:9], v1, s29, v[0:1]
.LBB37_221:
	s_waitcnt lgkmcnt(0)
	v_mov_b32_e32 v1, s47
	v_add_u32_e32 v12, 0x80, v12
	global_store_short v0, v1, s[26:27]
	s_or_b64 exec, exec, s[40:41]
	v_cmp_gt_i32_e32 vcc, s48, v12
	s_and_saveexec_b64 s[40:41], vcc
	s_cbranch_execz .LBB37_212
.LBB37_222:
	s_andn2_b64 vcc, exec, s[6:7]
	s_cbranch_vccnz .LBB37_227
; %bb.223:
	s_andn2_b64 vcc, exec, s[38:39]
	s_cbranch_vccnz .LBB37_228
; %bb.224:
	s_add_i32 s49, s49, 1
	s_mov_b32 s42, 0
	s_cmp_eq_u32 s46, 2
	v_mov_b32_e32 v0, 0
	s_cbranch_scc1 .LBB37_229
; %bb.225:
	s_and_b32 s42, s49, 28
	s_mov_b32 s43, 0
	v_mov_b32_e32 v0, 0
	s_mov_b64 s[38:39], s[4:5]
	v_mov_b32_e32 v2, v12
.LBB37_226:                             ; =>This Inner Loop Header: Depth=1
	s_load_dwordx8 s[8:15], s[38:39], 0x4
	s_load_dwordx4 s[16:19], s[38:39], 0x24
	s_load_dwordx4 s[20:23], s[36:37], 0x0
	s_add_u32 s38, s38, 48
	s_addc_u32 s39, s39, 0
	s_waitcnt lgkmcnt(0)
	v_mul_hi_u32 v1, s9, v2
	v_add_u32_e32 v1, v2, v1
	v_lshrrev_b32_e32 v1, s10, v1
	v_mul_lo_u32 v3, v1, s8
	v_mul_hi_u32 v4, s12, v1
	v_sub_u32_e32 v2, v2, v3
	v_add_u32_e32 v3, v1, v4
	v_lshrrev_b32_e32 v3, s13, v3
	v_mul_lo_u32 v4, v3, s11
	v_mul_hi_u32 v5, s15, v3
	v_sub_u32_e32 v1, v1, v4
	v_add_u32_e32 v4, v3, v5
	v_mul_lo_u32 v2, v2, s20
	v_mul_lo_u32 v1, v1, s21
	v_lshrrev_b32_e32 v4, s16, v4
	v_add3_u32 v0, v2, v0, v1
	v_mul_hi_u32 v2, s18, v4
	v_add_u32_e32 v2, v4, v2
	v_mul_lo_u32 v1, v4, s14
	v_lshrrev_b32_e32 v2, s19, v2
	s_add_i32 s43, s43, 4
	v_sub_u32_e32 v1, v3, v1
	v_mul_lo_u32 v3, v2, s17
	s_add_u32 s36, s36, 16
	v_sub_u32_e32 v3, v4, v3
	s_addc_u32 s37, s37, 0
	v_mul_lo_u32 v1, v1, s22
	v_mul_lo_u32 v3, v3, s23
	s_cmp_eq_u32 s42, s43
	v_add3_u32 v0, v1, v0, v3
	s_cbranch_scc0 .LBB37_226
	s_branch .LBB37_230
.LBB37_227:
                                        ; implicit-def: $vgpr0
	s_branch .LBB37_234
.LBB37_228:
	v_mov_b32_e32 v0, 0
	s_branch .LBB37_233
.LBB37_229:
	v_mov_b32_e32 v2, v12
.LBB37_230:
	s_and_b32 s12, s49, 3
	s_cmp_eq_u32 s12, 0
	s_cbranch_scc1 .LBB37_233
; %bb.231:
	s_lshl_b32 s8, s42, 2
	s_add_u32 s8, s8, s4
	s_addc_u32 s9, s5, 0
	s_add_u32 s8, s8, 0xc4
	s_addc_u32 s9, s9, 0
	s_mul_i32 s10, s42, 12
	s_add_u32 s10, s4, s10
	s_addc_u32 s11, s5, 0
.LBB37_232:                             ; =>This Inner Loop Header: Depth=1
	s_load_dwordx2 s[14:15], s[10:11], 0x4
	s_load_dword s13, s[10:11], 0xc
	s_load_dword s16, s[8:9], 0x0
	s_add_u32 s10, s10, 12
	s_addc_u32 s11, s11, 0
	s_waitcnt lgkmcnt(0)
	v_mul_hi_u32 v1, s15, v2
	v_add_u32_e32 v1, v2, v1
	v_lshrrev_b32_e32 v1, s13, v1
	s_add_u32 s8, s8, 4
	v_mul_lo_u32 v3, v1, s14
	s_addc_u32 s9, s9, 0
	s_add_i32 s12, s12, -1
	v_sub_u32_e32 v3, v2, v3
	s_cmp_lg_u32 s12, 0
	v_mov_b32_e32 v2, v1
	v_mad_u64_u32 v[0:1], s[14:15], v3, s16, v[0:1]
	s_cbranch_scc1 .LBB37_232
.LBB37_233:
	s_cbranch_execnz .LBB37_236
.LBB37_234:
	s_waitcnt lgkmcnt(0)
	v_mul_hi_u32 v0, s1, v12
	v_add_u32_e32 v0, v12, v0
	v_lshrrev_b32_e32 v1, s2, v0
	v_mul_lo_u32 v0, v1, s0
	v_sub_u32_e32 v0, v12, v0
	s_andn2_b64 vcc, exec, s[34:35]
	v_mul_lo_u32 v0, v0, s28
	s_cbranch_vccnz .LBB37_236
; %bb.235:
	v_mul_hi_u32 v2, s30, v1
	v_add_u32_e32 v2, v1, v2
	v_lshrrev_b32_e32 v2, s31, v2
	v_mul_lo_u32 v2, v2, s3
	v_sub_u32_e32 v1, v1, v2
	v_mad_u64_u32 v[0:1], s[0:1], v1, s29, v[0:1]
.LBB37_236:
	s_waitcnt lgkmcnt(0)
	v_mov_b32_e32 v1, s47
	global_store_short v0, v1, s[26:27]
	s_or_b64 exec, exec, s[40:41]
                                        ; implicit-def: $vgpr16
                                        ; implicit-def: $vgpr12
	s_andn2_saveexec_b64 s[0:1], s[24:25]
	s_cbranch_execz .LBB37_213
	s_branch .LBB37_8
	.section	.rodata,"a",@progbits
	.p2align	6, 0x0
	.amdhsa_kernel _ZN2at6native32elementwise_kernel_manual_unrollILi128ELi8EZNS0_22gpu_kernel_impl_nocastINS0_11FillFunctorIsEEEEvRNS_18TensorIteratorBaseERKT_EUlibE_EEviT1_
		.amdhsa_group_segment_fixed_size 0
		.amdhsa_private_segment_fixed_size 0
		.amdhsa_kernarg_size 288
		.amdhsa_user_sgpr_count 6
		.amdhsa_user_sgpr_private_segment_buffer 1
		.amdhsa_user_sgpr_dispatch_ptr 0
		.amdhsa_user_sgpr_queue_ptr 0
		.amdhsa_user_sgpr_kernarg_segment_ptr 1
		.amdhsa_user_sgpr_dispatch_id 0
		.amdhsa_user_sgpr_flat_scratch_init 0
		.amdhsa_user_sgpr_kernarg_preload_length 0
		.amdhsa_user_sgpr_kernarg_preload_offset 0
		.amdhsa_user_sgpr_private_segment_size 0
		.amdhsa_uses_dynamic_stack 0
		.amdhsa_system_sgpr_private_segment_wavefront_offset 0
		.amdhsa_system_sgpr_workgroup_id_x 1
		.amdhsa_system_sgpr_workgroup_id_y 0
		.amdhsa_system_sgpr_workgroup_id_z 0
		.amdhsa_system_sgpr_workgroup_info 0
		.amdhsa_system_vgpr_workitem_id 0
		.amdhsa_next_free_vgpr 17
		.amdhsa_next_free_sgpr 53
		.amdhsa_accum_offset 20
		.amdhsa_reserve_vcc 1
		.amdhsa_reserve_flat_scratch 0
		.amdhsa_float_round_mode_32 0
		.amdhsa_float_round_mode_16_64 0
		.amdhsa_float_denorm_mode_32 3
		.amdhsa_float_denorm_mode_16_64 3
		.amdhsa_dx10_clamp 1
		.amdhsa_ieee_mode 1
		.amdhsa_fp16_overflow 0
		.amdhsa_tg_split 0
		.amdhsa_exception_fp_ieee_invalid_op 0
		.amdhsa_exception_fp_denorm_src 0
		.amdhsa_exception_fp_ieee_div_zero 0
		.amdhsa_exception_fp_ieee_overflow 0
		.amdhsa_exception_fp_ieee_underflow 0
		.amdhsa_exception_fp_ieee_inexact 0
		.amdhsa_exception_int_div_zero 0
	.end_amdhsa_kernel
	.section	.text._ZN2at6native32elementwise_kernel_manual_unrollILi128ELi8EZNS0_22gpu_kernel_impl_nocastINS0_11FillFunctorIsEEEEvRNS_18TensorIteratorBaseERKT_EUlibE_EEviT1_,"axG",@progbits,_ZN2at6native32elementwise_kernel_manual_unrollILi128ELi8EZNS0_22gpu_kernel_impl_nocastINS0_11FillFunctorIsEEEEvRNS_18TensorIteratorBaseERKT_EUlibE_EEviT1_,comdat
.Lfunc_end37:
	.size	_ZN2at6native32elementwise_kernel_manual_unrollILi128ELi8EZNS0_22gpu_kernel_impl_nocastINS0_11FillFunctorIsEEEEvRNS_18TensorIteratorBaseERKT_EUlibE_EEviT1_, .Lfunc_end37-_ZN2at6native32elementwise_kernel_manual_unrollILi128ELi8EZNS0_22gpu_kernel_impl_nocastINS0_11FillFunctorIsEEEEvRNS_18TensorIteratorBaseERKT_EUlibE_EEviT1_
                                        ; -- End function
	.section	.AMDGPU.csdata,"",@progbits
; Kernel info:
; codeLenInByte = 9664
; NumSgprs: 57
; NumVgprs: 17
; NumAgprs: 0
; TotalNumVgprs: 17
; ScratchSize: 0
; MemoryBound: 0
; FloatMode: 240
; IeeeMode: 1
; LDSByteSize: 0 bytes/workgroup (compile time only)
; SGPRBlocks: 7
; VGPRBlocks: 2
; NumSGPRsForWavesPerEU: 57
; NumVGPRsForWavesPerEU: 17
; AccumOffset: 20
; Occupancy: 8
; WaveLimiterHint : 1
; COMPUTE_PGM_RSRC2:SCRATCH_EN: 0
; COMPUTE_PGM_RSRC2:USER_SGPR: 6
; COMPUTE_PGM_RSRC2:TRAP_HANDLER: 0
; COMPUTE_PGM_RSRC2:TGID_X_EN: 1
; COMPUTE_PGM_RSRC2:TGID_Y_EN: 0
; COMPUTE_PGM_RSRC2:TGID_Z_EN: 0
; COMPUTE_PGM_RSRC2:TIDIG_COMP_CNT: 0
; COMPUTE_PGM_RSRC3_GFX90A:ACCUM_OFFSET: 4
; COMPUTE_PGM_RSRC3_GFX90A:TG_SPLIT: 0
	.section	.text._ZN2at6native32elementwise_kernel_manual_unrollILi128ELi4EZNS0_15gpu_kernel_implINS0_11FillFunctorIsEEEEvRNS_18TensorIteratorBaseERKT_EUlibE_EEviT1_,"axG",@progbits,_ZN2at6native32elementwise_kernel_manual_unrollILi128ELi4EZNS0_15gpu_kernel_implINS0_11FillFunctorIsEEEEvRNS_18TensorIteratorBaseERKT_EUlibE_EEviT1_,comdat
	.protected	_ZN2at6native32elementwise_kernel_manual_unrollILi128ELi4EZNS0_15gpu_kernel_implINS0_11FillFunctorIsEEEEvRNS_18TensorIteratorBaseERKT_EUlibE_EEviT1_ ; -- Begin function _ZN2at6native32elementwise_kernel_manual_unrollILi128ELi4EZNS0_15gpu_kernel_implINS0_11FillFunctorIsEEEEvRNS_18TensorIteratorBaseERKT_EUlibE_EEviT1_
	.globl	_ZN2at6native32elementwise_kernel_manual_unrollILi128ELi4EZNS0_15gpu_kernel_implINS0_11FillFunctorIsEEEEvRNS_18TensorIteratorBaseERKT_EUlibE_EEviT1_
	.p2align	8
	.type	_ZN2at6native32elementwise_kernel_manual_unrollILi128ELi4EZNS0_15gpu_kernel_implINS0_11FillFunctorIsEEEEvRNS_18TensorIteratorBaseERKT_EUlibE_EEviT1_,@function
_ZN2at6native32elementwise_kernel_manual_unrollILi128ELi4EZNS0_15gpu_kernel_implINS0_11FillFunctorIsEEEEvRNS_18TensorIteratorBaseERKT_EUlibE_EEviT1_: ; @_ZN2at6native32elementwise_kernel_manual_unrollILi128ELi4EZNS0_15gpu_kernel_implINS0_11FillFunctorIsEEEEvRNS_18TensorIteratorBaseERKT_EUlibE_EEviT1_
; %bb.0:
	s_load_dwordx4 s[8:11], s[4:5], 0x8
	s_load_dword s50, s[4:5], 0x0
	v_lshl_or_b32 v15, s6, 9, v0
	v_or_b32_e32 v0, 0x180, v15
	s_mov_b64 s[6:7], 0
	s_waitcnt lgkmcnt(0)
	s_lshr_b32 s33, s11, 16
	v_cmp_le_i32_e32 vcc, s50, v0
	s_mov_b64 s[0:1], 0
	s_and_saveexec_b64 s[2:3], vcc
	s_xor_b64 s[12:13], exec, s[2:3]
	s_cbranch_execz .LBB38_404
; %bb.1:
	s_sext_i32_i16 s14, s11
	v_cvt_f32_i32_e32 v4, s14
	s_movk_i32 s0, 0xff
	s_ashr_i32 s15, s14, 31
	v_cvt_f16_i16_e32 v8, s11
	v_and_b32_e32 v2, 0x400000, v4
	v_bfe_u32 v1, v4, 23, 8
	v_cmp_ne_u32_e32 vcc, 0, v2
	v_and_b32_e32 v2, 0x3fffff, v4
	v_cmp_eq_u32_e64 s[4:5], s0, v1
	v_or_b32_e32 v1, v1, v2
	v_cmp_ne_u32_e64 s[0:1], 0, v1
	v_readfirstlane_b32 s18, v4
	s_and_b64 s[0:1], vcc, s[0:1]
	s_and_b32 s34, s18, 0x7fffffff
	s_cmp_lt_u32 s34, 0x43800000
	s_cselect_b64 s[28:29], -1, 0
	s_cmp_gt_u32 s34, 0x3bffffff
	v_cndmask_b32_e64 v1, 0, 1, s[0:1]
	s_cselect_b64 s[2:3], -1, 0
	s_bfe_u32 s0, s18, 0x10014
	s_add_i32 s19, s18, s0
	s_add_i32 s0, s19, 0x487ffff
	s_lshr_b32 s61, s0, 20
	s_mov_b32 s0, 0x46000000
	v_add_f32_e64 v13, |v4|, s0
	v_readfirstlane_b32 s0, v13
	s_and_b32 s0, s0, 0xff
	s_cmp_lg_u32 s0, 0
	s_cselect_b64 s[30:31], -1, 0
	s_cmp_gt_u32 s34, 0x477fffff
	s_cselect_b64 s[16:17], -1, 0
	s_cmp_lt_u32 s34, 0x47800000
	s_movk_i32 s0, 0x80
	s_cselect_b64 s[24:25], -1, 0
	s_cmp_gt_u32 s34, 0x37ffffff
	v_and_b32_sdwa v10, v4, s0 dst_sel:DWORD dst_unused:UNUSED_PAD src0_sel:BYTE_3 src1_sel:DWORD
	s_cselect_b64 s[0:1], -1, 0
	s_bfe_u32 s20, s18, 0x10015
	s_add_i32 s35, s18, s20
	s_add_i32 s18, s35, 0x88fffff
	s_lshr_b32 s59, s18, 21
	s_mov_b32 s18, 0x42800000
	v_add_f32_e64 v12, |v4|, s18
	v_readfirstlane_b32 s18, v12
	s_and_b32 s18, s18, 0xff
	s_cmp_lg_u32 s18, 0
	s_cselect_b64 s[26:27], -1, 0
	s_cmp_gt_u32 s34, 0x43efffff
	s_cselect_b64 s[20:21], -1, 0
	s_cmp_lt_u32 s34, 0x3c800000
	s_cselect_b64 s[22:23], -1, 0
	s_add_i32 s19, s19, 0x407ffff
	s_lshr_b32 s18, s19, 20
	s_and_b32 s19, s19, 0xff00000
	s_cmp_lg_u32 s19, 0x7f00000
	v_lshrrev_b32_e32 v0, 23, v4
	s_cselect_b32 s57, s18, 0x7e
	s_mov_b32 s18, 0x46800000
	s_cmp_lt_u32 s34, 0x38800000
	v_add_u32_e32 v14, v0, v1
	v_add_f32_e64 v0, |v4|, s18
	s_cselect_b64 s[18:19], -1, 0
	s_add_i32 s35, s35, 0x80fffff
	s_lshr_b32 s54, s35, 21
	s_cmp_gt_u32 s34, 0x7f800000
	s_movk_i32 s34, 0x7f
	s_cselect_b32 s60, s34, 0x7e
	s_mov_b32 s34, 0x43000000
	v_readfirstlane_b32 s58, v0
	v_add_f32_e64 v0, |v4|, s34
	v_readfirstlane_b32 s55, v0
	v_bfe_u32 v0, v4, 16, 1
	s_movk_i32 s34, 0x7c
	v_add_u32_e32 v0, v4, v0
	s_cselect_b32 s56, 0x7f, s34
	v_add_u32_e32 v0, 0x7fff, v0
	v_cmp_ne_u16_e64 s[34:35], s11, 0
	v_lshrrev_b32_e32 v11, 16, v0
	v_cndmask_b32_e64 v9, 0, 1, s[34:35]
	v_cvt_f64_i32_e32 v[0:1], s14
	v_cmp_gt_i32_e32 vcc, s50, v15
	s_mov_b64 s[38:39], -1
	s_mov_b64 s[40:41], 0
	s_mov_b64 s[34:35], 0
	s_and_saveexec_b64 s[36:37], vcc
	s_cbranch_execz .LBB38_100
; %bb.2:
	v_mul_lo_u32 v2, v15, s10
	v_ashrrev_i32_e32 v3, 31, v2
	v_mov_b32_e32 v5, s9
	v_add_co_u32_e32 v6, vcc, s8, v2
	v_mov_b32_e32 v2, 11
	v_addc_co_u32_e32 v7, vcc, v5, v3, vcc
	v_cmp_lt_i16_sdwa s[34:35], s33, v2 src0_sel:BYTE_0 src1_sel:DWORD
	s_and_b64 vcc, exec, s[34:35]
	s_cbranch_vccnz .LBB38_9
; %bb.3:
	v_mov_b32_e32 v2, 25
	v_cmp_gt_i16_sdwa s[34:35], s33, v2 src0_sel:BYTE_0 src1_sel:DWORD
	s_and_b64 vcc, exec, s[34:35]
	s_cbranch_vccz .LBB38_12
; %bb.4:
	v_mov_b32_e32 v2, 28
	v_cmp_gt_i16_sdwa s[34:35], s33, v2 src0_sel:BYTE_0 src1_sel:DWORD
	s_and_b64 vcc, exec, s[34:35]
	s_cbranch_vccz .LBB38_13
	;; [unrolled: 5-line block ×4, first 2 shown]
; %bb.7:
	v_mov_b32_e32 v2, 46
	v_cmp_eq_u16_sdwa s[38:39], s33, v2 src0_sel:BYTE_0 src1_sel:DWORD
	s_mov_b64 s[42:43], 0
	s_mov_b64 s[34:35], -1
	s_and_b64 vcc, exec, s[38:39]
	s_mov_b64 s[38:39], 0
	s_cbranch_vccz .LBB38_16
; %bb.8:
	global_store_dword v[6:7], v11, off
	s_mov_b64 s[38:39], -1
	s_mov_b64 s[34:35], 0
	s_branch .LBB38_16
.LBB38_9:
	s_mov_b64 s[34:35], 0
	s_mov_b64 s[38:39], 0
	s_cbranch_execnz .LBB38_60
.LBB38_10:
	s_andn2_b64 vcc, exec, s[38:39]
	s_cbranch_vccnz .LBB38_98
.LBB38_11:
	v_add_u32_e32 v15, 0x80, v15
	s_mov_b64 s[38:39], -1
	s_branch .LBB38_99
.LBB38_12:
	s_mov_b64 s[34:35], 0
	s_mov_b64 s[38:39], 0
	s_cbranch_execnz .LBB38_38
	s_branch .LBB38_59
.LBB38_13:
	s_mov_b64 s[42:43], -1
	s_mov_b64 s[34:35], 0
	s_mov_b64 s[38:39], 0
	s_branch .LBB38_24
.LBB38_14:
	s_mov_b64 s[42:43], -1
	s_mov_b64 s[34:35], 0
	s_mov_b64 s[38:39], 0
	s_branch .LBB38_20
.LBB38_15:
	s_mov_b64 s[42:43], -1
	s_mov_b64 s[34:35], 0
	s_mov_b64 s[38:39], 0
.LBB38_16:
	s_and_b64 vcc, exec, s[42:43]
	s_cbranch_vccz .LBB38_19
; %bb.17:
	v_mov_b32_e32 v2, 44
	v_cmp_eq_u16_sdwa s[42:43], s33, v2 src0_sel:BYTE_0 src1_sel:DWORD
	s_mov_b64 s[34:35], -1
	s_and_b64 vcc, exec, s[42:43]
	s_cbranch_vccz .LBB38_19
; %bb.18:
	v_mov_b32_e32 v2, 0xff
	v_cndmask_b32_e64 v2, v14, v2, s[4:5]
	global_store_byte v[6:7], v2, off
	s_mov_b64 s[38:39], -1
	s_mov_b64 s[34:35], 0
.LBB38_19:
	s_mov_b64 s[42:43], 0
.LBB38_20:
	s_and_b64 vcc, exec, s[42:43]
	s_cbranch_vccz .LBB38_23
; %bb.21:
	v_mov_b32_e32 v2, 29
	v_cmp_eq_u16_sdwa s[42:43], s33, v2 src0_sel:BYTE_0 src1_sel:DWORD
	s_mov_b64 s[34:35], -1
	s_and_b64 vcc, exec, s[42:43]
	s_cbranch_vccz .LBB38_23
; %bb.22:
	v_pk_mov_b32 v[2:3], s[14:15], s[14:15] op_sel:[0,1]
	global_store_dwordx2 v[6:7], v[2:3], off
	s_mov_b64 s[38:39], -1
	s_mov_b64 s[34:35], 0
.LBB38_23:
	s_mov_b64 s[42:43], 0
.LBB38_24:
	s_and_b64 vcc, exec, s[42:43]
	s_cbranch_vccz .LBB38_37
; %bb.25:
	v_mov_b32_e32 v2, 27
	v_cmp_lt_i16_sdwa s[42:43], s33, v2 src0_sel:BYTE_0 src1_sel:DWORD
	s_mov_b64 s[38:39], -1
	s_and_b64 vcc, exec, s[42:43]
	s_cbranch_vccnz .LBB38_31
; %bb.26:
	v_cmp_gt_i16_sdwa s[42:43], s33, v2 src0_sel:BYTE_0 src1_sel:DWORD
	s_and_b64 vcc, exec, s[42:43]
	s_cbranch_vccz .LBB38_28
; %bb.27:
	v_mov_b32_e32 v2, s14
	s_mov_b64 s[38:39], 0
	global_store_dword v[6:7], v2, off
.LBB38_28:
	s_andn2_b64 vcc, exec, s[38:39]
	s_cbranch_vccnz .LBB38_30
; %bb.29:
	v_mov_b32_e32 v2, s11
	global_store_short v[6:7], v2, off
.LBB38_30:
	s_mov_b64 s[38:39], 0
.LBB38_31:
	s_andn2_b64 vcc, exec, s[38:39]
	s_cbranch_vccnz .LBB38_36
; %bb.32:
	s_andn2_b64 vcc, exec, s[28:29]
	v_mov_b32_e32 v2, 0x80
	s_cbranch_vccnz .LBB38_35
; %bb.33:
	s_or_b64 s[38:39], s[2:3], s[30:31]
	s_andn2_b64 vcc, exec, s[38:39]
	v_mov_b32_e32 v2, 0
	s_cbranch_vccnz .LBB38_35
; %bb.34:
	v_mov_b32_e32 v2, s61
	v_cndmask_b32_e64 v2, v13, v2, s[2:3]
	v_or_b32_e32 v2, v2, v10
.LBB38_35:
	global_store_byte v[6:7], v2, off
.LBB38_36:
	s_mov_b64 s[38:39], -1
.LBB38_37:
	s_branch .LBB38_59
.LBB38_38:
	v_mov_b32_e32 v2, 22
	v_cmp_gt_i16_sdwa s[44:45], s33, v2 src0_sel:BYTE_0 src1_sel:DWORD
	s_mov_b64 s[42:43], -1
	s_and_b64 vcc, exec, s[44:45]
	s_cbranch_vccz .LBB38_51
; %bb.39:
	v_mov_b32_e32 v2, 24
	v_cmp_lt_i16_sdwa s[42:43], s33, v2 src0_sel:BYTE_0 src1_sel:DWORD
	s_mov_b64 s[38:39], -1
	s_and_b64 vcc, exec, s[42:43]
	s_cbranch_vccnz .LBB38_48
; %bb.40:
	v_cmp_gt_i16_sdwa s[42:43], s33, v2 src0_sel:BYTE_0 src1_sel:DWORD
	s_and_b64 vcc, exec, s[42:43]
	s_cbranch_vccz .LBB38_45
; %bb.41:
	s_andn2_b64 vcc, exec, s[24:25]
	v_mov_b32_e32 v2, 0x80
	s_cbranch_vccnz .LBB38_44
; %bb.42:
	s_or_b64 s[38:39], s[0:1], s[26:27]
	s_andn2_b64 vcc, exec, s[38:39]
	v_mov_b32_e32 v2, 0
	s_cbranch_vccnz .LBB38_44
; %bb.43:
	v_mov_b32_e32 v2, s59
	v_cndmask_b32_e64 v2, v12, v2, s[0:1]
	v_or_b32_e32 v2, v2, v10
.LBB38_44:
	s_mov_b64 s[38:39], 0
	global_store_byte v[6:7], v2, off
.LBB38_45:
	s_and_b64 vcc, exec, s[38:39]
	s_cbranch_vccz .LBB38_47
; %bb.46:
	s_and_b64 s[38:39], s[22:23], exec
	s_cselect_b32 s42, s58, s57
	s_and_b64 s[38:39], s[20:21], exec
	s_cselect_b32 s38, s60, s42
	v_or_b32_e32 v2, s38, v10
	global_store_byte v[6:7], v2, off
.LBB38_47:
	s_mov_b64 s[38:39], 0
.LBB38_48:
	s_andn2_b64 vcc, exec, s[38:39]
	s_cbranch_vccnz .LBB38_50
; %bb.49:
	s_and_b64 s[38:39], s[18:19], exec
	s_cselect_b32 s42, s55, s54
	s_and_b64 s[38:39], s[16:17], exec
	s_cselect_b32 s38, s56, s42
	v_or_b32_e32 v2, s38, v10
	global_store_byte v[6:7], v2, off
.LBB38_50:
	s_mov_b64 s[42:43], 0
	s_mov_b64 s[38:39], -1
.LBB38_51:
	s_andn2_b64 vcc, exec, s[42:43]
	s_cbranch_vccnz .LBB38_59
; %bb.52:
	v_mov_b32_e32 v2, 14
	v_cmp_gt_i16_sdwa s[44:45], s33, v2 src0_sel:BYTE_0 src1_sel:DWORD
	s_mov_b64 s[42:43], -1
	s_and_b64 vcc, exec, s[44:45]
	s_cbranch_vccz .LBB38_56
; %bb.53:
	v_mov_b32_e32 v2, 15
	v_cmp_eq_u16_sdwa s[42:43], s33, v2 src0_sel:BYTE_0 src1_sel:DWORD
	s_mov_b64 s[34:35], -1
	s_and_b64 vcc, exec, s[42:43]
	s_cbranch_vccz .LBB38_55
; %bb.54:
	global_store_short v[6:7], v11, off
	s_mov_b64 s[38:39], -1
	s_mov_b64 s[34:35], 0
.LBB38_55:
	s_mov_b64 s[42:43], 0
.LBB38_56:
	s_and_b64 vcc, exec, s[42:43]
	s_cbranch_vccz .LBB38_59
; %bb.57:
	v_mov_b32_e32 v2, 11
	v_cmp_eq_u16_sdwa s[42:43], s33, v2 src0_sel:BYTE_0 src1_sel:DWORD
	s_mov_b64 s[34:35], -1
	s_and_b64 vcc, exec, s[42:43]
	s_cbranch_vccz .LBB38_59
; %bb.58:
	s_mov_b64 s[38:39], -1
	s_mov_b64 s[34:35], 0
	global_store_byte v[6:7], v9, off
.LBB38_59:
	s_branch .LBB38_10
.LBB38_60:
	v_mov_b32_e32 v2, 5
	v_cmp_lt_i16_sdwa s[42:43], s33, v2 src0_sel:BYTE_0 src1_sel:DWORD
	s_mov_b64 s[38:39], -1
	s_and_b64 vcc, exec, s[42:43]
	s_cbranch_vccnz .LBB38_81
; %bb.61:
	v_mov_b32_e32 v2, 8
	v_cmp_lt_i16_sdwa s[42:43], s33, v2 src0_sel:BYTE_0 src1_sel:DWORD
	s_and_b64 vcc, exec, s[42:43]
	s_cbranch_vccnz .LBB38_71
; %bb.62:
	v_mov_b32_e32 v2, 9
	v_cmp_lt_i16_sdwa s[42:43], s33, v2 src0_sel:BYTE_0 src1_sel:DWORD
	s_and_b64 vcc, exec, s[42:43]
	s_cbranch_vccnz .LBB38_68
; %bb.63:
	v_cmp_gt_i16_sdwa s[42:43], s33, v2 src0_sel:BYTE_0 src1_sel:DWORD
	s_and_b64 vcc, exec, s[42:43]
	s_cbranch_vccz .LBB38_65
; %bb.64:
	v_mov_b32_e32 v2, 0
	v_mov_b32_e32 v3, v2
	global_store_dwordx4 v[6:7], v[0:3], off
	s_mov_b64 s[38:39], 0
.LBB38_65:
	s_andn2_b64 vcc, exec, s[38:39]
	s_cbranch_vccnz .LBB38_67
; %bb.66:
	v_mov_b32_e32 v5, 0
	global_store_dwordx2 v[6:7], v[4:5], off
.LBB38_67:
	s_mov_b64 s[38:39], 0
.LBB38_68:
	s_andn2_b64 vcc, exec, s[38:39]
	s_cbranch_vccnz .LBB38_70
; %bb.69:
	global_store_dword v[6:7], v8, off
.LBB38_70:
	s_mov_b64 s[38:39], 0
.LBB38_71:
	s_andn2_b64 vcc, exec, s[38:39]
	s_cbranch_vccnz .LBB38_80
; %bb.72:
	v_mov_b32_e32 v2, 6
	v_cmp_lt_i16_sdwa s[42:43], s33, v2 src0_sel:BYTE_0 src1_sel:DWORD
	s_mov_b64 s[38:39], -1
	s_and_b64 vcc, exec, s[42:43]
	s_cbranch_vccnz .LBB38_78
; %bb.73:
	v_cmp_gt_i16_sdwa s[42:43], s33, v2 src0_sel:BYTE_0 src1_sel:DWORD
	s_and_b64 vcc, exec, s[42:43]
	s_cbranch_vccz .LBB38_75
; %bb.74:
	global_store_dwordx2 v[6:7], v[0:1], off
	s_mov_b64 s[38:39], 0
.LBB38_75:
	s_andn2_b64 vcc, exec, s[38:39]
	s_cbranch_vccnz .LBB38_77
; %bb.76:
	global_store_dword v[6:7], v4, off
.LBB38_77:
	s_mov_b64 s[38:39], 0
.LBB38_78:
	s_andn2_b64 vcc, exec, s[38:39]
	s_cbranch_vccnz .LBB38_80
; %bb.79:
	global_store_short v[6:7], v8, off
.LBB38_80:
	s_mov_b64 s[38:39], 0
.LBB38_81:
	s_andn2_b64 vcc, exec, s[38:39]
	s_cbranch_vccnz .LBB38_97
; %bb.82:
	v_mov_b32_e32 v2, 2
	v_cmp_lt_i16_sdwa s[42:43], s33, v2 src0_sel:BYTE_0 src1_sel:DWORD
	s_mov_b64 s[38:39], -1
	s_and_b64 vcc, exec, s[42:43]
	s_cbranch_vccnz .LBB38_92
; %bb.83:
	v_mov_b32_e32 v2, 3
	v_cmp_lt_i16_sdwa s[42:43], s33, v2 src0_sel:BYTE_0 src1_sel:DWORD
	s_and_b64 vcc, exec, s[42:43]
	s_cbranch_vccnz .LBB38_89
; %bb.84:
	v_cmp_gt_i16_sdwa s[42:43], s33, v2 src0_sel:BYTE_0 src1_sel:DWORD
	s_and_b64 vcc, exec, s[42:43]
	s_cbranch_vccz .LBB38_86
; %bb.85:
	v_pk_mov_b32 v[2:3], s[14:15], s[14:15] op_sel:[0,1]
	global_store_dwordx2 v[6:7], v[2:3], off
	s_mov_b64 s[38:39], 0
.LBB38_86:
	s_andn2_b64 vcc, exec, s[38:39]
	s_cbranch_vccnz .LBB38_88
; %bb.87:
	v_mov_b32_e32 v2, s14
	global_store_dword v[6:7], v2, off
.LBB38_88:
	s_mov_b64 s[38:39], 0
.LBB38_89:
	s_andn2_b64 vcc, exec, s[38:39]
	s_cbranch_vccnz .LBB38_91
; %bb.90:
	v_mov_b32_e32 v2, s11
	global_store_short v[6:7], v2, off
.LBB38_91:
	s_mov_b64 s[38:39], 0
.LBB38_92:
	s_andn2_b64 vcc, exec, s[38:39]
	s_cbranch_vccnz .LBB38_97
; %bb.93:
	v_mov_b32_e32 v2, 0
	v_cmp_gt_i16_sdwa s[42:43], s33, v2 src0_sel:BYTE_0 src1_sel:DWORD
	s_mov_b64 s[38:39], -1
	s_and_b64 vcc, exec, s[42:43]
	s_cbranch_vccz .LBB38_95
; %bb.94:
	v_mov_b32_e32 v2, s11
	global_store_byte v[6:7], v2, off
	s_mov_b64 s[38:39], 0
.LBB38_95:
	s_andn2_b64 vcc, exec, s[38:39]
	s_cbranch_vccnz .LBB38_97
; %bb.96:
	v_mov_b32_e32 v2, s11
	global_store_byte v[6:7], v2, off
.LBB38_97:
	s_branch .LBB38_11
.LBB38_98:
	s_mov_b64 s[38:39], 0
                                        ; implicit-def: $vgpr15
.LBB38_99:
	s_and_b64 s[34:35], s[34:35], exec
	s_orn2_b64 s[38:39], s[38:39], exec
.LBB38_100:
	s_or_b64 exec, exec, s[36:37]
	s_mov_b64 s[42:43], 0
                                        ; implicit-def: $vgpr16
                                        ; implicit-def: $vgpr6_vgpr7
	s_and_saveexec_b64 s[36:37], s[38:39]
	s_cbranch_execz .LBB38_109
; %bb.101:
	v_cmp_gt_i32_e32 vcc, s50, v15
	s_mov_b64 s[44:45], -1
	s_mov_b64 s[38:39], s[34:35]
	s_and_saveexec_b64 s[40:41], vcc
	s_cbranch_execz .LBB38_204
; %bb.102:
	v_mul_lo_u32 v2, v15, s10
	v_ashrrev_i32_e32 v3, 31, v2
	v_mov_b32_e32 v5, s9
	v_add_co_u32_e32 v6, vcc, s8, v2
	v_mov_b32_e32 v2, 11
	v_addc_co_u32_e32 v7, vcc, v5, v3, vcc
	v_cmp_lt_i16_sdwa s[38:39], s33, v2 src0_sel:BYTE_0 src1_sel:DWORD
	s_and_b64 vcc, exec, s[38:39]
	s_cbranch_vccnz .LBB38_112
; %bb.103:
	v_mov_b32_e32 v2, 25
	v_cmp_gt_i16_sdwa s[38:39], s33, v2 src0_sel:BYTE_0 src1_sel:DWORD
	s_and_b64 vcc, exec, s[38:39]
	s_cbranch_vccz .LBB38_115
; %bb.104:
	v_mov_b32_e32 v2, 28
	v_cmp_gt_i16_sdwa s[38:39], s33, v2 src0_sel:BYTE_0 src1_sel:DWORD
	s_and_b64 vcc, exec, s[38:39]
	s_cbranch_vccz .LBB38_116
	;; [unrolled: 5-line block ×4, first 2 shown]
; %bb.107:
	v_mov_b32_e32 v2, 46
	v_cmp_eq_u16_sdwa s[42:43], s33, v2 src0_sel:BYTE_0 src1_sel:DWORD
	s_mov_b64 s[44:45], 0
	s_mov_b64 s[38:39], -1
	s_and_b64 vcc, exec, s[42:43]
	s_mov_b64 s[42:43], 0
	s_cbranch_vccz .LBB38_119
; %bb.108:
	global_store_dword v[6:7], v11, off
	s_mov_b64 s[42:43], -1
	s_mov_b64 s[38:39], 0
	s_branch .LBB38_119
.LBB38_109:
	s_or_b64 exec, exec, s[36:37]
	s_mov_b64 s[0:1], 0
	s_and_saveexec_b64 s[2:3], s[34:35]
	s_cbranch_execnz .LBB38_364
.LBB38_110:
	s_or_b64 exec, exec, s[2:3]
	s_and_saveexec_b64 s[2:3], s[40:41]
	s_xor_b64 s[2:3], exec, s[2:3]
	s_cbranch_execz .LBB38_365
.LBB38_111:
	global_store_byte v[6:7], v9, off
	s_or_b64 exec, exec, s[2:3]
	s_and_saveexec_b64 s[2:3], s[42:43]
	s_xor_b64 s[2:3], exec, s[2:3]
	s_cbranch_execz .LBB38_403
	s_branch .LBB38_366
.LBB38_112:
	s_mov_b64 s[38:39], s[34:35]
	s_and_b64 vcc, exec, s[44:45]
	s_cbranch_vccnz .LBB38_164
.LBB38_113:
	s_andn2_b64 vcc, exec, s[42:43]
	s_cbranch_vccnz .LBB38_202
.LBB38_114:
	v_add_u32_e32 v15, 0x80, v15
	s_mov_b64 s[42:43], -1
	s_branch .LBB38_203
.LBB38_115:
	s_mov_b64 s[38:39], s[34:35]
	s_branch .LBB38_141
.LBB38_116:
	s_mov_b64 s[38:39], s[34:35]
	s_branch .LBB38_127
.LBB38_117:
	s_mov_b64 s[38:39], s[34:35]
	s_branch .LBB38_123
.LBB38_118:
	s_mov_b64 s[38:39], s[34:35]
.LBB38_119:
	s_and_b64 vcc, exec, s[44:45]
	s_cbranch_vccz .LBB38_122
; %bb.120:
	v_mov_b32_e32 v2, 44
	v_cmp_eq_u16_sdwa s[44:45], s33, v2 src0_sel:BYTE_0 src1_sel:DWORD
	s_mov_b64 s[38:39], -1
	s_and_b64 vcc, exec, s[44:45]
	s_cbranch_vccz .LBB38_122
; %bb.121:
	v_mov_b32_e32 v2, 0xff
	v_cndmask_b32_e64 v2, v14, v2, s[4:5]
	s_mov_b64 s[42:43], -1
	s_mov_b64 s[38:39], 0
	global_store_byte v[6:7], v2, off
.LBB38_122:
	s_mov_b64 s[44:45], 0
.LBB38_123:
	s_and_b64 vcc, exec, s[44:45]
	s_cbranch_vccz .LBB38_126
; %bb.124:
	v_mov_b32_e32 v2, 29
	v_cmp_eq_u16_sdwa s[44:45], s33, v2 src0_sel:BYTE_0 src1_sel:DWORD
	s_mov_b64 s[38:39], -1
	s_and_b64 vcc, exec, s[44:45]
	s_cbranch_vccz .LBB38_126
; %bb.125:
	v_pk_mov_b32 v[2:3], s[14:15], s[14:15] op_sel:[0,1]
	global_store_dwordx2 v[6:7], v[2:3], off
	s_mov_b64 s[42:43], -1
	s_mov_b64 s[38:39], 0
.LBB38_126:
	s_mov_b64 s[44:45], 0
.LBB38_127:
	s_and_b64 vcc, exec, s[44:45]
	s_cbranch_vccz .LBB38_140
; %bb.128:
	v_mov_b32_e32 v2, 27
	v_cmp_lt_i16_sdwa s[44:45], s33, v2 src0_sel:BYTE_0 src1_sel:DWORD
	s_mov_b64 s[42:43], -1
	s_and_b64 vcc, exec, s[44:45]
	s_cbranch_vccnz .LBB38_134
; %bb.129:
	v_cmp_gt_i16_sdwa s[44:45], s33, v2 src0_sel:BYTE_0 src1_sel:DWORD
	s_and_b64 vcc, exec, s[44:45]
	s_cbranch_vccz .LBB38_131
; %bb.130:
	v_mov_b32_e32 v2, s14
	s_mov_b64 s[42:43], 0
	global_store_dword v[6:7], v2, off
.LBB38_131:
	s_andn2_b64 vcc, exec, s[42:43]
	s_cbranch_vccnz .LBB38_133
; %bb.132:
	v_mov_b32_e32 v2, s11
	global_store_short v[6:7], v2, off
.LBB38_133:
	s_mov_b64 s[42:43], 0
.LBB38_134:
	s_andn2_b64 vcc, exec, s[42:43]
	s_cbranch_vccnz .LBB38_139
; %bb.135:
	s_andn2_b64 vcc, exec, s[28:29]
	v_mov_b32_e32 v2, 0x80
	s_cbranch_vccnz .LBB38_138
; %bb.136:
	s_or_b64 s[42:43], s[2:3], s[30:31]
	s_andn2_b64 vcc, exec, s[42:43]
	v_mov_b32_e32 v2, 0
	s_cbranch_vccnz .LBB38_138
; %bb.137:
	v_mov_b32_e32 v2, s61
	v_cndmask_b32_e64 v2, v13, v2, s[2:3]
	v_or_b32_e32 v2, v2, v10
.LBB38_138:
	global_store_byte v[6:7], v2, off
.LBB38_139:
	s_mov_b64 s[42:43], -1
.LBB38_140:
	s_mov_b64 s[44:45], 0
.LBB38_141:
	s_and_b64 vcc, exec, s[44:45]
	s_cbranch_vccz .LBB38_163
; %bb.142:
	v_mov_b32_e32 v2, 22
	v_cmp_gt_i16_sdwa s[46:47], s33, v2 src0_sel:BYTE_0 src1_sel:DWORD
	s_mov_b64 s[44:45], -1
	s_and_b64 vcc, exec, s[46:47]
	s_cbranch_vccz .LBB38_155
; %bb.143:
	v_mov_b32_e32 v2, 24
	v_cmp_lt_i16_sdwa s[44:45], s33, v2 src0_sel:BYTE_0 src1_sel:DWORD
	s_mov_b64 s[42:43], -1
	s_and_b64 vcc, exec, s[44:45]
	s_cbranch_vccnz .LBB38_152
; %bb.144:
	v_cmp_gt_i16_sdwa s[44:45], s33, v2 src0_sel:BYTE_0 src1_sel:DWORD
	s_and_b64 vcc, exec, s[44:45]
	s_cbranch_vccz .LBB38_149
; %bb.145:
	s_andn2_b64 vcc, exec, s[24:25]
	v_mov_b32_e32 v2, 0x80
	s_cbranch_vccnz .LBB38_148
; %bb.146:
	s_or_b64 s[42:43], s[0:1], s[26:27]
	s_andn2_b64 vcc, exec, s[42:43]
	v_mov_b32_e32 v2, 0
	s_cbranch_vccnz .LBB38_148
; %bb.147:
	v_mov_b32_e32 v2, s59
	v_cndmask_b32_e64 v2, v12, v2, s[0:1]
	v_or_b32_e32 v2, v2, v10
.LBB38_148:
	s_mov_b64 s[42:43], 0
	global_store_byte v[6:7], v2, off
.LBB38_149:
	s_and_b64 vcc, exec, s[42:43]
	s_cbranch_vccz .LBB38_151
; %bb.150:
	s_and_b64 s[42:43], s[22:23], exec
	s_cselect_b32 s44, s58, s57
	s_and_b64 s[42:43], s[20:21], exec
	s_cselect_b32 s42, s60, s44
	v_or_b32_e32 v2, s42, v10
	global_store_byte v[6:7], v2, off
.LBB38_151:
	s_mov_b64 s[42:43], 0
.LBB38_152:
	s_andn2_b64 vcc, exec, s[42:43]
	s_cbranch_vccnz .LBB38_154
; %bb.153:
	s_and_b64 s[42:43], s[18:19], exec
	s_cselect_b32 s44, s55, s54
	s_and_b64 s[42:43], s[16:17], exec
	s_cselect_b32 s42, s56, s44
	v_or_b32_e32 v2, s42, v10
	global_store_byte v[6:7], v2, off
.LBB38_154:
	s_mov_b64 s[44:45], 0
	s_mov_b64 s[42:43], -1
.LBB38_155:
	s_andn2_b64 vcc, exec, s[44:45]
	s_cbranch_vccnz .LBB38_163
; %bb.156:
	v_mov_b32_e32 v2, 14
	v_cmp_gt_i16_sdwa s[46:47], s33, v2 src0_sel:BYTE_0 src1_sel:DWORD
	s_mov_b64 s[44:45], -1
	s_and_b64 vcc, exec, s[46:47]
	s_cbranch_vccz .LBB38_160
; %bb.157:
	v_mov_b32_e32 v2, 15
	v_cmp_eq_u16_sdwa s[44:45], s33, v2 src0_sel:BYTE_0 src1_sel:DWORD
	s_mov_b64 s[38:39], -1
	s_and_b64 vcc, exec, s[44:45]
	s_cbranch_vccz .LBB38_159
; %bb.158:
	global_store_short v[6:7], v11, off
	s_mov_b64 s[42:43], -1
	s_mov_b64 s[38:39], 0
.LBB38_159:
	s_mov_b64 s[44:45], 0
.LBB38_160:
	s_and_b64 vcc, exec, s[44:45]
	s_cbranch_vccz .LBB38_163
; %bb.161:
	v_mov_b32_e32 v2, 11
	v_cmp_eq_u16_sdwa s[44:45], s33, v2 src0_sel:BYTE_0 src1_sel:DWORD
	s_mov_b64 s[38:39], -1
	s_and_b64 vcc, exec, s[44:45]
	s_cbranch_vccz .LBB38_163
; %bb.162:
	s_mov_b64 s[42:43], -1
	s_mov_b64 s[38:39], 0
	global_store_byte v[6:7], v9, off
.LBB38_163:
	s_branch .LBB38_113
.LBB38_164:
	v_mov_b32_e32 v2, 5
	v_cmp_lt_i16_sdwa s[44:45], s33, v2 src0_sel:BYTE_0 src1_sel:DWORD
	s_mov_b64 s[42:43], -1
	s_and_b64 vcc, exec, s[44:45]
	s_cbranch_vccnz .LBB38_185
; %bb.165:
	v_mov_b32_e32 v2, 8
	v_cmp_lt_i16_sdwa s[44:45], s33, v2 src0_sel:BYTE_0 src1_sel:DWORD
	s_and_b64 vcc, exec, s[44:45]
	s_cbranch_vccnz .LBB38_175
; %bb.166:
	v_mov_b32_e32 v2, 9
	v_cmp_lt_i16_sdwa s[44:45], s33, v2 src0_sel:BYTE_0 src1_sel:DWORD
	s_and_b64 vcc, exec, s[44:45]
	s_cbranch_vccnz .LBB38_172
; %bb.167:
	v_cmp_gt_i16_sdwa s[44:45], s33, v2 src0_sel:BYTE_0 src1_sel:DWORD
	s_and_b64 vcc, exec, s[44:45]
	s_cbranch_vccz .LBB38_169
; %bb.168:
	v_mov_b32_e32 v2, 0
	v_mov_b32_e32 v3, v2
	s_mov_b64 s[42:43], 0
	global_store_dwordx4 v[6:7], v[0:3], off
.LBB38_169:
	s_andn2_b64 vcc, exec, s[42:43]
	s_cbranch_vccnz .LBB38_171
; %bb.170:
	v_mov_b32_e32 v5, 0
	global_store_dwordx2 v[6:7], v[4:5], off
.LBB38_171:
	s_mov_b64 s[42:43], 0
.LBB38_172:
	s_andn2_b64 vcc, exec, s[42:43]
	s_cbranch_vccnz .LBB38_174
; %bb.173:
	global_store_dword v[6:7], v8, off
.LBB38_174:
	s_mov_b64 s[42:43], 0
.LBB38_175:
	s_andn2_b64 vcc, exec, s[42:43]
	s_cbranch_vccnz .LBB38_184
; %bb.176:
	v_mov_b32_e32 v2, 6
	v_cmp_lt_i16_sdwa s[44:45], s33, v2 src0_sel:BYTE_0 src1_sel:DWORD
	s_mov_b64 s[42:43], -1
	s_and_b64 vcc, exec, s[44:45]
	s_cbranch_vccnz .LBB38_182
; %bb.177:
	v_cmp_gt_i16_sdwa s[44:45], s33, v2 src0_sel:BYTE_0 src1_sel:DWORD
	s_and_b64 vcc, exec, s[44:45]
	s_cbranch_vccz .LBB38_179
; %bb.178:
	s_mov_b64 s[42:43], 0
	global_store_dwordx2 v[6:7], v[0:1], off
.LBB38_179:
	s_andn2_b64 vcc, exec, s[42:43]
	s_cbranch_vccnz .LBB38_181
; %bb.180:
	global_store_dword v[6:7], v4, off
.LBB38_181:
	s_mov_b64 s[42:43], 0
.LBB38_182:
	s_andn2_b64 vcc, exec, s[42:43]
	s_cbranch_vccnz .LBB38_184
; %bb.183:
	global_store_short v[6:7], v8, off
.LBB38_184:
	s_mov_b64 s[42:43], 0
.LBB38_185:
	s_andn2_b64 vcc, exec, s[42:43]
	s_cbranch_vccnz .LBB38_201
; %bb.186:
	v_mov_b32_e32 v2, 2
	v_cmp_lt_i16_sdwa s[44:45], s33, v2 src0_sel:BYTE_0 src1_sel:DWORD
	s_mov_b64 s[42:43], -1
	s_and_b64 vcc, exec, s[44:45]
	s_cbranch_vccnz .LBB38_196
; %bb.187:
	v_mov_b32_e32 v2, 3
	v_cmp_lt_i16_sdwa s[44:45], s33, v2 src0_sel:BYTE_0 src1_sel:DWORD
	s_and_b64 vcc, exec, s[44:45]
	s_cbranch_vccnz .LBB38_193
; %bb.188:
	v_cmp_gt_i16_sdwa s[44:45], s33, v2 src0_sel:BYTE_0 src1_sel:DWORD
	s_and_b64 vcc, exec, s[44:45]
	s_cbranch_vccz .LBB38_190
; %bb.189:
	v_pk_mov_b32 v[2:3], s[14:15], s[14:15] op_sel:[0,1]
	s_mov_b64 s[42:43], 0
	global_store_dwordx2 v[6:7], v[2:3], off
.LBB38_190:
	s_andn2_b64 vcc, exec, s[42:43]
	s_cbranch_vccnz .LBB38_192
; %bb.191:
	v_mov_b32_e32 v2, s14
	global_store_dword v[6:7], v2, off
.LBB38_192:
	s_mov_b64 s[42:43], 0
.LBB38_193:
	s_andn2_b64 vcc, exec, s[42:43]
	s_cbranch_vccnz .LBB38_195
; %bb.194:
	v_mov_b32_e32 v2, s11
	global_store_short v[6:7], v2, off
.LBB38_195:
	s_mov_b64 s[42:43], 0
.LBB38_196:
	s_andn2_b64 vcc, exec, s[42:43]
	s_cbranch_vccnz .LBB38_201
; %bb.197:
	v_mov_b32_e32 v2, 0
	v_cmp_gt_i16_sdwa s[44:45], s33, v2 src0_sel:BYTE_0 src1_sel:DWORD
	s_mov_b64 s[42:43], -1
	s_and_b64 vcc, exec, s[44:45]
	s_cbranch_vccz .LBB38_199
; %bb.198:
	v_mov_b32_e32 v2, s11
	s_mov_b64 s[42:43], 0
	global_store_byte v[6:7], v2, off
.LBB38_199:
	s_andn2_b64 vcc, exec, s[42:43]
	s_cbranch_vccnz .LBB38_201
; %bb.200:
	v_mov_b32_e32 v2, s11
	global_store_byte v[6:7], v2, off
.LBB38_201:
	s_branch .LBB38_114
.LBB38_202:
	s_mov_b64 s[42:43], 0
                                        ; implicit-def: $vgpr15
.LBB38_203:
	s_andn2_b64 s[44:45], s[34:35], exec
	s_and_b64 s[38:39], s[38:39], exec
	s_or_b64 s[38:39], s[44:45], s[38:39]
	s_orn2_b64 s[44:45], s[42:43], exec
.LBB38_204:
	s_or_b64 exec, exec, s[40:41]
	s_mov_b64 s[46:47], 0
	s_mov_b64 s[42:43], 0
                                        ; implicit-def: $vgpr16
                                        ; implicit-def: $vgpr6_vgpr7
	s_and_saveexec_b64 s[40:41], s[44:45]
	s_cbranch_execz .LBB38_363
; %bb.205:
	v_cmp_gt_i32_e32 vcc, s50, v15
	s_mov_b64 s[48:49], -1
	s_mov_b64 s[44:45], s[38:39]
	s_and_saveexec_b64 s[42:43], vcc
	s_cbranch_execz .LBB38_306
; %bb.206:
	v_mul_lo_u32 v2, v15, s10
	v_ashrrev_i32_e32 v3, 31, v2
	v_mov_b32_e32 v5, s9
	v_add_co_u32_e32 v6, vcc, s8, v2
	v_mov_b32_e32 v2, 11
	v_addc_co_u32_e32 v7, vcc, v5, v3, vcc
	v_cmp_lt_i16_sdwa s[44:45], s33, v2 src0_sel:BYTE_0 src1_sel:DWORD
	s_and_b64 vcc, exec, s[44:45]
	s_cbranch_vccnz .LBB38_213
; %bb.207:
	v_mov_b32_e32 v2, 25
	v_cmp_gt_i16_sdwa s[44:45], s33, v2 src0_sel:BYTE_0 src1_sel:DWORD
	s_and_b64 vcc, exec, s[44:45]
	s_cbranch_vccz .LBB38_214
; %bb.208:
	v_mov_b32_e32 v2, 28
	v_cmp_gt_i16_sdwa s[44:45], s33, v2 src0_sel:BYTE_0 src1_sel:DWORD
	s_and_b64 vcc, exec, s[44:45]
	s_cbranch_vccz .LBB38_215
	;; [unrolled: 5-line block ×4, first 2 shown]
; %bb.211:
	v_mov_b32_e32 v2, 46
	v_cmp_eq_u16_sdwa s[46:47], s33, v2 src0_sel:BYTE_0 src1_sel:DWORD
	s_mov_b64 s[48:49], 0
	s_mov_b64 s[44:45], -1
	s_and_b64 vcc, exec, s[46:47]
	s_mov_b64 s[46:47], 0
	s_cbranch_vccz .LBB38_218
; %bb.212:
	global_store_dword v[6:7], v11, off
	s_mov_b64 s[46:47], -1
	s_mov_b64 s[44:45], 0
	s_branch .LBB38_218
.LBB38_213:
	s_mov_b64 s[44:45], s[38:39]
	s_branch .LBB38_263
.LBB38_214:
	s_mov_b64 s[44:45], s[38:39]
	s_branch .LBB38_240
.LBB38_215:
	s_mov_b64 s[44:45], s[38:39]
	s_branch .LBB38_226
.LBB38_216:
	s_mov_b64 s[44:45], s[38:39]
	s_branch .LBB38_222
.LBB38_217:
	s_mov_b64 s[44:45], s[38:39]
.LBB38_218:
	s_and_b64 vcc, exec, s[48:49]
	s_cbranch_vccz .LBB38_221
; %bb.219:
	v_mov_b32_e32 v2, 44
	v_cmp_eq_u16_sdwa s[48:49], s33, v2 src0_sel:BYTE_0 src1_sel:DWORD
	s_mov_b64 s[44:45], -1
	s_and_b64 vcc, exec, s[48:49]
	s_cbranch_vccz .LBB38_221
; %bb.220:
	v_mov_b32_e32 v2, 0xff
	v_cndmask_b32_e64 v2, v14, v2, s[4:5]
	s_mov_b64 s[46:47], -1
	s_mov_b64 s[44:45], 0
	global_store_byte v[6:7], v2, off
.LBB38_221:
	s_mov_b64 s[48:49], 0
.LBB38_222:
	s_and_b64 vcc, exec, s[48:49]
	s_cbranch_vccz .LBB38_225
; %bb.223:
	v_mov_b32_e32 v2, 29
	v_cmp_eq_u16_sdwa s[48:49], s33, v2 src0_sel:BYTE_0 src1_sel:DWORD
	s_mov_b64 s[44:45], -1
	s_and_b64 vcc, exec, s[48:49]
	s_cbranch_vccz .LBB38_225
; %bb.224:
	v_pk_mov_b32 v[2:3], s[14:15], s[14:15] op_sel:[0,1]
	global_store_dwordx2 v[6:7], v[2:3], off
	s_mov_b64 s[46:47], -1
	s_mov_b64 s[44:45], 0
.LBB38_225:
	s_mov_b64 s[48:49], 0
.LBB38_226:
	s_and_b64 vcc, exec, s[48:49]
	s_cbranch_vccz .LBB38_239
; %bb.227:
	v_mov_b32_e32 v2, 27
	v_cmp_lt_i16_sdwa s[48:49], s33, v2 src0_sel:BYTE_0 src1_sel:DWORD
	s_mov_b64 s[46:47], -1
	s_and_b64 vcc, exec, s[48:49]
	s_cbranch_vccnz .LBB38_233
; %bb.228:
	v_cmp_gt_i16_sdwa s[48:49], s33, v2 src0_sel:BYTE_0 src1_sel:DWORD
	s_and_b64 vcc, exec, s[48:49]
	s_cbranch_vccz .LBB38_230
; %bb.229:
	v_mov_b32_e32 v2, s14
	s_mov_b64 s[46:47], 0
	global_store_dword v[6:7], v2, off
.LBB38_230:
	s_andn2_b64 vcc, exec, s[46:47]
	s_cbranch_vccnz .LBB38_232
; %bb.231:
	v_mov_b32_e32 v2, s11
	global_store_short v[6:7], v2, off
.LBB38_232:
	s_mov_b64 s[46:47], 0
.LBB38_233:
	s_andn2_b64 vcc, exec, s[46:47]
	s_cbranch_vccnz .LBB38_238
; %bb.234:
	s_andn2_b64 vcc, exec, s[28:29]
	v_mov_b32_e32 v2, 0x80
	s_cbranch_vccnz .LBB38_237
; %bb.235:
	s_or_b64 s[46:47], s[2:3], s[30:31]
	s_andn2_b64 vcc, exec, s[46:47]
	v_mov_b32_e32 v2, 0
	s_cbranch_vccnz .LBB38_237
; %bb.236:
	v_mov_b32_e32 v2, s61
	v_cndmask_b32_e64 v2, v13, v2, s[2:3]
	v_or_b32_e32 v2, v2, v10
.LBB38_237:
	global_store_byte v[6:7], v2, off
.LBB38_238:
	s_mov_b64 s[46:47], -1
.LBB38_239:
	s_mov_b64 s[48:49], 0
.LBB38_240:
	s_and_b64 vcc, exec, s[48:49]
	s_cbranch_vccz .LBB38_262
; %bb.241:
	v_mov_b32_e32 v2, 22
	v_cmp_gt_i16_sdwa s[52:53], s33, v2 src0_sel:BYTE_0 src1_sel:DWORD
	s_mov_b64 s[48:49], -1
	s_and_b64 vcc, exec, s[52:53]
	s_cbranch_vccz .LBB38_254
; %bb.242:
	v_mov_b32_e32 v2, 24
	v_cmp_lt_i16_sdwa s[48:49], s33, v2 src0_sel:BYTE_0 src1_sel:DWORD
	s_mov_b64 s[46:47], -1
	s_and_b64 vcc, exec, s[48:49]
	s_cbranch_vccnz .LBB38_251
; %bb.243:
	v_cmp_gt_i16_sdwa s[48:49], s33, v2 src0_sel:BYTE_0 src1_sel:DWORD
	s_and_b64 vcc, exec, s[48:49]
	s_cbranch_vccz .LBB38_248
; %bb.244:
	s_andn2_b64 vcc, exec, s[24:25]
	v_mov_b32_e32 v2, 0x80
	s_cbranch_vccnz .LBB38_247
; %bb.245:
	s_or_b64 s[46:47], s[0:1], s[26:27]
	s_andn2_b64 vcc, exec, s[46:47]
	v_mov_b32_e32 v2, 0
	s_cbranch_vccnz .LBB38_247
; %bb.246:
	v_mov_b32_e32 v2, s59
	v_cndmask_b32_e64 v2, v12, v2, s[0:1]
	v_or_b32_e32 v2, v2, v10
.LBB38_247:
	s_mov_b64 s[46:47], 0
	global_store_byte v[6:7], v2, off
.LBB38_248:
	s_and_b64 vcc, exec, s[46:47]
	s_cbranch_vccz .LBB38_250
; %bb.249:
	s_and_b64 s[46:47], s[22:23], exec
	s_cselect_b32 s48, s58, s57
	s_and_b64 s[46:47], s[20:21], exec
	s_cselect_b32 s46, s60, s48
	v_or_b32_e32 v2, s46, v10
	global_store_byte v[6:7], v2, off
.LBB38_250:
	s_mov_b64 s[46:47], 0
.LBB38_251:
	s_andn2_b64 vcc, exec, s[46:47]
	s_cbranch_vccnz .LBB38_253
; %bb.252:
	s_and_b64 s[46:47], s[18:19], exec
	s_cselect_b32 s48, s55, s54
	s_and_b64 s[46:47], s[16:17], exec
	s_cselect_b32 s46, s56, s48
	v_or_b32_e32 v2, s46, v10
	global_store_byte v[6:7], v2, off
.LBB38_253:
	s_mov_b64 s[48:49], 0
	s_mov_b64 s[46:47], -1
.LBB38_254:
	s_andn2_b64 vcc, exec, s[48:49]
	s_cbranch_vccnz .LBB38_262
; %bb.255:
	v_mov_b32_e32 v2, 14
	v_cmp_gt_i16_sdwa s[52:53], s33, v2 src0_sel:BYTE_0 src1_sel:DWORD
	s_mov_b64 s[48:49], -1
	s_and_b64 vcc, exec, s[52:53]
	s_cbranch_vccz .LBB38_259
; %bb.256:
	v_mov_b32_e32 v2, 15
	v_cmp_eq_u16_sdwa s[48:49], s33, v2 src0_sel:BYTE_0 src1_sel:DWORD
	s_mov_b64 s[44:45], -1
	s_and_b64 vcc, exec, s[48:49]
	s_cbranch_vccz .LBB38_258
; %bb.257:
	global_store_short v[6:7], v11, off
	s_mov_b64 s[46:47], -1
	s_mov_b64 s[44:45], 0
.LBB38_258:
	s_mov_b64 s[48:49], 0
.LBB38_259:
	s_and_b64 vcc, exec, s[48:49]
	s_cbranch_vccz .LBB38_262
; %bb.260:
	v_mov_b32_e32 v2, 11
	v_cmp_eq_u16_sdwa s[48:49], s33, v2 src0_sel:BYTE_0 src1_sel:DWORD
	s_mov_b64 s[44:45], -1
	s_and_b64 vcc, exec, s[48:49]
	s_cbranch_vccz .LBB38_262
; %bb.261:
	s_mov_b64 s[46:47], -1
	s_mov_b64 s[44:45], 0
	global_store_byte v[6:7], v9, off
.LBB38_262:
	s_mov_b64 s[48:49], 0
.LBB38_263:
	s_and_b64 vcc, exec, s[48:49]
	s_cbranch_vccz .LBB38_302
; %bb.264:
	v_mov_b32_e32 v2, 5
	v_cmp_lt_i16_sdwa s[48:49], s33, v2 src0_sel:BYTE_0 src1_sel:DWORD
	s_mov_b64 s[46:47], -1
	s_and_b64 vcc, exec, s[48:49]
	s_cbranch_vccnz .LBB38_285
; %bb.265:
	v_mov_b32_e32 v2, 8
	v_cmp_lt_i16_sdwa s[48:49], s33, v2 src0_sel:BYTE_0 src1_sel:DWORD
	s_and_b64 vcc, exec, s[48:49]
	s_cbranch_vccnz .LBB38_275
; %bb.266:
	v_mov_b32_e32 v2, 9
	v_cmp_lt_i16_sdwa s[48:49], s33, v2 src0_sel:BYTE_0 src1_sel:DWORD
	s_and_b64 vcc, exec, s[48:49]
	s_cbranch_vccnz .LBB38_272
; %bb.267:
	v_cmp_gt_i16_sdwa s[48:49], s33, v2 src0_sel:BYTE_0 src1_sel:DWORD
	s_and_b64 vcc, exec, s[48:49]
	s_cbranch_vccz .LBB38_269
; %bb.268:
	v_mov_b32_e32 v2, 0
	v_mov_b32_e32 v3, v2
	s_mov_b64 s[46:47], 0
	global_store_dwordx4 v[6:7], v[0:3], off
.LBB38_269:
	s_andn2_b64 vcc, exec, s[46:47]
	s_cbranch_vccnz .LBB38_271
; %bb.270:
	v_mov_b32_e32 v5, 0
	global_store_dwordx2 v[6:7], v[4:5], off
.LBB38_271:
	s_mov_b64 s[46:47], 0
.LBB38_272:
	s_andn2_b64 vcc, exec, s[46:47]
	s_cbranch_vccnz .LBB38_274
; %bb.273:
	global_store_dword v[6:7], v8, off
.LBB38_274:
	s_mov_b64 s[46:47], 0
.LBB38_275:
	s_andn2_b64 vcc, exec, s[46:47]
	s_cbranch_vccnz .LBB38_284
; %bb.276:
	v_mov_b32_e32 v2, 6
	v_cmp_lt_i16_sdwa s[48:49], s33, v2 src0_sel:BYTE_0 src1_sel:DWORD
	s_mov_b64 s[46:47], -1
	s_and_b64 vcc, exec, s[48:49]
	s_cbranch_vccnz .LBB38_282
; %bb.277:
	v_cmp_gt_i16_sdwa s[48:49], s33, v2 src0_sel:BYTE_0 src1_sel:DWORD
	s_and_b64 vcc, exec, s[48:49]
	s_cbranch_vccz .LBB38_279
; %bb.278:
	s_mov_b64 s[46:47], 0
	global_store_dwordx2 v[6:7], v[0:1], off
.LBB38_279:
	s_andn2_b64 vcc, exec, s[46:47]
	s_cbranch_vccnz .LBB38_281
; %bb.280:
	global_store_dword v[6:7], v4, off
.LBB38_281:
	s_mov_b64 s[46:47], 0
.LBB38_282:
	s_andn2_b64 vcc, exec, s[46:47]
	s_cbranch_vccnz .LBB38_284
; %bb.283:
	global_store_short v[6:7], v8, off
.LBB38_284:
	s_mov_b64 s[46:47], 0
.LBB38_285:
	s_andn2_b64 vcc, exec, s[46:47]
	s_cbranch_vccnz .LBB38_301
; %bb.286:
	v_mov_b32_e32 v2, 2
	v_cmp_lt_i16_sdwa s[48:49], s33, v2 src0_sel:BYTE_0 src1_sel:DWORD
	s_mov_b64 s[46:47], -1
	s_and_b64 vcc, exec, s[48:49]
	s_cbranch_vccnz .LBB38_296
; %bb.287:
	v_mov_b32_e32 v2, 3
	v_cmp_lt_i16_sdwa s[48:49], s33, v2 src0_sel:BYTE_0 src1_sel:DWORD
	s_and_b64 vcc, exec, s[48:49]
	s_cbranch_vccnz .LBB38_293
; %bb.288:
	v_cmp_gt_i16_sdwa s[48:49], s33, v2 src0_sel:BYTE_0 src1_sel:DWORD
	s_and_b64 vcc, exec, s[48:49]
	s_cbranch_vccz .LBB38_290
; %bb.289:
	v_pk_mov_b32 v[2:3], s[14:15], s[14:15] op_sel:[0,1]
	s_mov_b64 s[46:47], 0
	global_store_dwordx2 v[6:7], v[2:3], off
.LBB38_290:
	s_andn2_b64 vcc, exec, s[46:47]
	s_cbranch_vccnz .LBB38_292
; %bb.291:
	v_mov_b32_e32 v2, s14
	global_store_dword v[6:7], v2, off
.LBB38_292:
	s_mov_b64 s[46:47], 0
.LBB38_293:
	s_andn2_b64 vcc, exec, s[46:47]
	s_cbranch_vccnz .LBB38_295
; %bb.294:
	v_mov_b32_e32 v2, s11
	global_store_short v[6:7], v2, off
.LBB38_295:
	s_mov_b64 s[46:47], 0
.LBB38_296:
	s_andn2_b64 vcc, exec, s[46:47]
	s_cbranch_vccnz .LBB38_301
; %bb.297:
	v_mov_b32_e32 v2, 0
	v_cmp_gt_i16_sdwa s[48:49], s33, v2 src0_sel:BYTE_0 src1_sel:DWORD
	s_mov_b64 s[46:47], -1
	s_and_b64 vcc, exec, s[48:49]
	s_cbranch_vccz .LBB38_299
; %bb.298:
	v_mov_b32_e32 v2, s11
	s_mov_b64 s[46:47], 0
	global_store_byte v[6:7], v2, off
.LBB38_299:
	s_andn2_b64 vcc, exec, s[46:47]
	s_cbranch_vccnz .LBB38_301
; %bb.300:
	v_mov_b32_e32 v2, s11
	global_store_byte v[6:7], v2, off
.LBB38_301:
	s_mov_b64 s[46:47], -1
.LBB38_302:
	s_andn2_b64 vcc, exec, s[46:47]
	s_cbranch_vccnz .LBB38_304
; %bb.303:
	v_add_u32_e32 v15, 0x80, v15
	s_mov_b64 s[46:47], -1
	s_branch .LBB38_305
.LBB38_304:
	s_mov_b64 s[46:47], 0
                                        ; implicit-def: $vgpr15
.LBB38_305:
	s_andn2_b64 s[48:49], s[38:39], exec
	s_and_b64 s[44:45], s[44:45], exec
	s_or_b64 s[44:45], s[48:49], s[44:45]
	s_orn2_b64 s[48:49], s[46:47], exec
.LBB38_306:
	s_or_b64 exec, exec, s[42:43]
	s_mov_b64 s[46:47], 0
	s_mov_b64 s[52:53], 0
                                        ; implicit-def: $vgpr16
                                        ; implicit-def: $vgpr6_vgpr7
	s_and_saveexec_b64 s[42:43], s[48:49]
	s_cbranch_execz .LBB38_362
; %bb.307:
	v_cmp_gt_i32_e32 vcc, s50, v15
	s_mov_b64 s[50:51], 0
	s_mov_b64 s[48:49], s[44:45]
                                        ; implicit-def: $vgpr16
                                        ; implicit-def: $vgpr6_vgpr7
	s_and_saveexec_b64 s[46:47], vcc
	s_cbranch_execz .LBB38_361
; %bb.308:
	v_mul_lo_u32 v2, v15, s10
	v_ashrrev_i32_e32 v3, 31, v2
	v_mov_b32_e32 v5, s9
	v_add_co_u32_e32 v6, vcc, s8, v2
	v_mov_b32_e32 v2, 0xff
	v_addc_co_u32_e32 v7, vcc, v5, v3, vcc
	v_and_b32_e32 v16, s33, v2
	v_cmp_gt_i16_e32 vcc, 11, v16
	s_cbranch_vccnz .LBB38_358
; %bb.309:
	v_cmp_lt_i16_e32 vcc, 25, v16
	s_mov_b64 s[50:51], -1
	s_mov_b64 s[48:49], s[44:45]
	s_cbranch_vccz .LBB38_337
; %bb.310:
	v_cmp_lt_i16_e32 vcc, 28, v16
	s_mov_b64 s[48:49], s[44:45]
	s_cbranch_vccz .LBB38_324
; %bb.311:
	v_cmp_lt_i16_e32 vcc, 43, v16
	;; [unrolled: 4-line block ×3, first 2 shown]
	s_mov_b64 s[48:49], s[44:45]
	s_cbranch_vccz .LBB38_316
; %bb.313:
	v_cmp_eq_u16_e32 vcc, 46, v16
	s_mov_b64 s[48:49], -1
	s_cbranch_vccz .LBB38_315
; %bb.314:
	global_store_dword v[6:7], v11, off
	s_mov_b64 s[48:49], 0
.LBB38_315:
	s_mov_b64 s[50:51], 0
.LBB38_316:
	s_and_b64 vcc, exec, s[50:51]
	s_cbranch_vccz .LBB38_319
; %bb.317:
	v_cmp_eq_u16_e32 vcc, 44, v16
	s_mov_b64 s[48:49], -1
	s_cbranch_vccz .LBB38_319
; %bb.318:
	v_mov_b32_e32 v2, 0xff
	v_cndmask_b32_e64 v2, v14, v2, s[4:5]
	global_store_byte v[6:7], v2, off
	s_mov_b64 s[48:49], 0
.LBB38_319:
	s_mov_b64 s[50:51], 0
.LBB38_320:
	s_and_b64 vcc, exec, s[50:51]
	s_cbranch_vccz .LBB38_323
; %bb.321:
	v_cmp_eq_u16_e32 vcc, 29, v16
	s_mov_b64 s[48:49], -1
	s_cbranch_vccz .LBB38_323
; %bb.322:
	v_pk_mov_b32 v[2:3], s[14:15], s[14:15] op_sel:[0,1]
	global_store_dwordx2 v[6:7], v[2:3], off
	s_mov_b64 s[48:49], 0
.LBB38_323:
	s_mov_b64 s[50:51], 0
.LBB38_324:
	s_and_b64 vcc, exec, s[50:51]
	s_cbranch_vccz .LBB38_336
; %bb.325:
	v_cmp_gt_i16_e32 vcc, 27, v16
	s_mov_b64 s[4:5], -1
	s_cbranch_vccnz .LBB38_331
; %bb.326:
	v_cmp_lt_i16_e32 vcc, 27, v16
	s_cbranch_vccz .LBB38_328
; %bb.327:
	v_mov_b32_e32 v2, s14
	s_mov_b64 s[4:5], 0
	global_store_dword v[6:7], v2, off
.LBB38_328:
	s_andn2_b64 vcc, exec, s[4:5]
	s_cbranch_vccnz .LBB38_330
; %bb.329:
	v_mov_b32_e32 v2, s11
	global_store_short v[6:7], v2, off
.LBB38_330:
	s_mov_b64 s[4:5], 0
.LBB38_331:
	s_andn2_b64 vcc, exec, s[4:5]
	s_cbranch_vccnz .LBB38_336
; %bb.332:
	s_andn2_b64 vcc, exec, s[28:29]
	v_mov_b32_e32 v2, 0x80
	s_cbranch_vccnz .LBB38_335
; %bb.333:
	s_or_b64 s[4:5], s[2:3], s[30:31]
	s_andn2_b64 vcc, exec, s[4:5]
	v_mov_b32_e32 v2, 0
	s_cbranch_vccnz .LBB38_335
; %bb.334:
	v_mov_b32_e32 v2, s61
	v_cndmask_b32_e64 v2, v13, v2, s[2:3]
	v_or_b32_e32 v2, v2, v10
.LBB38_335:
	global_store_byte v[6:7], v2, off
.LBB38_336:
	s_mov_b64 s[50:51], 0
.LBB38_337:
	s_mov_b64 s[2:3], 0
	s_and_b64 vcc, exec, s[50:51]
	s_cbranch_vccz .LBB38_359
; %bb.338:
	v_cmp_lt_i16_e32 vcc, 22, v16
	s_mov_b64 s[4:5], -1
	s_cbranch_vccz .LBB38_351
; %bb.339:
	v_cmp_gt_i16_e32 vcc, 24, v16
	s_cbranch_vccnz .LBB38_348
; %bb.340:
	v_cmp_lt_i16_e32 vcc, 24, v16
	s_cbranch_vccz .LBB38_345
; %bb.341:
	s_andn2_b64 vcc, exec, s[24:25]
	v_mov_b32_e32 v2, 0x80
	s_cbranch_vccnz .LBB38_344
; %bb.342:
	s_or_b64 s[4:5], s[0:1], s[26:27]
	s_andn2_b64 vcc, exec, s[4:5]
	v_mov_b32_e32 v2, 0
	s_cbranch_vccnz .LBB38_344
; %bb.343:
	v_mov_b32_e32 v2, s59
	v_cndmask_b32_e64 v2, v12, v2, s[0:1]
	v_or_b32_e32 v2, v2, v10
.LBB38_344:
	s_mov_b64 s[4:5], 0
	global_store_byte v[6:7], v2, off
.LBB38_345:
	s_and_b64 vcc, exec, s[4:5]
	s_cbranch_vccz .LBB38_347
; %bb.346:
	s_and_b64 s[0:1], s[22:23], exec
	s_cselect_b32 s4, s58, s57
	s_and_b64 s[0:1], s[20:21], exec
	s_cselect_b32 s0, s60, s4
	v_or_b32_e32 v2, s0, v10
	global_store_byte v[6:7], v2, off
.LBB38_347:
	s_mov_b64 s[4:5], 0
.LBB38_348:
	s_andn2_b64 vcc, exec, s[4:5]
	s_cbranch_vccnz .LBB38_350
; %bb.349:
	s_and_b64 s[0:1], s[18:19], exec
	s_cselect_b32 s4, s55, s54
	s_and_b64 s[0:1], s[16:17], exec
	s_cselect_b32 s0, s56, s4
	v_or_b32_e32 v2, s0, v10
	global_store_byte v[6:7], v2, off
.LBB38_350:
	s_mov_b64 s[4:5], 0
.LBB38_351:
	s_andn2_b64 vcc, exec, s[4:5]
	s_mov_b64 s[0:1], 0
	s_cbranch_vccnz .LBB38_360
; %bb.352:
	v_cmp_lt_i16_e32 vcc, 14, v16
	s_mov_b64 s[4:5], -1
	s_cbranch_vccz .LBB38_356
; %bb.353:
	v_cmp_eq_u16_e32 vcc, 15, v16
	s_mov_b64 s[48:49], -1
	s_cbranch_vccz .LBB38_355
; %bb.354:
	global_store_short v[6:7], v11, off
	s_mov_b64 s[48:49], 0
.LBB38_355:
	s_mov_b64 s[4:5], 0
.LBB38_356:
	s_and_b64 vcc, exec, s[4:5]
	s_cbranch_vccz .LBB38_360
; %bb.357:
	v_cmp_ne_u16_e32 vcc, 11, v16
	s_andn2_b64 s[4:5], s[48:49], exec
	s_and_b64 s[16:17], vcc, exec
	s_mov_b64 s[0:1], -1
	s_or_b64 s[48:49], s[4:5], s[16:17]
	s_branch .LBB38_360
.LBB38_358:
	s_mov_b64 s[0:1], 0
	s_mov_b64 s[2:3], -1
	s_mov_b64 s[48:49], s[44:45]
	s_branch .LBB38_360
.LBB38_359:
	s_mov_b64 s[0:1], 0
.LBB38_360:
	s_and_b64 s[52:53], s[2:3], exec
	s_and_b64 s[50:51], s[0:1], exec
	s_andn2_b64 s[0:1], s[44:45], exec
	s_and_b64 s[2:3], s[48:49], exec
	s_or_b64 s[48:49], s[0:1], s[2:3]
.LBB38_361:
	s_or_b64 exec, exec, s[46:47]
	s_andn2_b64 s[0:1], s[44:45], exec
	s_and_b64 s[2:3], s[48:49], exec
	s_and_b64 s[52:53], s[52:53], exec
	;; [unrolled: 1-line block ×3, first 2 shown]
	s_or_b64 s[44:45], s[0:1], s[2:3]
.LBB38_362:
	s_or_b64 exec, exec, s[42:43]
	s_andn2_b64 s[0:1], s[38:39], exec
	s_and_b64 s[2:3], s[44:45], exec
	s_and_b64 s[42:43], s[52:53], exec
	;; [unrolled: 1-line block ×3, first 2 shown]
	s_or_b64 s[38:39], s[0:1], s[2:3]
.LBB38_363:
	s_or_b64 exec, exec, s[40:41]
	s_andn2_b64 s[0:1], s[34:35], exec
	s_and_b64 s[2:3], s[38:39], exec
	s_and_b64 s[42:43], s[42:43], exec
	;; [unrolled: 1-line block ×3, first 2 shown]
	s_or_b64 s[34:35], s[0:1], s[2:3]
	s_or_b64 exec, exec, s[36:37]
	s_mov_b64 s[0:1], 0
	s_and_saveexec_b64 s[2:3], s[34:35]
	s_cbranch_execz .LBB38_110
.LBB38_364:
	s_mov_b64 s[0:1], exec
	s_andn2_b64 s[40:41], s[40:41], exec
	s_trap 2
	s_or_b64 exec, exec, s[2:3]
	s_and_saveexec_b64 s[2:3], s[40:41]
	s_xor_b64 s[2:3], exec, s[2:3]
	s_cbranch_execnz .LBB38_111
.LBB38_365:
	s_or_b64 exec, exec, s[2:3]
	s_and_saveexec_b64 s[2:3], s[42:43]
	s_xor_b64 s[2:3], exec, s[2:3]
	s_cbranch_execz .LBB38_403
.LBB38_366:
	v_cmp_gt_i16_e32 vcc, 5, v16
	s_mov_b64 s[4:5], -1
	s_cbranch_vccnz .LBB38_387
; %bb.367:
	v_cmp_gt_i16_e32 vcc, 8, v16
	s_cbranch_vccnz .LBB38_377
; %bb.368:
	v_cmp_gt_i16_e32 vcc, 9, v16
	s_cbranch_vccnz .LBB38_374
; %bb.369:
	v_cmp_lt_i16_e32 vcc, 9, v16
	s_cbranch_vccz .LBB38_371
; %bb.370:
	v_mov_b32_e32 v2, 0
	v_mov_b32_e32 v3, v2
	s_mov_b64 s[4:5], 0
	global_store_dwordx4 v[6:7], v[0:3], off
.LBB38_371:
	s_andn2_b64 vcc, exec, s[4:5]
	s_cbranch_vccnz .LBB38_373
; %bb.372:
	v_mov_b32_e32 v5, 0
	global_store_dwordx2 v[6:7], v[4:5], off
.LBB38_373:
	s_mov_b64 s[4:5], 0
.LBB38_374:
	s_andn2_b64 vcc, exec, s[4:5]
	s_cbranch_vccnz .LBB38_376
; %bb.375:
	global_store_dword v[6:7], v8, off
.LBB38_376:
	s_mov_b64 s[4:5], 0
.LBB38_377:
	s_andn2_b64 vcc, exec, s[4:5]
	s_cbranch_vccnz .LBB38_386
; %bb.378:
	v_cmp_gt_i16_e32 vcc, 6, v16
	s_mov_b64 s[4:5], -1
	s_cbranch_vccnz .LBB38_384
; %bb.379:
	v_cmp_lt_i16_e32 vcc, 6, v16
	s_cbranch_vccz .LBB38_381
; %bb.380:
	s_mov_b64 s[4:5], 0
	global_store_dwordx2 v[6:7], v[0:1], off
.LBB38_381:
	s_andn2_b64 vcc, exec, s[4:5]
	s_cbranch_vccnz .LBB38_383
; %bb.382:
	global_store_dword v[6:7], v4, off
.LBB38_383:
	s_mov_b64 s[4:5], 0
.LBB38_384:
	s_andn2_b64 vcc, exec, s[4:5]
	s_cbranch_vccnz .LBB38_386
; %bb.385:
	global_store_short v[6:7], v8, off
.LBB38_386:
	s_mov_b64 s[4:5], 0
.LBB38_387:
	s_andn2_b64 vcc, exec, s[4:5]
	s_cbranch_vccnz .LBB38_403
; %bb.388:
	v_cmp_gt_i16_e32 vcc, 2, v16
	s_mov_b64 s[4:5], -1
	s_cbranch_vccnz .LBB38_398
; %bb.389:
	v_cmp_gt_i16_e32 vcc, 3, v16
	s_cbranch_vccnz .LBB38_395
; %bb.390:
	v_cmp_lt_i16_e32 vcc, 3, v16
	s_cbranch_vccz .LBB38_392
; %bb.391:
	v_pk_mov_b32 v[0:1], s[14:15], s[14:15] op_sel:[0,1]
	s_mov_b64 s[4:5], 0
	global_store_dwordx2 v[6:7], v[0:1], off
.LBB38_392:
	s_andn2_b64 vcc, exec, s[4:5]
	s_cbranch_vccnz .LBB38_394
; %bb.393:
	v_mov_b32_e32 v0, s14
	global_store_dword v[6:7], v0, off
.LBB38_394:
	s_mov_b64 s[4:5], 0
.LBB38_395:
	s_andn2_b64 vcc, exec, s[4:5]
	s_cbranch_vccnz .LBB38_397
; %bb.396:
	v_mov_b32_e32 v0, s11
	global_store_short v[6:7], v0, off
.LBB38_397:
	s_mov_b64 s[4:5], 0
.LBB38_398:
	s_andn2_b64 vcc, exec, s[4:5]
	s_cbranch_vccnz .LBB38_403
; %bb.399:
	v_cmp_lt_i16_e32 vcc, 0, v16
	s_mov_b64 s[4:5], -1
	s_cbranch_vccz .LBB38_401
; %bb.400:
	v_mov_b32_e32 v0, s11
	s_mov_b64 s[4:5], 0
	global_store_byte v[6:7], v0, off
.LBB38_401:
	s_andn2_b64 vcc, exec, s[4:5]
	s_cbranch_vccnz .LBB38_403
; %bb.402:
	v_mov_b32_e32 v0, s11
	global_store_byte v[6:7], v0, off
.LBB38_403:
	s_or_b64 exec, exec, s[2:3]
	s_and_b64 s[0:1], s[0:1], exec
                                        ; implicit-def: $vgpr15
.LBB38_404:
	s_or_saveexec_b64 s[2:3], s[12:13]
	s_mov_b64 s[12:13], 0
                                        ; implicit-def: $vgpr2
                                        ; implicit-def: $vgpr0_vgpr1
	s_xor_b64 exec, exec, s[2:3]
	s_cbranch_execz .LBB38_412
; %bb.405:
	v_mul_lo_u32 v2, s10, v15
	v_ashrrev_i32_e32 v1, 31, v2
	v_mov_b32_e32 v3, s9
	v_add_co_u32_e32 v0, vcc, s8, v2
	v_addc_co_u32_e32 v1, vcc, v3, v1, vcc
	v_mov_b32_e32 v3, 11
	v_cmp_lt_i16_sdwa s[4:5], s33, v3 src0_sel:BYTE_0 src1_sel:DWORD
	s_and_b64 vcc, exec, s[4:5]
	s_cbranch_vccnz .LBB38_415
; %bb.406:
	v_mov_b32_e32 v3, 25
	v_cmp_gt_i16_sdwa s[4:5], s33, v3 src0_sel:BYTE_0 src1_sel:DWORD
	s_mov_b64 s[14:15], -1
	s_and_b64 vcc, exec, s[4:5]
	s_mov_b64 s[4:5], 0
	s_cbranch_vccz .LBB38_447
; %bb.407:
	v_mov_b32_e32 v3, 28
	v_cmp_gt_i16_sdwa s[4:5], s33, v3 src0_sel:BYTE_0 src1_sel:DWORD
	s_and_b64 vcc, exec, s[4:5]
	s_cbranch_vccz .LBB38_417
; %bb.408:
	v_mov_b32_e32 v3, 43
	v_cmp_gt_i16_sdwa s[4:5], s33, v3 src0_sel:BYTE_0 src1_sel:DWORD
	s_and_b64 vcc, exec, s[4:5]
	;; [unrolled: 5-line block ×3, first 2 shown]
	s_cbranch_vccz .LBB38_419
; %bb.410:
	v_mov_b32_e32 v3, 46
	v_cmp_eq_u16_sdwa s[12:13], s33, v3 src0_sel:BYTE_0 src1_sel:DWORD
	s_mov_b64 s[4:5], -1
	s_mov_b64 s[14:15], 0
	s_and_b64 vcc, exec, s[12:13]
	s_mov_b64 s[12:13], 0
	s_cbranch_vccz .LBB38_420
; %bb.411:
	s_sext_i32_i16 s4, s11
	v_cvt_f32_i32_e32 v3, s4
	s_mov_b64 s[4:5], 0
	s_mov_b64 s[12:13], -1
	v_bfe_u32 v4, v3, 16, 1
	v_add_u32_e32 v3, v3, v4
	v_add_u32_e32 v3, 0x7fff, v3
	v_lshrrev_b32_e32 v3, 16, v3
	global_store_dword v[0:1], v3, off
	s_branch .LBB38_420
.LBB38_412:
	s_or_b64 exec, exec, s[2:3]
	s_and_saveexec_b64 s[2:3], s[0:1]
	s_cbranch_execz .LBB38_841
.LBB38_413:
	; divergent unreachable
	s_or_b64 exec, exec, s[2:3]
	s_and_saveexec_b64 s[0:1], s[6:7]
	s_xor_b64 s[0:1], exec, s[0:1]
	s_cbranch_execnz .LBB38_842
.LBB38_414:
	s_or_b64 exec, exec, s[0:1]
	s_and_saveexec_b64 s[0:1], s[12:13]
	s_cbranch_execnz .LBB38_843
	s_branch .LBB38_880
.LBB38_415:
	s_mov_b64 s[4:5], s[0:1]
	s_cbranch_execnz .LBB38_497
.LBB38_416:
	s_andn2_b64 vcc, exec, s[12:13]
	s_cbranch_vccz .LBB38_535
	s_branch .LBB38_839
.LBB38_417:
	s_mov_b64 s[4:5], 0
	s_and_b64 vcc, exec, s[14:15]
	s_cbranch_vccz .LBB38_446
	s_branch .LBB38_429
.LBB38_418:
	s_mov_b64 s[4:5], 0
	s_and_b64 vcc, exec, s[14:15]
	s_cbranch_vccnz .LBB38_426
	s_branch .LBB38_428
.LBB38_419:
	s_mov_b64 s[4:5], 0
.LBB38_420:
	s_and_b64 vcc, exec, s[14:15]
	s_cbranch_vccz .LBB38_425
; %bb.421:
	v_mov_b32_e32 v3, 44
	v_cmp_eq_u16_sdwa s[14:15], s33, v3 src0_sel:BYTE_0 src1_sel:DWORD
	s_mov_b64 s[4:5], -1
	s_and_b64 vcc, exec, s[14:15]
	s_cbranch_vccz .LBB38_425
; %bb.422:
	s_sext_i32_i16 s4, s11
	v_cvt_f32_i32_e32 v3, s4
	v_mov_b32_e32 v4, 0xff
	v_readfirstlane_b32 s4, v3
	s_bfe_u32 s5, s4, 0x80017
	s_cmpk_eq_i32 s5, 0xff
	s_cbranch_scc1 .LBB38_424
; %bb.423:
	s_bitcmp1_b32 s4, 22
	s_cselect_b64 s[12:13], -1, 0
	s_and_b32 s4, s4, 0x3fffff
	s_or_b32 s4, s5, s4
	s_cmp_lg_u32 s4, 0
	s_cselect_b64 s[4:5], -1, 0
	s_and_b64 s[4:5], s[12:13], s[4:5]
	v_lshrrev_b32_e32 v3, 23, v3
	v_cndmask_b32_e64 v4, 0, 1, s[4:5]
	v_add_u32_e32 v4, v3, v4
.LBB38_424:
	s_mov_b64 s[4:5], 0
	s_mov_b64 s[12:13], -1
	global_store_byte v[0:1], v4, off
.LBB38_425:
	s_branch .LBB38_428
.LBB38_426:
	v_mov_b32_e32 v3, 29
	v_cmp_eq_u16_sdwa s[14:15], s33, v3 src0_sel:BYTE_0 src1_sel:DWORD
	s_mov_b64 s[4:5], -1
	s_and_b64 vcc, exec, s[14:15]
	s_cbranch_vccz .LBB38_428
; %bb.427:
	s_sext_i32_i16 s4, s11
	s_ashr_i32 s5, s4, 31
	v_mov_b32_e32 v4, s4
	v_mov_b32_e32 v5, s5
	global_store_dwordx2 v[0:1], v[4:5], off
	s_mov_b64 s[4:5], 0
	s_mov_b64 s[12:13], -1
.LBB38_428:
	s_branch .LBB38_446
.LBB38_429:
	v_mov_b32_e32 v3, 27
	v_cmp_lt_i16_sdwa s[14:15], s33, v3 src0_sel:BYTE_0 src1_sel:DWORD
	s_mov_b64 s[12:13], -1
	s_and_b64 vcc, exec, s[14:15]
	s_cbranch_vccnz .LBB38_435
; %bb.430:
	v_cmp_gt_i16_sdwa s[14:15], s33, v3 src0_sel:BYTE_0 src1_sel:DWORD
	s_and_b64 vcc, exec, s[14:15]
	s_cbranch_vccz .LBB38_432
; %bb.431:
	s_sext_i32_i16 s12, s11
	v_mov_b32_e32 v3, s12
	s_mov_b64 s[12:13], 0
	global_store_dword v[0:1], v3, off
.LBB38_432:
	s_andn2_b64 vcc, exec, s[12:13]
	s_cbranch_vccnz .LBB38_434
; %bb.433:
	v_mov_b32_e32 v3, s11
	global_store_short v[0:1], v3, off
.LBB38_434:
	s_mov_b64 s[12:13], 0
.LBB38_435:
	s_andn2_b64 vcc, exec, s[12:13]
	s_cbranch_vccnz .LBB38_445
; %bb.436:
	s_sext_i32_i16 s12, s11
	v_cvt_f32_i32_e32 v3, s12
	v_mov_b32_e32 v4, 0x80
	v_readfirstlane_b32 s16, v3
	s_and_b32 s12, s16, 0x7fffffff
	s_cmp_gt_u32 s12, 0x437fffff
	s_cbranch_scc1 .LBB38_444
; %bb.437:
	s_cmp_gt_u32 s12, 0x3bffffff
	s_cbranch_scc0 .LBB38_439
; %bb.438:
	s_bfe_u32 s12, s16, 0x10014
	s_add_i32 s12, s16, s12
	s_add_i32 s12, s12, 0x487ffff
	s_lshr_b32 s17, s12, 20
	s_mov_b64 s[14:15], 0
	s_mov_b64 s[12:13], -1
	s_branch .LBB38_440
.LBB38_439:
	s_mov_b64 s[14:15], -1
	s_mov_b64 s[12:13], 0
                                        ; implicit-def: $sgpr17
.LBB38_440:
	s_andn2_b64 vcc, exec, s[14:15]
	v_mov_b32_e32 v3, s17
                                        ; implicit-def: $sgpr14
	s_cbranch_vccnz .LBB38_442
; %bb.441:
	v_mov_b32_e32 v3, 0x46000000
	v_add_f32_e64 v3, |s16|, v3
	v_and_b32_e32 v3, 0xff, v3
	s_mov_b32 s14, 0
	v_cmp_ne_u32_e64 s[12:13], 0, v3
.LBB38_442:
	s_andn2_b64 vcc, exec, s[12:13]
	v_mov_b32_e32 v4, s14
	s_cbranch_vccnz .LBB38_444
; %bb.443:
	s_lshr_b32 s12, s16, 24
	s_and_b32 s12, s12, 0x80
	v_or_b32_e32 v4, s12, v3
.LBB38_444:
	global_store_byte v[0:1], v4, off
.LBB38_445:
	s_mov_b64 s[12:13], -1
.LBB38_446:
	s_mov_b64 s[14:15], 0
.LBB38_447:
	s_and_b64 vcc, exec, s[14:15]
	s_cbranch_vccz .LBB38_493
; %bb.448:
	v_mov_b32_e32 v3, 22
	v_cmp_gt_i16_sdwa s[14:15], s33, v3 src0_sel:BYTE_0 src1_sel:DWORD
	s_mov_b64 s[6:7], -1
	s_and_b64 vcc, exec, s[14:15]
	s_cbranch_vccz .LBB38_486
; %bb.449:
	v_mov_b32_e32 v3, 24
	v_cmp_lt_i16_sdwa s[12:13], s33, v3 src0_sel:BYTE_0 src1_sel:DWORD
	s_and_b64 vcc, exec, s[12:13]
	s_cbranch_vccnz .LBB38_473
; %bb.450:
	v_cmp_gt_i16_sdwa s[12:13], s33, v3 src0_sel:BYTE_0 src1_sel:DWORD
	s_and_b64 vcc, exec, s[12:13]
	s_cbranch_vccz .LBB38_460
; %bb.451:
	s_sext_i32_i16 s6, s11
	v_cvt_f32_i32_e32 v3, s6
	v_mov_b32_e32 v4, 0x80
	v_readfirstlane_b32 s14, v3
	s_and_b32 s6, s14, 0x7fffffff
	s_cmp_gt_u32 s6, 0x477fffff
	s_cbranch_scc1 .LBB38_459
; %bb.452:
	s_cmp_gt_u32 s6, 0x37ffffff
	s_cbranch_scc0 .LBB38_454
; %bb.453:
	s_bfe_u32 s6, s14, 0x10015
	s_add_i32 s6, s14, s6
	s_add_i32 s6, s6, 0x88fffff
	s_lshr_b32 s15, s6, 21
	s_mov_b64 s[12:13], 0
	s_mov_b64 s[6:7], -1
	s_branch .LBB38_455
.LBB38_454:
	s_mov_b64 s[12:13], -1
	s_mov_b64 s[6:7], 0
                                        ; implicit-def: $sgpr15
.LBB38_455:
	s_andn2_b64 vcc, exec, s[12:13]
	v_mov_b32_e32 v3, s15
                                        ; implicit-def: $sgpr12
	s_cbranch_vccnz .LBB38_457
; %bb.456:
	v_mov_b32_e32 v3, 0x42800000
	v_add_f32_e64 v3, |s14|, v3
	v_and_b32_e32 v3, 0xff, v3
	s_mov_b32 s12, 0
	v_cmp_ne_u32_e64 s[6:7], 0, v3
.LBB38_457:
	s_andn2_b64 vcc, exec, s[6:7]
	v_mov_b32_e32 v4, s12
	s_cbranch_vccnz .LBB38_459
; %bb.458:
	s_lshr_b32 s6, s14, 24
	s_and_b32 s6, s6, 0x80
	v_or_b32_e32 v4, s6, v3
.LBB38_459:
	s_mov_b64 s[6:7], 0
	global_store_byte v[0:1], v4, off
.LBB38_460:
	s_and_b64 vcc, exec, s[6:7]
	s_cbranch_vccz .LBB38_472
; %bb.461:
	s_sext_i32_i16 s6, s11
	v_cvt_f32_i32_e32 v3, s6
	v_readfirstlane_b32 s12, v3
	s_and_b32 s13, s12, 0x7fffffff
	s_cmp_lt_u32 s13, 0x43f00000
	s_cbranch_scc0 .LBB38_464
; %bb.462:
	s_cmp_gt_u32 s13, 0x3c7fffff
	s_cbranch_scc0 .LBB38_465
; %bb.463:
	s_bfe_u32 s6, s12, 0x10014
	s_add_i32 s6, s12, s6
	s_add_i32 s6, s6, 0x407ffff
	s_lshr_b32 s7, s6, 20
	s_and_b32 s6, s6, 0xff00000
	s_cmp_lg_u32 s6, 0x7f00000
	s_cselect_b32 s14, s7, 0x7e
	s_mov_b64 s[6:7], 0
	s_branch .LBB38_466
.LBB38_464:
	s_mov_b64 s[6:7], -1
                                        ; implicit-def: $vgpr4
	s_branch .LBB38_469
.LBB38_465:
	s_mov_b64 s[6:7], -1
                                        ; implicit-def: $sgpr14
.LBB38_466:
	s_andn2_b64 vcc, exec, s[6:7]
	v_mov_b32_e32 v4, s14
	s_cbranch_vccnz .LBB38_468
; %bb.467:
	s_mov_b32 s6, 0x46800000
	v_add_f32_e64 v4, |v3|, s6
.LBB38_468:
	s_mov_b64 s[6:7], 0
.LBB38_469:
	s_andn2_b64 vcc, exec, s[6:7]
	s_cbranch_vccnz .LBB38_471
; %bb.470:
	s_cmp_gt_u32 s13, 0x7f800000
	s_movk_i32 s6, 0x7f
	s_cselect_b32 s6, s6, 0x7e
	v_mov_b32_e32 v4, s6
.LBB38_471:
	s_lshr_b32 s6, s12, 24
	s_and_b32 s6, s6, 0x80
	v_or_b32_e32 v3, s6, v4
	global_store_byte v[0:1], v3, off
.LBB38_472:
	s_mov_b64 s[6:7], 0
.LBB38_473:
	s_andn2_b64 vcc, exec, s[6:7]
	s_cbranch_vccnz .LBB38_485
; %bb.474:
	s_sext_i32_i16 s6, s11
	v_cvt_f32_i32_e32 v3, s6
	v_readfirstlane_b32 s12, v3
	s_and_b32 s13, s12, 0x7fffffff
	s_cmp_lt_u32 s13, 0x47800000
	s_cbranch_scc0 .LBB38_477
; %bb.475:
	s_cmp_gt_u32 s13, 0x387fffff
	s_cbranch_scc0 .LBB38_478
; %bb.476:
	s_bfe_u32 s6, s12, 0x10015
	s_add_i32 s6, s12, s6
	s_add_i32 s6, s6, 0x80fffff
	s_lshr_b32 s14, s6, 21
	s_mov_b64 s[6:7], 0
	s_branch .LBB38_479
.LBB38_477:
	s_mov_b64 s[6:7], -1
                                        ; implicit-def: $vgpr4
	s_branch .LBB38_482
.LBB38_478:
	s_mov_b64 s[6:7], -1
                                        ; implicit-def: $sgpr14
.LBB38_479:
	s_andn2_b64 vcc, exec, s[6:7]
	v_mov_b32_e32 v4, s14
	s_cbranch_vccnz .LBB38_481
; %bb.480:
	s_mov_b32 s6, 0x43000000
	v_add_f32_e64 v4, |v3|, s6
.LBB38_481:
	s_mov_b64 s[6:7], 0
.LBB38_482:
	s_andn2_b64 vcc, exec, s[6:7]
	s_cbranch_vccnz .LBB38_484
; %bb.483:
	s_cmp_gt_u32 s13, 0x7f800000
	s_movk_i32 s6, 0x7f
	s_cselect_b32 s6, s6, 0x7c
	v_mov_b32_e32 v4, s6
.LBB38_484:
	s_lshr_b32 s6, s12, 24
	s_and_b32 s6, s6, 0x80
	v_or_b32_e32 v3, s6, v4
	global_store_byte v[0:1], v3, off
.LBB38_485:
	s_mov_b64 s[6:7], 0
	s_mov_b64 s[12:13], -1
.LBB38_486:
	s_andn2_b64 vcc, exec, s[6:7]
	s_mov_b64 s[6:7], 0
	s_cbranch_vccnz .LBB38_493
; %bb.487:
	v_mov_b32_e32 v3, 14
	v_cmp_gt_i16_sdwa s[6:7], s33, v3 src0_sel:BYTE_0 src1_sel:DWORD
	s_mov_b64 s[14:15], -1
	s_and_b64 vcc, exec, s[6:7]
	s_cbranch_vccz .LBB38_491
; %bb.488:
	v_mov_b32_e32 v3, 15
	v_cmp_eq_u16_sdwa s[6:7], s33, v3 src0_sel:BYTE_0 src1_sel:DWORD
	s_mov_b64 s[4:5], -1
	s_and_b64 vcc, exec, s[6:7]
	s_cbranch_vccz .LBB38_490
; %bb.489:
	s_sext_i32_i16 s4, s11
	v_cvt_f32_i32_e32 v3, s4
	s_mov_b64 s[4:5], 0
	s_mov_b64 s[12:13], -1
	v_bfe_u32 v4, v3, 16, 1
	v_add_u32_e32 v3, v3, v4
	v_add_u32_e32 v3, 0x7fff, v3
	global_store_short_d16_hi v[0:1], v3, off
.LBB38_490:
	s_mov_b64 s[14:15], 0
.LBB38_491:
	s_mov_b64 s[6:7], 0
	s_and_b64 vcc, exec, s[14:15]
	s_cbranch_vccz .LBB38_493
; %bb.492:
	v_mov_b32_e32 v3, 11
	v_cmp_ne_u16_sdwa s[4:5], s33, v3 src0_sel:BYTE_0 src1_sel:DWORD
	s_mov_b64 s[6:7], -1
.LBB38_493:
	s_and_b64 vcc, exec, s[4:5]
	s_mov_b64 s[4:5], s[0:1]
	s_cbranch_vccnz .LBB38_546
; %bb.494:
	s_andn2_b64 vcc, exec, s[6:7]
	s_cbranch_vccnz .LBB38_496
.LBB38_495:
	v_cmp_ne_u16_e64 s[6:7], s11, 0
	v_cndmask_b32_e64 v3, 0, 1, s[6:7]
	s_mov_b64 s[12:13], -1
	global_store_byte v[0:1], v3, off
.LBB38_496:
	s_branch .LBB38_416
.LBB38_497:
	v_mov_b32_e32 v3, 5
	v_cmp_lt_i16_sdwa s[12:13], s33, v3 src0_sel:BYTE_0 src1_sel:DWORD
	s_mov_b64 s[6:7], -1
	s_and_b64 vcc, exec, s[12:13]
	s_cbranch_vccnz .LBB38_518
; %bb.498:
	v_mov_b32_e32 v3, 8
	v_cmp_lt_i16_sdwa s[12:13], s33, v3 src0_sel:BYTE_0 src1_sel:DWORD
	s_and_b64 vcc, exec, s[12:13]
	s_cbranch_vccnz .LBB38_508
; %bb.499:
	v_mov_b32_e32 v3, 9
	v_cmp_lt_i16_sdwa s[12:13], s33, v3 src0_sel:BYTE_0 src1_sel:DWORD
	s_and_b64 vcc, exec, s[12:13]
	s_cbranch_vccnz .LBB38_505
; %bb.500:
	v_cmp_gt_i16_sdwa s[12:13], s33, v3 src0_sel:BYTE_0 src1_sel:DWORD
	s_and_b64 vcc, exec, s[12:13]
	s_cbranch_vccz .LBB38_502
; %bb.501:
	s_sext_i32_i16 s6, s11
	v_mov_b32_e32 v6, 0
	v_cvt_f64_i32_e32 v[4:5], s6
	v_mov_b32_e32 v7, v6
	global_store_dwordx4 v[0:1], v[4:7], off
	s_mov_b64 s[6:7], 0
.LBB38_502:
	s_andn2_b64 vcc, exec, s[6:7]
	s_cbranch_vccnz .LBB38_504
; %bb.503:
	s_sext_i32_i16 s6, s11
	v_cvt_f32_i32_e32 v4, s6
	v_mov_b32_e32 v5, 0
	global_store_dwordx2 v[0:1], v[4:5], off
.LBB38_504:
	s_mov_b64 s[6:7], 0
.LBB38_505:
	s_andn2_b64 vcc, exec, s[6:7]
	s_cbranch_vccnz .LBB38_507
; %bb.506:
	v_cvt_f16_i16_e32 v3, s11
	global_store_dword v[0:1], v3, off
.LBB38_507:
	s_mov_b64 s[6:7], 0
.LBB38_508:
	s_andn2_b64 vcc, exec, s[6:7]
	s_cbranch_vccnz .LBB38_517
; %bb.509:
	v_mov_b32_e32 v3, 6
	v_cmp_lt_i16_sdwa s[12:13], s33, v3 src0_sel:BYTE_0 src1_sel:DWORD
	s_mov_b64 s[6:7], -1
	s_and_b64 vcc, exec, s[12:13]
	s_cbranch_vccnz .LBB38_515
; %bb.510:
	v_cmp_gt_i16_sdwa s[12:13], s33, v3 src0_sel:BYTE_0 src1_sel:DWORD
	s_and_b64 vcc, exec, s[12:13]
	s_cbranch_vccz .LBB38_512
; %bb.511:
	s_sext_i32_i16 s6, s11
	v_cvt_f64_i32_e32 v[4:5], s6
	global_store_dwordx2 v[0:1], v[4:5], off
	s_mov_b64 s[6:7], 0
.LBB38_512:
	s_andn2_b64 vcc, exec, s[6:7]
	s_cbranch_vccnz .LBB38_514
; %bb.513:
	s_sext_i32_i16 s6, s11
	v_cvt_f32_i32_e32 v3, s6
	global_store_dword v[0:1], v3, off
.LBB38_514:
	s_mov_b64 s[6:7], 0
.LBB38_515:
	s_andn2_b64 vcc, exec, s[6:7]
	s_cbranch_vccnz .LBB38_517
; %bb.516:
	v_cvt_f16_i16_e32 v3, s11
	global_store_short v[0:1], v3, off
.LBB38_517:
	s_mov_b64 s[6:7], 0
.LBB38_518:
	s_andn2_b64 vcc, exec, s[6:7]
	s_cbranch_vccnz .LBB38_534
; %bb.519:
	v_mov_b32_e32 v3, 2
	v_cmp_lt_i16_sdwa s[12:13], s33, v3 src0_sel:BYTE_0 src1_sel:DWORD
	s_mov_b64 s[6:7], -1
	s_and_b64 vcc, exec, s[12:13]
	s_cbranch_vccnz .LBB38_529
; %bb.520:
	v_mov_b32_e32 v3, 3
	v_cmp_lt_i16_sdwa s[12:13], s33, v3 src0_sel:BYTE_0 src1_sel:DWORD
	s_and_b64 vcc, exec, s[12:13]
	s_cbranch_vccnz .LBB38_526
; %bb.521:
	v_cmp_gt_i16_sdwa s[12:13], s33, v3 src0_sel:BYTE_0 src1_sel:DWORD
	s_and_b64 vcc, exec, s[12:13]
	s_cbranch_vccz .LBB38_523
; %bb.522:
	s_sext_i32_i16 s6, s11
	s_ashr_i32 s7, s6, 31
	v_mov_b32_e32 v4, s6
	v_mov_b32_e32 v5, s7
	global_store_dwordx2 v[0:1], v[4:5], off
	s_mov_b64 s[6:7], 0
.LBB38_523:
	s_andn2_b64 vcc, exec, s[6:7]
	s_cbranch_vccnz .LBB38_525
; %bb.524:
	s_sext_i32_i16 s6, s11
	v_mov_b32_e32 v3, s6
	global_store_dword v[0:1], v3, off
.LBB38_525:
	s_mov_b64 s[6:7], 0
.LBB38_526:
	s_andn2_b64 vcc, exec, s[6:7]
	s_cbranch_vccnz .LBB38_528
; %bb.527:
	v_mov_b32_e32 v3, s11
	global_store_short v[0:1], v3, off
.LBB38_528:
	s_mov_b64 s[6:7], 0
.LBB38_529:
	s_andn2_b64 vcc, exec, s[6:7]
	s_cbranch_vccnz .LBB38_534
; %bb.530:
	v_mov_b32_e32 v3, 0
	v_cmp_gt_i16_sdwa s[12:13], s33, v3 src0_sel:BYTE_0 src1_sel:DWORD
	s_mov_b64 s[6:7], -1
	s_and_b64 vcc, exec, s[12:13]
	s_cbranch_vccz .LBB38_532
; %bb.531:
	v_mov_b32_e32 v3, s11
	global_store_byte v[0:1], v3, off
	s_mov_b64 s[6:7], 0
.LBB38_532:
	s_andn2_b64 vcc, exec, s[6:7]
	s_cbranch_vccnz .LBB38_534
; %bb.533:
	v_mov_b32_e32 v3, s11
	global_store_byte v[0:1], v3, off
.LBB38_534:
.LBB38_535:
	s_lshl_b32 s10, s10, 7
	v_add_u32_e32 v2, s10, v2
	v_ashrrev_i32_e32 v1, 31, v2
	v_mov_b32_e32 v3, s9
	v_add_co_u32_e32 v0, vcc, s8, v2
	v_addc_co_u32_e32 v1, vcc, v3, v1, vcc
	v_mov_b32_e32 v3, 11
	v_cmp_lt_i16_sdwa s[6:7], s33, v3 src0_sel:BYTE_0 src1_sel:DWORD
	s_and_b64 vcc, exec, s[6:7]
	s_cbranch_vccnz .LBB38_542
; %bb.536:
	v_mov_b32_e32 v3, 25
	v_cmp_gt_i16_sdwa s[6:7], s33, v3 src0_sel:BYTE_0 src1_sel:DWORD
	s_mov_b64 s[16:17], -1
	s_mov_b64 s[12:13], 0
	s_and_b64 vcc, exec, s[6:7]
	s_mov_b64 s[14:15], 0
	s_mov_b64 s[6:7], 0
	s_cbranch_vccz .LBB38_577
; %bb.537:
	v_mov_b32_e32 v3, 28
	v_cmp_gt_i16_sdwa s[6:7], s33, v3 src0_sel:BYTE_0 src1_sel:DWORD
	s_and_b64 vcc, exec, s[6:7]
	s_cbranch_vccz .LBB38_544
; %bb.538:
	v_mov_b32_e32 v3, 43
	v_cmp_gt_i16_sdwa s[6:7], s33, v3 src0_sel:BYTE_0 src1_sel:DWORD
	s_and_b64 vcc, exec, s[6:7]
	;; [unrolled: 5-line block ×3, first 2 shown]
	s_cbranch_vccz .LBB38_547
; %bb.540:
	v_mov_b32_e32 v3, 46
	v_cmp_eq_u16_sdwa s[14:15], s33, v3 src0_sel:BYTE_0 src1_sel:DWORD
	s_mov_b64 s[6:7], -1
	s_mov_b64 s[16:17], 0
	s_and_b64 vcc, exec, s[14:15]
	s_mov_b64 s[14:15], 0
	s_cbranch_vccz .LBB38_548
; %bb.541:
	s_sext_i32_i16 s6, s11
	v_cvt_f32_i32_e32 v3, s6
	s_mov_b64 s[6:7], 0
	s_mov_b64 s[14:15], -1
	v_bfe_u32 v4, v3, 16, 1
	v_add_u32_e32 v3, v3, v4
	v_add_u32_e32 v3, 0x7fff, v3
	v_lshrrev_b32_e32 v3, 16, v3
	global_store_dword v[0:1], v3, off
	s_branch .LBB38_548
.LBB38_542:
	s_mov_b64 s[14:15], 0
	s_cbranch_execnz .LBB38_627
.LBB38_543:
	s_andn2_b64 vcc, exec, s[14:15]
	s_cbranch_vccz .LBB38_665
	s_branch .LBB38_839
.LBB38_544:
	s_mov_b64 s[6:7], 0
	s_branch .LBB38_558
.LBB38_545:
	s_mov_b64 s[6:7], 0
	s_branch .LBB38_554
.LBB38_546:
	s_or_b64 s[4:5], s[0:1], exec
	s_trap 2
	s_cbranch_execz .LBB38_495
	s_branch .LBB38_496
.LBB38_547:
	s_mov_b64 s[6:7], 0
.LBB38_548:
	s_and_b64 vcc, exec, s[16:17]
	s_cbranch_vccz .LBB38_553
; %bb.549:
	v_mov_b32_e32 v3, 44
	v_cmp_eq_u16_sdwa s[16:17], s33, v3 src0_sel:BYTE_0 src1_sel:DWORD
	s_mov_b64 s[6:7], -1
	s_and_b64 vcc, exec, s[16:17]
	s_cbranch_vccz .LBB38_553
; %bb.550:
	s_sext_i32_i16 s6, s11
	v_cvt_f32_i32_e32 v3, s6
	v_mov_b32_e32 v4, 0xff
	v_readfirstlane_b32 s6, v3
	s_bfe_u32 s7, s6, 0x80017
	s_cmpk_eq_i32 s7, 0xff
	s_cbranch_scc1 .LBB38_552
; %bb.551:
	s_bitcmp1_b32 s6, 22
	s_cselect_b64 s[14:15], -1, 0
	s_and_b32 s6, s6, 0x3fffff
	s_or_b32 s6, s7, s6
	s_cmp_lg_u32 s6, 0
	s_cselect_b64 s[6:7], -1, 0
	s_and_b64 s[6:7], s[14:15], s[6:7]
	v_lshrrev_b32_e32 v3, 23, v3
	v_cndmask_b32_e64 v4, 0, 1, s[6:7]
	v_add_u32_e32 v4, v3, v4
.LBB38_552:
	s_mov_b64 s[6:7], 0
	s_mov_b64 s[14:15], -1
	global_store_byte v[0:1], v4, off
.LBB38_553:
	s_mov_b64 s[16:17], 0
.LBB38_554:
	s_and_b64 vcc, exec, s[16:17]
	s_cbranch_vccz .LBB38_557
; %bb.555:
	v_mov_b32_e32 v3, 29
	v_cmp_eq_u16_sdwa s[16:17], s33, v3 src0_sel:BYTE_0 src1_sel:DWORD
	s_mov_b64 s[6:7], -1
	s_and_b64 vcc, exec, s[16:17]
	s_cbranch_vccz .LBB38_557
; %bb.556:
	s_sext_i32_i16 s6, s11
	s_ashr_i32 s7, s6, 31
	v_mov_b32_e32 v4, s6
	v_mov_b32_e32 v5, s7
	global_store_dwordx2 v[0:1], v[4:5], off
	s_mov_b64 s[6:7], 0
	s_mov_b64 s[14:15], -1
.LBB38_557:
	s_mov_b64 s[16:17], 0
.LBB38_558:
	s_and_b64 vcc, exec, s[16:17]
	s_cbranch_vccz .LBB38_576
; %bb.559:
	v_mov_b32_e32 v3, 27
	v_cmp_lt_i16_sdwa s[16:17], s33, v3 src0_sel:BYTE_0 src1_sel:DWORD
	s_mov_b64 s[14:15], -1
	s_and_b64 vcc, exec, s[16:17]
	s_cbranch_vccnz .LBB38_565
; %bb.560:
	v_cmp_gt_i16_sdwa s[16:17], s33, v3 src0_sel:BYTE_0 src1_sel:DWORD
	s_and_b64 vcc, exec, s[16:17]
	s_cbranch_vccz .LBB38_562
; %bb.561:
	s_sext_i32_i16 s14, s11
	v_mov_b32_e32 v3, s14
	s_mov_b64 s[14:15], 0
	global_store_dword v[0:1], v3, off
.LBB38_562:
	s_andn2_b64 vcc, exec, s[14:15]
	s_cbranch_vccnz .LBB38_564
; %bb.563:
	v_mov_b32_e32 v3, s11
	global_store_short v[0:1], v3, off
.LBB38_564:
	s_mov_b64 s[14:15], 0
.LBB38_565:
	s_andn2_b64 vcc, exec, s[14:15]
	s_cbranch_vccnz .LBB38_575
; %bb.566:
	s_sext_i32_i16 s14, s11
	v_cvt_f32_i32_e32 v3, s14
	v_mov_b32_e32 v4, 0x80
	v_readfirstlane_b32 s18, v3
	s_and_b32 s14, s18, 0x7fffffff
	s_cmp_gt_u32 s14, 0x437fffff
	s_cbranch_scc1 .LBB38_574
; %bb.567:
	s_cmp_gt_u32 s14, 0x3bffffff
	s_cbranch_scc0 .LBB38_569
; %bb.568:
	s_bfe_u32 s14, s18, 0x10014
	s_add_i32 s14, s18, s14
	s_add_i32 s14, s14, 0x487ffff
	s_lshr_b32 s19, s14, 20
	s_mov_b64 s[16:17], 0
	s_mov_b64 s[14:15], -1
	s_branch .LBB38_570
.LBB38_569:
	s_mov_b64 s[16:17], -1
	s_mov_b64 s[14:15], 0
                                        ; implicit-def: $sgpr19
.LBB38_570:
	s_andn2_b64 vcc, exec, s[16:17]
	v_mov_b32_e32 v3, s19
                                        ; implicit-def: $sgpr16
	s_cbranch_vccnz .LBB38_572
; %bb.571:
	v_mov_b32_e32 v3, 0x46000000
	v_add_f32_e64 v3, |s18|, v3
	v_and_b32_e32 v3, 0xff, v3
	s_mov_b32 s16, 0
	v_cmp_ne_u32_e64 s[14:15], 0, v3
.LBB38_572:
	s_andn2_b64 vcc, exec, s[14:15]
	v_mov_b32_e32 v4, s16
	s_cbranch_vccnz .LBB38_574
; %bb.573:
	s_lshr_b32 s14, s18, 24
	s_and_b32 s14, s14, 0x80
	v_or_b32_e32 v4, s14, v3
.LBB38_574:
	global_store_byte v[0:1], v4, off
.LBB38_575:
	s_mov_b64 s[14:15], -1
.LBB38_576:
	s_mov_b64 s[16:17], 0
.LBB38_577:
	s_and_b64 vcc, exec, s[16:17]
	s_cbranch_vccz .LBB38_623
; %bb.578:
	v_mov_b32_e32 v3, 22
	v_cmp_gt_i16_sdwa s[16:17], s33, v3 src0_sel:BYTE_0 src1_sel:DWORD
	s_mov_b64 s[12:13], -1
	s_and_b64 vcc, exec, s[16:17]
	s_cbranch_vccz .LBB38_616
; %bb.579:
	v_mov_b32_e32 v3, 24
	v_cmp_lt_i16_sdwa s[14:15], s33, v3 src0_sel:BYTE_0 src1_sel:DWORD
	s_and_b64 vcc, exec, s[14:15]
	s_cbranch_vccnz .LBB38_603
; %bb.580:
	v_cmp_gt_i16_sdwa s[14:15], s33, v3 src0_sel:BYTE_0 src1_sel:DWORD
	s_and_b64 vcc, exec, s[14:15]
	s_cbranch_vccz .LBB38_590
; %bb.581:
	s_sext_i32_i16 s12, s11
	v_cvt_f32_i32_e32 v3, s12
	v_mov_b32_e32 v4, 0x80
	v_readfirstlane_b32 s16, v3
	s_and_b32 s12, s16, 0x7fffffff
	s_cmp_gt_u32 s12, 0x477fffff
	s_cbranch_scc1 .LBB38_589
; %bb.582:
	s_cmp_gt_u32 s12, 0x37ffffff
	s_cbranch_scc0 .LBB38_584
; %bb.583:
	s_bfe_u32 s12, s16, 0x10015
	s_add_i32 s12, s16, s12
	s_add_i32 s12, s12, 0x88fffff
	s_lshr_b32 s17, s12, 21
	s_mov_b64 s[14:15], 0
	s_mov_b64 s[12:13], -1
	s_branch .LBB38_585
.LBB38_584:
	s_mov_b64 s[14:15], -1
	s_mov_b64 s[12:13], 0
                                        ; implicit-def: $sgpr17
.LBB38_585:
	s_andn2_b64 vcc, exec, s[14:15]
	v_mov_b32_e32 v3, s17
                                        ; implicit-def: $sgpr14
	s_cbranch_vccnz .LBB38_587
; %bb.586:
	v_mov_b32_e32 v3, 0x42800000
	v_add_f32_e64 v3, |s16|, v3
	v_and_b32_e32 v3, 0xff, v3
	s_mov_b32 s14, 0
	v_cmp_ne_u32_e64 s[12:13], 0, v3
.LBB38_587:
	s_andn2_b64 vcc, exec, s[12:13]
	v_mov_b32_e32 v4, s14
	s_cbranch_vccnz .LBB38_589
; %bb.588:
	s_lshr_b32 s12, s16, 24
	s_and_b32 s12, s12, 0x80
	v_or_b32_e32 v4, s12, v3
.LBB38_589:
	s_mov_b64 s[12:13], 0
	global_store_byte v[0:1], v4, off
.LBB38_590:
	s_and_b64 vcc, exec, s[12:13]
	s_cbranch_vccz .LBB38_602
; %bb.591:
	s_sext_i32_i16 s12, s11
	v_cvt_f32_i32_e32 v3, s12
	v_readfirstlane_b32 s14, v3
	s_and_b32 s15, s14, 0x7fffffff
	s_cmp_lt_u32 s15, 0x43f00000
	s_cbranch_scc0 .LBB38_594
; %bb.592:
	s_cmp_gt_u32 s15, 0x3c7fffff
	s_cbranch_scc0 .LBB38_595
; %bb.593:
	s_bfe_u32 s12, s14, 0x10014
	s_add_i32 s12, s14, s12
	s_add_i32 s12, s12, 0x407ffff
	s_lshr_b32 s13, s12, 20
	s_and_b32 s12, s12, 0xff00000
	s_cmp_lg_u32 s12, 0x7f00000
	s_cselect_b32 s16, s13, 0x7e
	s_mov_b64 s[12:13], 0
	s_branch .LBB38_596
.LBB38_594:
	s_mov_b64 s[12:13], -1
                                        ; implicit-def: $vgpr4
	s_branch .LBB38_599
.LBB38_595:
	s_mov_b64 s[12:13], -1
                                        ; implicit-def: $sgpr16
.LBB38_596:
	s_andn2_b64 vcc, exec, s[12:13]
	v_mov_b32_e32 v4, s16
	s_cbranch_vccnz .LBB38_598
; %bb.597:
	s_mov_b32 s12, 0x46800000
	v_add_f32_e64 v4, |v3|, s12
.LBB38_598:
	s_mov_b64 s[12:13], 0
.LBB38_599:
	s_andn2_b64 vcc, exec, s[12:13]
	s_cbranch_vccnz .LBB38_601
; %bb.600:
	s_cmp_gt_u32 s15, 0x7f800000
	s_movk_i32 s12, 0x7f
	s_cselect_b32 s12, s12, 0x7e
	v_mov_b32_e32 v4, s12
.LBB38_601:
	s_lshr_b32 s12, s14, 24
	s_and_b32 s12, s12, 0x80
	v_or_b32_e32 v3, s12, v4
	global_store_byte v[0:1], v3, off
.LBB38_602:
	s_mov_b64 s[12:13], 0
.LBB38_603:
	s_andn2_b64 vcc, exec, s[12:13]
	s_cbranch_vccnz .LBB38_615
; %bb.604:
	s_sext_i32_i16 s12, s11
	v_cvt_f32_i32_e32 v3, s12
	v_readfirstlane_b32 s14, v3
	s_and_b32 s15, s14, 0x7fffffff
	s_cmp_lt_u32 s15, 0x47800000
	s_cbranch_scc0 .LBB38_607
; %bb.605:
	s_cmp_gt_u32 s15, 0x387fffff
	s_cbranch_scc0 .LBB38_608
; %bb.606:
	s_bfe_u32 s12, s14, 0x10015
	s_add_i32 s12, s14, s12
	s_add_i32 s12, s12, 0x80fffff
	s_lshr_b32 s16, s12, 21
	s_mov_b64 s[12:13], 0
	s_branch .LBB38_609
.LBB38_607:
	s_mov_b64 s[12:13], -1
                                        ; implicit-def: $vgpr4
	s_branch .LBB38_612
.LBB38_608:
	s_mov_b64 s[12:13], -1
                                        ; implicit-def: $sgpr16
.LBB38_609:
	s_andn2_b64 vcc, exec, s[12:13]
	v_mov_b32_e32 v4, s16
	s_cbranch_vccnz .LBB38_611
; %bb.610:
	s_mov_b32 s12, 0x43000000
	v_add_f32_e64 v4, |v3|, s12
.LBB38_611:
	s_mov_b64 s[12:13], 0
.LBB38_612:
	s_andn2_b64 vcc, exec, s[12:13]
	s_cbranch_vccnz .LBB38_614
; %bb.613:
	s_cmp_gt_u32 s15, 0x7f800000
	s_movk_i32 s12, 0x7f
	s_cselect_b32 s12, s12, 0x7c
	v_mov_b32_e32 v4, s12
.LBB38_614:
	s_lshr_b32 s12, s14, 24
	s_and_b32 s12, s12, 0x80
	v_or_b32_e32 v3, s12, v4
	global_store_byte v[0:1], v3, off
.LBB38_615:
	s_mov_b64 s[12:13], 0
	s_mov_b64 s[14:15], -1
.LBB38_616:
	s_andn2_b64 vcc, exec, s[12:13]
	s_mov_b64 s[12:13], 0
	s_cbranch_vccnz .LBB38_623
; %bb.617:
	v_mov_b32_e32 v3, 14
	v_cmp_gt_i16_sdwa s[12:13], s33, v3 src0_sel:BYTE_0 src1_sel:DWORD
	s_mov_b64 s[16:17], -1
	s_and_b64 vcc, exec, s[12:13]
	s_cbranch_vccz .LBB38_621
; %bb.618:
	v_mov_b32_e32 v3, 15
	v_cmp_eq_u16_sdwa s[12:13], s33, v3 src0_sel:BYTE_0 src1_sel:DWORD
	s_mov_b64 s[6:7], -1
	s_and_b64 vcc, exec, s[12:13]
	s_cbranch_vccz .LBB38_620
; %bb.619:
	s_sext_i32_i16 s6, s11
	v_cvt_f32_i32_e32 v3, s6
	s_mov_b64 s[6:7], 0
	s_mov_b64 s[14:15], -1
	v_bfe_u32 v4, v3, 16, 1
	v_add_u32_e32 v3, v3, v4
	v_add_u32_e32 v3, 0x7fff, v3
	global_store_short_d16_hi v[0:1], v3, off
.LBB38_620:
	s_mov_b64 s[16:17], 0
.LBB38_621:
	s_mov_b64 s[12:13], 0
	s_and_b64 vcc, exec, s[16:17]
	s_cbranch_vccz .LBB38_623
; %bb.622:
	v_mov_b32_e32 v3, 11
	v_cmp_ne_u16_sdwa s[6:7], s33, v3 src0_sel:BYTE_0 src1_sel:DWORD
	s_mov_b64 s[12:13], -1
.LBB38_623:
	s_and_b64 vcc, exec, s[6:7]
	s_cbranch_vccnz .LBB38_706
; %bb.624:
	s_andn2_b64 vcc, exec, s[12:13]
	s_cbranch_vccnz .LBB38_626
.LBB38_625:
	v_cmp_ne_u16_e64 s[6:7], s11, 0
	v_cndmask_b32_e64 v3, 0, 1, s[6:7]
	s_mov_b64 s[14:15], -1
	global_store_byte v[0:1], v3, off
.LBB38_626:
	s_branch .LBB38_543
.LBB38_627:
	v_mov_b32_e32 v3, 5
	v_cmp_lt_i16_sdwa s[12:13], s33, v3 src0_sel:BYTE_0 src1_sel:DWORD
	s_mov_b64 s[6:7], -1
	s_and_b64 vcc, exec, s[12:13]
	s_cbranch_vccnz .LBB38_648
; %bb.628:
	v_mov_b32_e32 v3, 8
	v_cmp_lt_i16_sdwa s[12:13], s33, v3 src0_sel:BYTE_0 src1_sel:DWORD
	s_and_b64 vcc, exec, s[12:13]
	s_cbranch_vccnz .LBB38_638
; %bb.629:
	v_mov_b32_e32 v3, 9
	v_cmp_lt_i16_sdwa s[12:13], s33, v3 src0_sel:BYTE_0 src1_sel:DWORD
	s_and_b64 vcc, exec, s[12:13]
	s_cbranch_vccnz .LBB38_635
; %bb.630:
	v_cmp_gt_i16_sdwa s[12:13], s33, v3 src0_sel:BYTE_0 src1_sel:DWORD
	s_and_b64 vcc, exec, s[12:13]
	s_cbranch_vccz .LBB38_632
; %bb.631:
	s_sext_i32_i16 s6, s11
	v_mov_b32_e32 v6, 0
	v_cvt_f64_i32_e32 v[4:5], s6
	v_mov_b32_e32 v7, v6
	global_store_dwordx4 v[0:1], v[4:7], off
	s_mov_b64 s[6:7], 0
.LBB38_632:
	s_andn2_b64 vcc, exec, s[6:7]
	s_cbranch_vccnz .LBB38_634
; %bb.633:
	s_sext_i32_i16 s6, s11
	v_cvt_f32_i32_e32 v4, s6
	v_mov_b32_e32 v5, 0
	global_store_dwordx2 v[0:1], v[4:5], off
.LBB38_634:
	s_mov_b64 s[6:7], 0
.LBB38_635:
	s_andn2_b64 vcc, exec, s[6:7]
	s_cbranch_vccnz .LBB38_637
; %bb.636:
	v_cvt_f16_i16_e32 v3, s11
	global_store_dword v[0:1], v3, off
.LBB38_637:
	s_mov_b64 s[6:7], 0
.LBB38_638:
	s_andn2_b64 vcc, exec, s[6:7]
	s_cbranch_vccnz .LBB38_647
; %bb.639:
	v_mov_b32_e32 v3, 6
	v_cmp_lt_i16_sdwa s[12:13], s33, v3 src0_sel:BYTE_0 src1_sel:DWORD
	s_mov_b64 s[6:7], -1
	s_and_b64 vcc, exec, s[12:13]
	s_cbranch_vccnz .LBB38_645
; %bb.640:
	v_cmp_gt_i16_sdwa s[12:13], s33, v3 src0_sel:BYTE_0 src1_sel:DWORD
	s_and_b64 vcc, exec, s[12:13]
	s_cbranch_vccz .LBB38_642
; %bb.641:
	s_sext_i32_i16 s6, s11
	v_cvt_f64_i32_e32 v[4:5], s6
	global_store_dwordx2 v[0:1], v[4:5], off
	s_mov_b64 s[6:7], 0
.LBB38_642:
	s_andn2_b64 vcc, exec, s[6:7]
	s_cbranch_vccnz .LBB38_644
; %bb.643:
	s_sext_i32_i16 s6, s11
	v_cvt_f32_i32_e32 v3, s6
	global_store_dword v[0:1], v3, off
.LBB38_644:
	s_mov_b64 s[6:7], 0
.LBB38_645:
	s_andn2_b64 vcc, exec, s[6:7]
	s_cbranch_vccnz .LBB38_647
; %bb.646:
	v_cvt_f16_i16_e32 v3, s11
	global_store_short v[0:1], v3, off
.LBB38_647:
	s_mov_b64 s[6:7], 0
.LBB38_648:
	s_andn2_b64 vcc, exec, s[6:7]
	s_cbranch_vccnz .LBB38_664
; %bb.649:
	v_mov_b32_e32 v3, 2
	v_cmp_lt_i16_sdwa s[12:13], s33, v3 src0_sel:BYTE_0 src1_sel:DWORD
	s_mov_b64 s[6:7], -1
	s_and_b64 vcc, exec, s[12:13]
	s_cbranch_vccnz .LBB38_659
; %bb.650:
	v_mov_b32_e32 v3, 3
	v_cmp_lt_i16_sdwa s[12:13], s33, v3 src0_sel:BYTE_0 src1_sel:DWORD
	s_and_b64 vcc, exec, s[12:13]
	s_cbranch_vccnz .LBB38_656
; %bb.651:
	v_cmp_gt_i16_sdwa s[12:13], s33, v3 src0_sel:BYTE_0 src1_sel:DWORD
	s_and_b64 vcc, exec, s[12:13]
	s_cbranch_vccz .LBB38_653
; %bb.652:
	s_sext_i32_i16 s6, s11
	s_ashr_i32 s7, s6, 31
	v_mov_b32_e32 v4, s6
	v_mov_b32_e32 v5, s7
	global_store_dwordx2 v[0:1], v[4:5], off
	s_mov_b64 s[6:7], 0
.LBB38_653:
	s_andn2_b64 vcc, exec, s[6:7]
	s_cbranch_vccnz .LBB38_655
; %bb.654:
	s_sext_i32_i16 s6, s11
	v_mov_b32_e32 v3, s6
	global_store_dword v[0:1], v3, off
.LBB38_655:
	s_mov_b64 s[6:7], 0
.LBB38_656:
	s_andn2_b64 vcc, exec, s[6:7]
	s_cbranch_vccnz .LBB38_658
; %bb.657:
	v_mov_b32_e32 v3, s11
	global_store_short v[0:1], v3, off
.LBB38_658:
	s_mov_b64 s[6:7], 0
.LBB38_659:
	s_andn2_b64 vcc, exec, s[6:7]
	s_cbranch_vccnz .LBB38_664
; %bb.660:
	v_mov_b32_e32 v3, 0
	v_cmp_gt_i16_sdwa s[12:13], s33, v3 src0_sel:BYTE_0 src1_sel:DWORD
	s_mov_b64 s[6:7], -1
	s_and_b64 vcc, exec, s[12:13]
	s_cbranch_vccz .LBB38_662
; %bb.661:
	v_mov_b32_e32 v3, s11
	global_store_byte v[0:1], v3, off
	s_mov_b64 s[6:7], 0
.LBB38_662:
	s_andn2_b64 vcc, exec, s[6:7]
	s_cbranch_vccnz .LBB38_664
; %bb.663:
	v_mov_b32_e32 v3, s11
	global_store_byte v[0:1], v3, off
.LBB38_664:
.LBB38_665:
	v_add_u32_e32 v2, s10, v2
	v_ashrrev_i32_e32 v1, 31, v2
	v_mov_b32_e32 v3, s9
	v_add_co_u32_e32 v0, vcc, s8, v2
	v_addc_co_u32_e32 v1, vcc, v3, v1, vcc
	v_mov_b32_e32 v3, 11
	v_cmp_lt_i16_sdwa s[6:7], s33, v3 src0_sel:BYTE_0 src1_sel:DWORD
	s_and_b64 vcc, exec, s[6:7]
	s_cbranch_vccnz .LBB38_672
; %bb.666:
	v_mov_b32_e32 v3, 25
	v_cmp_gt_i16_sdwa s[6:7], s33, v3 src0_sel:BYTE_0 src1_sel:DWORD
	s_mov_b64 s[16:17], -1
	s_mov_b64 s[12:13], 0
	s_and_b64 vcc, exec, s[6:7]
	s_mov_b64 s[14:15], 0
	s_mov_b64 s[6:7], 0
	s_cbranch_vccz .LBB38_737
; %bb.667:
	v_mov_b32_e32 v3, 28
	v_cmp_gt_i16_sdwa s[6:7], s33, v3 src0_sel:BYTE_0 src1_sel:DWORD
	s_and_b64 vcc, exec, s[6:7]
	s_cbranch_vccz .LBB38_704
; %bb.668:
	v_mov_b32_e32 v3, 43
	v_cmp_gt_i16_sdwa s[6:7], s33, v3 src0_sel:BYTE_0 src1_sel:DWORD
	s_and_b64 vcc, exec, s[6:7]
	;; [unrolled: 5-line block ×3, first 2 shown]
	s_cbranch_vccz .LBB38_707
; %bb.670:
	v_mov_b32_e32 v3, 46
	v_cmp_eq_u16_sdwa s[14:15], s33, v3 src0_sel:BYTE_0 src1_sel:DWORD
	s_mov_b64 s[6:7], -1
	s_mov_b64 s[16:17], 0
	s_and_b64 vcc, exec, s[14:15]
	s_mov_b64 s[14:15], 0
	s_cbranch_vccz .LBB38_708
; %bb.671:
	s_sext_i32_i16 s6, s11
	v_cvt_f32_i32_e32 v3, s6
	s_mov_b64 s[6:7], 0
	s_mov_b64 s[14:15], -1
	v_bfe_u32 v4, v3, 16, 1
	v_add_u32_e32 v3, v3, v4
	v_add_u32_e32 v3, 0x7fff, v3
	v_lshrrev_b32_e32 v3, 16, v3
	global_store_dword v[0:1], v3, off
	s_branch .LBB38_708
.LBB38_672:
	s_mov_b64 s[14:15], 0
	s_cbranch_execnz .LBB38_801
.LBB38_673:
	s_andn2_b64 vcc, exec, s[14:15]
	s_cbranch_vccnz .LBB38_839
.LBB38_674:
	v_add_u32_e32 v0, s10, v2
	v_ashrrev_i32_e32 v1, 31, v0
	v_mov_b32_e32 v2, s9
	v_add_co_u32_e32 v0, vcc, s8, v0
	v_addc_co_u32_e32 v1, vcc, v2, v1, vcc
	v_mov_b32_e32 v2, 0xff
	v_and_b32_e32 v2, s33, v2
	v_cmp_gt_i16_e32 vcc, 11, v2
	s_cbranch_vccnz .LBB38_703
; %bb.675:
	v_cmp_lt_i16_e32 vcc, 25, v2
	s_mov_b64 s[12:13], -1
	s_mov_b64 s[8:9], 0
	s_mov_b64 s[6:7], 0
	s_cbranch_vccz .LBB38_751
; %bb.676:
	v_cmp_lt_i16_e32 vcc, 28, v2
	s_cbranch_vccz .LBB38_692
; %bb.677:
	v_cmp_lt_i16_e32 vcc, 43, v2
	;; [unrolled: 3-line block ×3, first 2 shown]
	s_cbranch_vccz .LBB38_682
; %bb.679:
	v_cmp_eq_u16_e32 vcc, 46, v2
	s_mov_b64 s[6:7], -1
	s_cbranch_vccz .LBB38_681
; %bb.680:
	s_sext_i32_i16 s6, s11
	v_cvt_f32_i32_e32 v3, s6
	s_mov_b64 s[6:7], 0
	v_bfe_u32 v4, v3, 16, 1
	v_add_u32_e32 v3, v3, v4
	v_add_u32_e32 v3, 0x7fff, v3
	v_lshrrev_b32_e32 v3, 16, v3
	global_store_dword v[0:1], v3, off
.LBB38_681:
	s_mov_b64 s[12:13], 0
.LBB38_682:
	s_and_b64 vcc, exec, s[12:13]
	s_cbranch_vccz .LBB38_687
; %bb.683:
	v_cmp_eq_u16_e32 vcc, 44, v2
	s_mov_b64 s[6:7], -1
	s_cbranch_vccz .LBB38_687
; %bb.684:
	s_sext_i32_i16 s6, s11
	v_cvt_f32_i32_e32 v3, s6
	v_mov_b32_e32 v4, 0xff
	v_readfirstlane_b32 s6, v3
	s_bfe_u32 s7, s6, 0x80017
	s_cmpk_eq_i32 s7, 0xff
	s_cbranch_scc1 .LBB38_686
; %bb.685:
	s_bitcmp1_b32 s6, 22
	s_cselect_b64 s[12:13], -1, 0
	s_and_b32 s6, s6, 0x3fffff
	s_or_b32 s6, s7, s6
	s_cmp_lg_u32 s6, 0
	s_cselect_b64 s[6:7], -1, 0
	s_and_b64 s[6:7], s[12:13], s[6:7]
	v_lshrrev_b32_e32 v3, 23, v3
	v_cndmask_b32_e64 v4, 0, 1, s[6:7]
	v_add_u32_e32 v4, v3, v4
.LBB38_686:
	s_mov_b64 s[6:7], 0
	global_store_byte v[0:1], v4, off
.LBB38_687:
	s_mov_b64 s[12:13], 0
.LBB38_688:
	s_and_b64 vcc, exec, s[12:13]
	s_cbranch_vccz .LBB38_691
; %bb.689:
	v_cmp_eq_u16_e32 vcc, 29, v2
	s_mov_b64 s[6:7], -1
	s_cbranch_vccz .LBB38_691
; %bb.690:
	s_sext_i32_i16 s6, s11
	s_ashr_i32 s7, s6, 31
	v_mov_b32_e32 v4, s6
	v_mov_b32_e32 v5, s7
	global_store_dwordx2 v[0:1], v[4:5], off
	s_mov_b64 s[6:7], 0
.LBB38_691:
	s_mov_b64 s[12:13], 0
.LBB38_692:
	s_and_b64 vcc, exec, s[12:13]
	s_cbranch_vccz .LBB38_750
; %bb.693:
	v_cmp_gt_i16_e32 vcc, 27, v2
	s_mov_b64 s[12:13], -1
	s_cbranch_vccnz .LBB38_699
; %bb.694:
	v_cmp_lt_i16_e32 vcc, 27, v2
	s_cbranch_vccz .LBB38_696
; %bb.695:
	s_sext_i32_i16 s10, s11
	v_mov_b32_e32 v3, s10
	global_store_dword v[0:1], v3, off
	s_mov_b64 s[12:13], 0
.LBB38_696:
	s_andn2_b64 vcc, exec, s[12:13]
	s_cbranch_vccnz .LBB38_698
; %bb.697:
	v_mov_b32_e32 v3, s11
	global_store_short v[0:1], v3, off
.LBB38_698:
	s_mov_b64 s[12:13], 0
.LBB38_699:
	s_andn2_b64 vcc, exec, s[12:13]
	s_cbranch_vccnz .LBB38_750
; %bb.700:
	s_sext_i32_i16 s10, s11
	v_cvt_f32_i32_e32 v3, s10
	v_mov_b32_e32 v4, 0x80
	v_readfirstlane_b32 s10, v3
	s_and_b32 s12, s10, 0x7fffffff
	s_cmp_gt_u32 s12, 0x437fffff
	s_cbranch_scc1 .LBB38_749
; %bb.701:
	s_cmp_gt_u32 s12, 0x3bffffff
	s_cbranch_scc0 .LBB38_744
; %bb.702:
	s_bfe_u32 s12, s10, 0x10014
	s_add_i32 s12, s10, s12
	s_add_i32 s12, s12, 0x487ffff
	s_lshr_b32 s16, s12, 20
	s_mov_b64 s[14:15], 0
	s_mov_b64 s[12:13], -1
	s_branch .LBB38_745
.LBB38_703:
	s_mov_b64 s[8:9], 0
	s_mov_b64 s[6:7], -1
	s_branch .LBB38_840
.LBB38_704:
	s_mov_b64 s[6:7], 0
	s_branch .LBB38_718
.LBB38_705:
	s_mov_b64 s[6:7], 0
	s_branch .LBB38_714
.LBB38_706:
	s_trap 2
	s_or_b64 s[4:5], s[4:5], exec
	s_cbranch_execz .LBB38_625
	s_branch .LBB38_626
.LBB38_707:
	s_mov_b64 s[6:7], 0
.LBB38_708:
	s_and_b64 vcc, exec, s[16:17]
	s_cbranch_vccz .LBB38_713
; %bb.709:
	v_mov_b32_e32 v3, 44
	v_cmp_eq_u16_sdwa s[16:17], s33, v3 src0_sel:BYTE_0 src1_sel:DWORD
	s_mov_b64 s[6:7], -1
	s_and_b64 vcc, exec, s[16:17]
	s_cbranch_vccz .LBB38_713
; %bb.710:
	s_sext_i32_i16 s6, s11
	v_cvt_f32_i32_e32 v3, s6
	v_mov_b32_e32 v4, 0xff
	v_readfirstlane_b32 s6, v3
	s_bfe_u32 s7, s6, 0x80017
	s_cmpk_eq_i32 s7, 0xff
	s_cbranch_scc1 .LBB38_712
; %bb.711:
	s_bitcmp1_b32 s6, 22
	s_cselect_b64 s[14:15], -1, 0
	s_and_b32 s6, s6, 0x3fffff
	s_or_b32 s6, s7, s6
	s_cmp_lg_u32 s6, 0
	s_cselect_b64 s[6:7], -1, 0
	s_and_b64 s[6:7], s[14:15], s[6:7]
	v_lshrrev_b32_e32 v3, 23, v3
	v_cndmask_b32_e64 v4, 0, 1, s[6:7]
	v_add_u32_e32 v4, v3, v4
.LBB38_712:
	s_mov_b64 s[6:7], 0
	s_mov_b64 s[14:15], -1
	global_store_byte v[0:1], v4, off
.LBB38_713:
	s_mov_b64 s[16:17], 0
.LBB38_714:
	s_and_b64 vcc, exec, s[16:17]
	s_cbranch_vccz .LBB38_717
; %bb.715:
	v_mov_b32_e32 v3, 29
	v_cmp_eq_u16_sdwa s[16:17], s33, v3 src0_sel:BYTE_0 src1_sel:DWORD
	s_mov_b64 s[6:7], -1
	s_and_b64 vcc, exec, s[16:17]
	s_cbranch_vccz .LBB38_717
; %bb.716:
	s_sext_i32_i16 s6, s11
	s_ashr_i32 s7, s6, 31
	v_mov_b32_e32 v4, s6
	v_mov_b32_e32 v5, s7
	global_store_dwordx2 v[0:1], v[4:5], off
	s_mov_b64 s[6:7], 0
	s_mov_b64 s[14:15], -1
.LBB38_717:
	s_mov_b64 s[16:17], 0
.LBB38_718:
	s_and_b64 vcc, exec, s[16:17]
	s_cbranch_vccz .LBB38_736
; %bb.719:
	v_mov_b32_e32 v3, 27
	v_cmp_lt_i16_sdwa s[16:17], s33, v3 src0_sel:BYTE_0 src1_sel:DWORD
	s_mov_b64 s[14:15], -1
	s_and_b64 vcc, exec, s[16:17]
	s_cbranch_vccnz .LBB38_725
; %bb.720:
	v_cmp_gt_i16_sdwa s[16:17], s33, v3 src0_sel:BYTE_0 src1_sel:DWORD
	s_and_b64 vcc, exec, s[16:17]
	s_cbranch_vccz .LBB38_722
; %bb.721:
	s_sext_i32_i16 s14, s11
	v_mov_b32_e32 v3, s14
	s_mov_b64 s[14:15], 0
	global_store_dword v[0:1], v3, off
.LBB38_722:
	s_andn2_b64 vcc, exec, s[14:15]
	s_cbranch_vccnz .LBB38_724
; %bb.723:
	v_mov_b32_e32 v3, s11
	global_store_short v[0:1], v3, off
.LBB38_724:
	s_mov_b64 s[14:15], 0
.LBB38_725:
	s_andn2_b64 vcc, exec, s[14:15]
	s_cbranch_vccnz .LBB38_735
; %bb.726:
	s_sext_i32_i16 s14, s11
	v_cvt_f32_i32_e32 v3, s14
	v_mov_b32_e32 v4, 0x80
	v_readfirstlane_b32 s18, v3
	s_and_b32 s14, s18, 0x7fffffff
	s_cmp_gt_u32 s14, 0x437fffff
	s_cbranch_scc1 .LBB38_734
; %bb.727:
	s_cmp_gt_u32 s14, 0x3bffffff
	s_cbranch_scc0 .LBB38_729
; %bb.728:
	s_bfe_u32 s14, s18, 0x10014
	s_add_i32 s14, s18, s14
	s_add_i32 s14, s14, 0x487ffff
	s_lshr_b32 s19, s14, 20
	s_mov_b64 s[16:17], 0
	s_mov_b64 s[14:15], -1
	s_branch .LBB38_730
.LBB38_729:
	s_mov_b64 s[16:17], -1
	s_mov_b64 s[14:15], 0
                                        ; implicit-def: $sgpr19
.LBB38_730:
	s_andn2_b64 vcc, exec, s[16:17]
	v_mov_b32_e32 v3, s19
                                        ; implicit-def: $sgpr16
	s_cbranch_vccnz .LBB38_732
; %bb.731:
	v_mov_b32_e32 v3, 0x46000000
	v_add_f32_e64 v3, |s18|, v3
	v_and_b32_e32 v3, 0xff, v3
	s_mov_b32 s16, 0
	v_cmp_ne_u32_e64 s[14:15], 0, v3
.LBB38_732:
	s_andn2_b64 vcc, exec, s[14:15]
	v_mov_b32_e32 v4, s16
	s_cbranch_vccnz .LBB38_734
; %bb.733:
	s_lshr_b32 s14, s18, 24
	s_and_b32 s14, s14, 0x80
	v_or_b32_e32 v4, s14, v3
.LBB38_734:
	global_store_byte v[0:1], v4, off
.LBB38_735:
	s_mov_b64 s[14:15], -1
.LBB38_736:
	s_mov_b64 s[16:17], 0
.LBB38_737:
	s_and_b64 vcc, exec, s[16:17]
	s_cbranch_vccz .LBB38_797
; %bb.738:
	v_mov_b32_e32 v3, 22
	v_cmp_gt_i16_sdwa s[16:17], s33, v3 src0_sel:BYTE_0 src1_sel:DWORD
	s_mov_b64 s[12:13], -1
	s_and_b64 vcc, exec, s[16:17]
	s_cbranch_vccz .LBB38_790
; %bb.739:
	v_mov_b32_e32 v3, 24
	v_cmp_lt_i16_sdwa s[14:15], s33, v3 src0_sel:BYTE_0 src1_sel:DWORD
	s_and_b64 vcc, exec, s[14:15]
	s_cbranch_vccnz .LBB38_777
; %bb.740:
	v_cmp_gt_i16_sdwa s[14:15], s33, v3 src0_sel:BYTE_0 src1_sel:DWORD
	s_and_b64 vcc, exec, s[14:15]
	s_cbranch_vccz .LBB38_764
; %bb.741:
	s_sext_i32_i16 s12, s11
	v_cvt_f32_i32_e32 v3, s12
	v_mov_b32_e32 v4, 0x80
	v_readfirstlane_b32 s16, v3
	s_and_b32 s12, s16, 0x7fffffff
	s_cmp_gt_u32 s12, 0x477fffff
	s_cbranch_scc1 .LBB38_763
; %bb.742:
	s_cmp_gt_u32 s12, 0x37ffffff
	s_cbranch_scc0 .LBB38_758
; %bb.743:
	s_bfe_u32 s12, s16, 0x10015
	s_add_i32 s12, s16, s12
	s_add_i32 s12, s12, 0x88fffff
	s_lshr_b32 s17, s12, 21
	s_mov_b64 s[14:15], 0
	s_mov_b64 s[12:13], -1
	s_branch .LBB38_759
.LBB38_744:
	s_mov_b64 s[14:15], -1
	s_mov_b64 s[12:13], 0
                                        ; implicit-def: $sgpr16
.LBB38_745:
	s_andn2_b64 vcc, exec, s[14:15]
	v_mov_b32_e32 v3, s16
                                        ; implicit-def: $sgpr14
	s_cbranch_vccnz .LBB38_747
; %bb.746:
	v_mov_b32_e32 v3, 0x46000000
	v_add_f32_e64 v3, |s10|, v3
	v_and_b32_e32 v3, 0xff, v3
	s_mov_b32 s14, 0
	v_cmp_ne_u32_e64 s[12:13], 0, v3
.LBB38_747:
	s_andn2_b64 vcc, exec, s[12:13]
	v_mov_b32_e32 v4, s14
	s_cbranch_vccnz .LBB38_749
; %bb.748:
	s_lshr_b32 s10, s10, 24
	s_and_b32 s10, s10, 0x80
	v_or_b32_e32 v4, s10, v3
.LBB38_749:
	global_store_byte v[0:1], v4, off
.LBB38_750:
	s_mov_b64 s[12:13], 0
.LBB38_751:
	s_and_b64 vcc, exec, s[12:13]
	s_cbranch_vccz .LBB38_921
; %bb.752:
	v_cmp_lt_i16_e32 vcc, 22, v2
	s_mov_b64 s[8:9], -1
	s_cbranch_vccz .LBB38_914
; %bb.753:
	v_cmp_gt_i16_e32 vcc, 24, v2
	s_cbranch_vccnz .LBB38_901
; %bb.754:
	v_cmp_lt_i16_e32 vcc, 24, v2
	s_cbranch_vccz .LBB38_888
; %bb.755:
	s_sext_i32_i16 s8, s11
	v_cvt_f32_i32_e32 v3, s8
	v_mov_b32_e32 v4, 0x80
	v_readfirstlane_b32 s10, v3
	s_and_b32 s8, s10, 0x7fffffff
	s_cmp_gt_u32 s8, 0x477fffff
	s_cbranch_scc1 .LBB38_887
; %bb.756:
	s_cmp_gt_u32 s8, 0x37ffffff
	s_cbranch_scc0 .LBB38_882
; %bb.757:
	s_bfe_u32 s8, s10, 0x10015
	s_add_i32 s8, s10, s8
	s_add_i32 s8, s8, 0x88fffff
	s_lshr_b32 s14, s8, 21
	s_mov_b64 s[12:13], 0
	s_mov_b64 s[8:9], -1
	s_branch .LBB38_883
.LBB38_758:
	s_mov_b64 s[14:15], -1
	s_mov_b64 s[12:13], 0
                                        ; implicit-def: $sgpr17
.LBB38_759:
	s_andn2_b64 vcc, exec, s[14:15]
	v_mov_b32_e32 v3, s17
                                        ; implicit-def: $sgpr14
	s_cbranch_vccnz .LBB38_761
; %bb.760:
	v_mov_b32_e32 v3, 0x42800000
	v_add_f32_e64 v3, |s16|, v3
	v_and_b32_e32 v3, 0xff, v3
	s_mov_b32 s14, 0
	v_cmp_ne_u32_e64 s[12:13], 0, v3
.LBB38_761:
	s_andn2_b64 vcc, exec, s[12:13]
	v_mov_b32_e32 v4, s14
	s_cbranch_vccnz .LBB38_763
; %bb.762:
	s_lshr_b32 s12, s16, 24
	s_and_b32 s12, s12, 0x80
	v_or_b32_e32 v4, s12, v3
.LBB38_763:
	s_mov_b64 s[12:13], 0
	global_store_byte v[0:1], v4, off
.LBB38_764:
	s_and_b64 vcc, exec, s[12:13]
	s_cbranch_vccz .LBB38_776
; %bb.765:
	s_sext_i32_i16 s12, s11
	v_cvt_f32_i32_e32 v3, s12
	v_readfirstlane_b32 s14, v3
	s_and_b32 s15, s14, 0x7fffffff
	s_cmp_lt_u32 s15, 0x43f00000
	s_cbranch_scc0 .LBB38_768
; %bb.766:
	s_cmp_gt_u32 s15, 0x3c7fffff
	s_cbranch_scc0 .LBB38_769
; %bb.767:
	s_bfe_u32 s12, s14, 0x10014
	s_add_i32 s12, s14, s12
	s_add_i32 s12, s12, 0x407ffff
	s_lshr_b32 s13, s12, 20
	s_and_b32 s12, s12, 0xff00000
	s_cmp_lg_u32 s12, 0x7f00000
	s_cselect_b32 s16, s13, 0x7e
	s_mov_b64 s[12:13], 0
	s_branch .LBB38_770
.LBB38_768:
	s_mov_b64 s[12:13], -1
                                        ; implicit-def: $vgpr4
	s_branch .LBB38_773
.LBB38_769:
	s_mov_b64 s[12:13], -1
                                        ; implicit-def: $sgpr16
.LBB38_770:
	s_andn2_b64 vcc, exec, s[12:13]
	v_mov_b32_e32 v4, s16
	s_cbranch_vccnz .LBB38_772
; %bb.771:
	s_mov_b32 s12, 0x46800000
	v_add_f32_e64 v4, |v3|, s12
.LBB38_772:
	s_mov_b64 s[12:13], 0
.LBB38_773:
	s_andn2_b64 vcc, exec, s[12:13]
	s_cbranch_vccnz .LBB38_775
; %bb.774:
	s_cmp_gt_u32 s15, 0x7f800000
	s_movk_i32 s12, 0x7f
	s_cselect_b32 s12, s12, 0x7e
	v_mov_b32_e32 v4, s12
.LBB38_775:
	s_lshr_b32 s12, s14, 24
	s_and_b32 s12, s12, 0x80
	v_or_b32_e32 v3, s12, v4
	global_store_byte v[0:1], v3, off
.LBB38_776:
	s_mov_b64 s[12:13], 0
.LBB38_777:
	s_andn2_b64 vcc, exec, s[12:13]
	s_cbranch_vccnz .LBB38_789
; %bb.778:
	s_sext_i32_i16 s12, s11
	v_cvt_f32_i32_e32 v3, s12
	v_readfirstlane_b32 s14, v3
	s_and_b32 s15, s14, 0x7fffffff
	s_cmp_lt_u32 s15, 0x47800000
	s_cbranch_scc0 .LBB38_781
; %bb.779:
	s_cmp_gt_u32 s15, 0x387fffff
	s_cbranch_scc0 .LBB38_782
; %bb.780:
	s_bfe_u32 s12, s14, 0x10015
	s_add_i32 s12, s14, s12
	s_add_i32 s12, s12, 0x80fffff
	s_lshr_b32 s16, s12, 21
	s_mov_b64 s[12:13], 0
	s_branch .LBB38_783
.LBB38_781:
	s_mov_b64 s[12:13], -1
                                        ; implicit-def: $vgpr4
	s_branch .LBB38_786
.LBB38_782:
	s_mov_b64 s[12:13], -1
                                        ; implicit-def: $sgpr16
.LBB38_783:
	s_andn2_b64 vcc, exec, s[12:13]
	v_mov_b32_e32 v4, s16
	s_cbranch_vccnz .LBB38_785
; %bb.784:
	s_mov_b32 s12, 0x43000000
	v_add_f32_e64 v4, |v3|, s12
.LBB38_785:
	s_mov_b64 s[12:13], 0
.LBB38_786:
	s_andn2_b64 vcc, exec, s[12:13]
	s_cbranch_vccnz .LBB38_788
; %bb.787:
	s_cmp_gt_u32 s15, 0x7f800000
	s_movk_i32 s12, 0x7f
	s_cselect_b32 s12, s12, 0x7c
	v_mov_b32_e32 v4, s12
.LBB38_788:
	s_lshr_b32 s12, s14, 24
	s_and_b32 s12, s12, 0x80
	v_or_b32_e32 v3, s12, v4
	global_store_byte v[0:1], v3, off
.LBB38_789:
	s_mov_b64 s[12:13], 0
	s_mov_b64 s[14:15], -1
.LBB38_790:
	s_andn2_b64 vcc, exec, s[12:13]
	s_mov_b64 s[12:13], 0
	s_cbranch_vccnz .LBB38_797
; %bb.791:
	v_mov_b32_e32 v3, 14
	v_cmp_gt_i16_sdwa s[12:13], s33, v3 src0_sel:BYTE_0 src1_sel:DWORD
	s_mov_b64 s[16:17], -1
	s_and_b64 vcc, exec, s[12:13]
	s_cbranch_vccz .LBB38_795
; %bb.792:
	v_mov_b32_e32 v3, 15
	v_cmp_eq_u16_sdwa s[12:13], s33, v3 src0_sel:BYTE_0 src1_sel:DWORD
	s_mov_b64 s[6:7], -1
	s_and_b64 vcc, exec, s[12:13]
	s_cbranch_vccz .LBB38_794
; %bb.793:
	s_sext_i32_i16 s6, s11
	v_cvt_f32_i32_e32 v3, s6
	s_mov_b64 s[6:7], 0
	s_mov_b64 s[14:15], -1
	v_bfe_u32 v4, v3, 16, 1
	v_add_u32_e32 v3, v3, v4
	v_add_u32_e32 v3, 0x7fff, v3
	global_store_short_d16_hi v[0:1], v3, off
.LBB38_794:
	s_mov_b64 s[16:17], 0
.LBB38_795:
	s_mov_b64 s[12:13], 0
	s_and_b64 vcc, exec, s[16:17]
	s_cbranch_vccz .LBB38_797
; %bb.796:
	v_mov_b32_e32 v3, 11
	v_cmp_ne_u16_sdwa s[6:7], s33, v3 src0_sel:BYTE_0 src1_sel:DWORD
	s_mov_b64 s[12:13], -1
.LBB38_797:
	s_and_b64 vcc, exec, s[6:7]
	s_cbranch_vccnz .LBB38_881
; %bb.798:
	s_andn2_b64 vcc, exec, s[12:13]
	s_cbranch_vccnz .LBB38_800
.LBB38_799:
	v_cmp_ne_u16_e64 s[6:7], s11, 0
	v_cndmask_b32_e64 v3, 0, 1, s[6:7]
	s_mov_b64 s[14:15], -1
	global_store_byte v[0:1], v3, off
.LBB38_800:
	s_branch .LBB38_673
.LBB38_801:
	v_mov_b32_e32 v3, 5
	v_cmp_lt_i16_sdwa s[12:13], s33, v3 src0_sel:BYTE_0 src1_sel:DWORD
	s_mov_b64 s[6:7], -1
	s_and_b64 vcc, exec, s[12:13]
	s_cbranch_vccnz .LBB38_822
; %bb.802:
	v_mov_b32_e32 v3, 8
	v_cmp_lt_i16_sdwa s[12:13], s33, v3 src0_sel:BYTE_0 src1_sel:DWORD
	s_and_b64 vcc, exec, s[12:13]
	s_cbranch_vccnz .LBB38_812
; %bb.803:
	v_mov_b32_e32 v3, 9
	v_cmp_lt_i16_sdwa s[12:13], s33, v3 src0_sel:BYTE_0 src1_sel:DWORD
	s_and_b64 vcc, exec, s[12:13]
	s_cbranch_vccnz .LBB38_809
; %bb.804:
	v_cmp_gt_i16_sdwa s[12:13], s33, v3 src0_sel:BYTE_0 src1_sel:DWORD
	s_and_b64 vcc, exec, s[12:13]
	s_cbranch_vccz .LBB38_806
; %bb.805:
	s_sext_i32_i16 s6, s11
	v_mov_b32_e32 v6, 0
	v_cvt_f64_i32_e32 v[4:5], s6
	v_mov_b32_e32 v7, v6
	global_store_dwordx4 v[0:1], v[4:7], off
	s_mov_b64 s[6:7], 0
.LBB38_806:
	s_andn2_b64 vcc, exec, s[6:7]
	s_cbranch_vccnz .LBB38_808
; %bb.807:
	s_sext_i32_i16 s6, s11
	v_cvt_f32_i32_e32 v4, s6
	v_mov_b32_e32 v5, 0
	global_store_dwordx2 v[0:1], v[4:5], off
.LBB38_808:
	s_mov_b64 s[6:7], 0
.LBB38_809:
	s_andn2_b64 vcc, exec, s[6:7]
	s_cbranch_vccnz .LBB38_811
; %bb.810:
	v_cvt_f16_i16_e32 v3, s11
	global_store_dword v[0:1], v3, off
.LBB38_811:
	s_mov_b64 s[6:7], 0
.LBB38_812:
	s_andn2_b64 vcc, exec, s[6:7]
	s_cbranch_vccnz .LBB38_821
; %bb.813:
	v_mov_b32_e32 v3, 6
	v_cmp_lt_i16_sdwa s[12:13], s33, v3 src0_sel:BYTE_0 src1_sel:DWORD
	s_mov_b64 s[6:7], -1
	s_and_b64 vcc, exec, s[12:13]
	s_cbranch_vccnz .LBB38_819
; %bb.814:
	v_cmp_gt_i16_sdwa s[12:13], s33, v3 src0_sel:BYTE_0 src1_sel:DWORD
	s_and_b64 vcc, exec, s[12:13]
	s_cbranch_vccz .LBB38_816
; %bb.815:
	s_sext_i32_i16 s6, s11
	v_cvt_f64_i32_e32 v[4:5], s6
	global_store_dwordx2 v[0:1], v[4:5], off
	s_mov_b64 s[6:7], 0
.LBB38_816:
	s_andn2_b64 vcc, exec, s[6:7]
	s_cbranch_vccnz .LBB38_818
; %bb.817:
	s_sext_i32_i16 s6, s11
	v_cvt_f32_i32_e32 v3, s6
	global_store_dword v[0:1], v3, off
.LBB38_818:
	s_mov_b64 s[6:7], 0
.LBB38_819:
	s_andn2_b64 vcc, exec, s[6:7]
	s_cbranch_vccnz .LBB38_821
; %bb.820:
	v_cvt_f16_i16_e32 v3, s11
	global_store_short v[0:1], v3, off
.LBB38_821:
	s_mov_b64 s[6:7], 0
.LBB38_822:
	s_andn2_b64 vcc, exec, s[6:7]
	s_cbranch_vccnz .LBB38_838
; %bb.823:
	v_mov_b32_e32 v3, 2
	v_cmp_lt_i16_sdwa s[12:13], s33, v3 src0_sel:BYTE_0 src1_sel:DWORD
	s_mov_b64 s[6:7], -1
	s_and_b64 vcc, exec, s[12:13]
	s_cbranch_vccnz .LBB38_833
; %bb.824:
	v_mov_b32_e32 v3, 3
	v_cmp_lt_i16_sdwa s[12:13], s33, v3 src0_sel:BYTE_0 src1_sel:DWORD
	s_and_b64 vcc, exec, s[12:13]
	s_cbranch_vccnz .LBB38_830
; %bb.825:
	v_cmp_gt_i16_sdwa s[12:13], s33, v3 src0_sel:BYTE_0 src1_sel:DWORD
	s_and_b64 vcc, exec, s[12:13]
	s_cbranch_vccz .LBB38_827
; %bb.826:
	s_sext_i32_i16 s6, s11
	s_ashr_i32 s7, s6, 31
	v_mov_b32_e32 v4, s6
	v_mov_b32_e32 v5, s7
	global_store_dwordx2 v[0:1], v[4:5], off
	s_mov_b64 s[6:7], 0
.LBB38_827:
	s_andn2_b64 vcc, exec, s[6:7]
	s_cbranch_vccnz .LBB38_829
; %bb.828:
	s_sext_i32_i16 s6, s11
	v_mov_b32_e32 v3, s6
	global_store_dword v[0:1], v3, off
.LBB38_829:
	s_mov_b64 s[6:7], 0
.LBB38_830:
	s_andn2_b64 vcc, exec, s[6:7]
	s_cbranch_vccnz .LBB38_832
; %bb.831:
	v_mov_b32_e32 v3, s11
	global_store_short v[0:1], v3, off
.LBB38_832:
	s_mov_b64 s[6:7], 0
.LBB38_833:
	s_andn2_b64 vcc, exec, s[6:7]
	s_cbranch_vccnz .LBB38_838
; %bb.834:
	v_mov_b32_e32 v3, 0
	v_cmp_gt_i16_sdwa s[12:13], s33, v3 src0_sel:BYTE_0 src1_sel:DWORD
	s_mov_b64 s[6:7], -1
	s_and_b64 vcc, exec, s[12:13]
	s_cbranch_vccz .LBB38_836
; %bb.835:
	v_mov_b32_e32 v3, s11
	global_store_byte v[0:1], v3, off
	s_mov_b64 s[6:7], 0
.LBB38_836:
	s_andn2_b64 vcc, exec, s[6:7]
	s_cbranch_vccnz .LBB38_838
; %bb.837:
	v_mov_b32_e32 v3, s11
	global_store_byte v[0:1], v3, off
.LBB38_838:
	s_branch .LBB38_674
.LBB38_839:
	s_mov_b64 s[6:7], 0
	s_mov_b64 s[8:9], 0
                                        ; implicit-def: $vgpr2
                                        ; implicit-def: $vgpr0_vgpr1
.LBB38_840:
	s_andn2_b64 s[0:1], s[0:1], exec
	s_and_b64 s[4:5], s[4:5], exec
	s_and_b64 s[12:13], s[6:7], exec
	;; [unrolled: 1-line block ×3, first 2 shown]
	s_or_b64 s[0:1], s[0:1], s[4:5]
	s_or_b64 exec, exec, s[2:3]
	s_and_saveexec_b64 s[2:3], s[0:1]
	s_cbranch_execnz .LBB38_413
.LBB38_841:
	s_or_b64 exec, exec, s[2:3]
	s_and_saveexec_b64 s[0:1], s[6:7]
	s_xor_b64 s[0:1], exec, s[0:1]
	s_cbranch_execz .LBB38_414
.LBB38_842:
	v_cmp_ne_u16_e64 s[2:3], s11, 0
	v_cndmask_b32_e64 v3, 0, 1, s[2:3]
	global_store_byte v[0:1], v3, off
	s_or_b64 exec, exec, s[0:1]
	s_and_saveexec_b64 s[0:1], s[12:13]
	s_cbranch_execz .LBB38_880
.LBB38_843:
	v_cmp_gt_i16_e32 vcc, 5, v2
	s_mov_b64 s[0:1], -1
	s_cbranch_vccnz .LBB38_864
; %bb.844:
	v_cmp_gt_i16_e32 vcc, 8, v2
	s_cbranch_vccnz .LBB38_854
; %bb.845:
	v_cmp_gt_i16_e32 vcc, 9, v2
	s_cbranch_vccnz .LBB38_851
; %bb.846:
	v_cmp_lt_i16_e32 vcc, 9, v2
	s_cbranch_vccz .LBB38_848
; %bb.847:
	s_sext_i32_i16 s0, s11
	v_mov_b32_e32 v6, 0
	v_cvt_f64_i32_e32 v[4:5], s0
	v_mov_b32_e32 v7, v6
	global_store_dwordx4 v[0:1], v[4:7], off
	s_mov_b64 s[0:1], 0
.LBB38_848:
	s_andn2_b64 vcc, exec, s[0:1]
	s_cbranch_vccnz .LBB38_850
; %bb.849:
	s_sext_i32_i16 s0, s11
	v_cvt_f32_i32_e32 v4, s0
	v_mov_b32_e32 v5, 0
	global_store_dwordx2 v[0:1], v[4:5], off
.LBB38_850:
	s_mov_b64 s[0:1], 0
.LBB38_851:
	s_andn2_b64 vcc, exec, s[0:1]
	s_cbranch_vccnz .LBB38_853
; %bb.852:
	v_cvt_f16_i16_e32 v3, s11
	global_store_dword v[0:1], v3, off
.LBB38_853:
	s_mov_b64 s[0:1], 0
.LBB38_854:
	s_andn2_b64 vcc, exec, s[0:1]
	s_cbranch_vccnz .LBB38_863
; %bb.855:
	v_cmp_gt_i16_e32 vcc, 6, v2
	s_mov_b64 s[0:1], -1
	s_cbranch_vccnz .LBB38_861
; %bb.856:
	v_cmp_lt_i16_e32 vcc, 6, v2
	s_cbranch_vccz .LBB38_858
; %bb.857:
	s_sext_i32_i16 s0, s11
	v_cvt_f64_i32_e32 v[4:5], s0
	global_store_dwordx2 v[0:1], v[4:5], off
	s_mov_b64 s[0:1], 0
.LBB38_858:
	s_andn2_b64 vcc, exec, s[0:1]
	s_cbranch_vccnz .LBB38_860
; %bb.859:
	s_sext_i32_i16 s0, s11
	v_cvt_f32_i32_e32 v3, s0
	global_store_dword v[0:1], v3, off
.LBB38_860:
	s_mov_b64 s[0:1], 0
.LBB38_861:
	s_andn2_b64 vcc, exec, s[0:1]
	s_cbranch_vccnz .LBB38_863
; %bb.862:
	v_cvt_f16_i16_e32 v3, s11
	global_store_short v[0:1], v3, off
.LBB38_863:
	s_mov_b64 s[0:1], 0
.LBB38_864:
	s_andn2_b64 vcc, exec, s[0:1]
	s_cbranch_vccnz .LBB38_880
; %bb.865:
	v_cmp_gt_i16_e32 vcc, 2, v2
	s_mov_b64 s[0:1], -1
	s_cbranch_vccnz .LBB38_875
; %bb.866:
	v_cmp_gt_i16_e32 vcc, 3, v2
	s_cbranch_vccnz .LBB38_872
; %bb.867:
	v_cmp_lt_i16_e32 vcc, 3, v2
	s_sext_i32_i16 s2, s11
	s_cbranch_vccz .LBB38_869
; %bb.868:
	s_ashr_i32 s0, s2, 31
	v_mov_b32_e32 v4, s2
	v_mov_b32_e32 v5, s0
	global_store_dwordx2 v[0:1], v[4:5], off
	s_mov_b64 s[0:1], 0
.LBB38_869:
	s_andn2_b64 vcc, exec, s[0:1]
	s_cbranch_vccnz .LBB38_871
; %bb.870:
	v_mov_b32_e32 v3, s2
	global_store_dword v[0:1], v3, off
.LBB38_871:
	s_mov_b64 s[0:1], 0
.LBB38_872:
	s_andn2_b64 vcc, exec, s[0:1]
	s_cbranch_vccnz .LBB38_874
; %bb.873:
	v_mov_b32_e32 v3, s11
	global_store_short v[0:1], v3, off
.LBB38_874:
	s_mov_b64 s[0:1], 0
.LBB38_875:
	s_andn2_b64 vcc, exec, s[0:1]
	s_cbranch_vccnz .LBB38_880
; %bb.876:
	v_cmp_lt_i16_e32 vcc, 0, v2
	s_mov_b64 s[0:1], -1
	s_cbranch_vccz .LBB38_878
; %bb.877:
	v_mov_b32_e32 v2, s11
	global_store_byte v[0:1], v2, off
	s_mov_b64 s[0:1], 0
.LBB38_878:
	s_andn2_b64 vcc, exec, s[0:1]
	s_cbranch_vccnz .LBB38_880
; %bb.879:
	v_mov_b32_e32 v2, s11
	global_store_byte v[0:1], v2, off
	s_endpgm
.LBB38_880:
	s_endpgm
.LBB38_881:
	s_trap 2
	s_or_b64 s[4:5], s[4:5], exec
	s_cbranch_execz .LBB38_799
	s_branch .LBB38_800
.LBB38_882:
	s_mov_b64 s[12:13], -1
	s_mov_b64 s[8:9], 0
                                        ; implicit-def: $sgpr14
.LBB38_883:
	s_andn2_b64 vcc, exec, s[12:13]
	v_mov_b32_e32 v3, s14
                                        ; implicit-def: $sgpr12
	s_cbranch_vccnz .LBB38_885
; %bb.884:
	v_mov_b32_e32 v3, 0x42800000
	v_add_f32_e64 v3, |s10|, v3
	v_and_b32_e32 v3, 0xff, v3
	s_mov_b32 s12, 0
	v_cmp_ne_u32_e64 s[8:9], 0, v3
.LBB38_885:
	s_andn2_b64 vcc, exec, s[8:9]
	v_mov_b32_e32 v4, s12
	s_cbranch_vccnz .LBB38_887
; %bb.886:
	s_lshr_b32 s8, s10, 24
	s_and_b32 s8, s8, 0x80
	v_or_b32_e32 v4, s8, v3
.LBB38_887:
	s_mov_b64 s[8:9], 0
	global_store_byte v[0:1], v4, off
.LBB38_888:
	s_and_b64 vcc, exec, s[8:9]
	s_cbranch_vccz .LBB38_900
; %bb.889:
	s_sext_i32_i16 s8, s11
	v_cvt_f32_i32_e32 v3, s8
	v_readfirstlane_b32 s10, v3
	s_and_b32 s12, s10, 0x7fffffff
	s_cmp_lt_u32 s12, 0x43f00000
	s_cbranch_scc0 .LBB38_892
; %bb.890:
	s_cmp_gt_u32 s12, 0x3c7fffff
	s_cbranch_scc0 .LBB38_893
; %bb.891:
	s_bfe_u32 s8, s10, 0x10014
	s_add_i32 s8, s10, s8
	s_add_i32 s8, s8, 0x407ffff
	s_lshr_b32 s9, s8, 20
	s_and_b32 s8, s8, 0xff00000
	s_cmp_lg_u32 s8, 0x7f00000
	s_cselect_b32 s13, s9, 0x7e
	s_mov_b64 s[8:9], 0
	s_branch .LBB38_894
.LBB38_892:
	s_mov_b64 s[8:9], -1
                                        ; implicit-def: $vgpr4
	s_branch .LBB38_897
.LBB38_893:
	s_mov_b64 s[8:9], -1
                                        ; implicit-def: $sgpr13
.LBB38_894:
	s_andn2_b64 vcc, exec, s[8:9]
	v_mov_b32_e32 v4, s13
	s_cbranch_vccnz .LBB38_896
; %bb.895:
	s_mov_b32 s8, 0x46800000
	v_add_f32_e64 v4, |v3|, s8
.LBB38_896:
	s_mov_b64 s[8:9], 0
.LBB38_897:
	s_andn2_b64 vcc, exec, s[8:9]
	s_cbranch_vccnz .LBB38_899
; %bb.898:
	s_cmp_gt_u32 s12, 0x7f800000
	s_movk_i32 s8, 0x7f
	s_cselect_b32 s8, s8, 0x7e
	v_mov_b32_e32 v4, s8
.LBB38_899:
	s_lshr_b32 s8, s10, 24
	s_and_b32 s8, s8, 0x80
	v_or_b32_e32 v3, s8, v4
	global_store_byte v[0:1], v3, off
.LBB38_900:
	s_mov_b64 s[8:9], 0
.LBB38_901:
	s_andn2_b64 vcc, exec, s[8:9]
	s_cbranch_vccnz .LBB38_913
; %bb.902:
	s_sext_i32_i16 s8, s11
	v_cvt_f32_i32_e32 v3, s8
	v_readfirstlane_b32 s10, v3
	s_and_b32 s12, s10, 0x7fffffff
	s_cmp_lt_u32 s12, 0x47800000
	s_cbranch_scc0 .LBB38_905
; %bb.903:
	s_cmp_gt_u32 s12, 0x387fffff
	s_cbranch_scc0 .LBB38_906
; %bb.904:
	s_bfe_u32 s8, s10, 0x10015
	s_add_i32 s8, s10, s8
	s_add_i32 s8, s8, 0x80fffff
	s_lshr_b32 s13, s8, 21
	s_mov_b64 s[8:9], 0
	s_branch .LBB38_907
.LBB38_905:
	s_mov_b64 s[8:9], -1
                                        ; implicit-def: $vgpr4
	s_branch .LBB38_910
.LBB38_906:
	s_mov_b64 s[8:9], -1
                                        ; implicit-def: $sgpr13
.LBB38_907:
	s_andn2_b64 vcc, exec, s[8:9]
	v_mov_b32_e32 v4, s13
	s_cbranch_vccnz .LBB38_909
; %bb.908:
	s_mov_b32 s8, 0x43000000
	v_add_f32_e64 v4, |v3|, s8
.LBB38_909:
	s_mov_b64 s[8:9], 0
.LBB38_910:
	s_andn2_b64 vcc, exec, s[8:9]
	s_cbranch_vccnz .LBB38_912
; %bb.911:
	s_cmp_gt_u32 s12, 0x7f800000
	s_movk_i32 s8, 0x7f
	s_cselect_b32 s8, s8, 0x7c
	v_mov_b32_e32 v4, s8
.LBB38_912:
	s_lshr_b32 s8, s10, 24
	s_and_b32 s8, s8, 0x80
	v_or_b32_e32 v3, s8, v4
	global_store_byte v[0:1], v3, off
.LBB38_913:
	s_mov_b64 s[8:9], 0
.LBB38_914:
	s_andn2_b64 vcc, exec, s[8:9]
	s_mov_b64 s[8:9], 0
	s_cbranch_vccnz .LBB38_921
; %bb.915:
	v_cmp_lt_i16_e32 vcc, 14, v2
	s_mov_b64 s[12:13], -1
	s_cbranch_vccz .LBB38_919
; %bb.916:
	v_cmp_eq_u16_e32 vcc, 15, v2
	s_mov_b64 s[6:7], -1
	s_cbranch_vccz .LBB38_918
; %bb.917:
	s_sext_i32_i16 s6, s11
	v_cvt_f32_i32_e32 v3, s6
	s_mov_b64 s[6:7], 0
	v_bfe_u32 v4, v3, 16, 1
	v_add_u32_e32 v3, v3, v4
	v_add_u32_e32 v3, 0x7fff, v3
	global_store_short_d16_hi v[0:1], v3, off
.LBB38_918:
	s_mov_b64 s[12:13], 0
.LBB38_919:
	s_and_b64 vcc, exec, s[12:13]
	s_cbranch_vccz .LBB38_921
; %bb.920:
	v_cmp_ne_u16_e64 s[6:7], 11, v2
	s_mov_b64 s[8:9], -1
.LBB38_921:
	s_and_b64 vcc, exec, s[6:7]
	s_cbranch_vccnz .LBB38_923
.LBB38_922:
	s_mov_b64 s[6:7], 0
	s_branch .LBB38_840
.LBB38_923:
	s_mov_b64 s[8:9], 0
	s_or_b64 s[4:5], s[4:5], exec
	s_trap 2
	s_branch .LBB38_922
	.section	.rodata,"a",@progbits
	.p2align	6, 0x0
	.amdhsa_kernel _ZN2at6native32elementwise_kernel_manual_unrollILi128ELi4EZNS0_15gpu_kernel_implINS0_11FillFunctorIsEEEEvRNS_18TensorIteratorBaseERKT_EUlibE_EEviT1_
		.amdhsa_group_segment_fixed_size 0
		.amdhsa_private_segment_fixed_size 0
		.amdhsa_kernarg_size 24
		.amdhsa_user_sgpr_count 6
		.amdhsa_user_sgpr_private_segment_buffer 1
		.amdhsa_user_sgpr_dispatch_ptr 0
		.amdhsa_user_sgpr_queue_ptr 0
		.amdhsa_user_sgpr_kernarg_segment_ptr 1
		.amdhsa_user_sgpr_dispatch_id 0
		.amdhsa_user_sgpr_flat_scratch_init 0
		.amdhsa_user_sgpr_kernarg_preload_length 0
		.amdhsa_user_sgpr_kernarg_preload_offset 0
		.amdhsa_user_sgpr_private_segment_size 0
		.amdhsa_uses_dynamic_stack 0
		.amdhsa_system_sgpr_private_segment_wavefront_offset 0
		.amdhsa_system_sgpr_workgroup_id_x 1
		.amdhsa_system_sgpr_workgroup_id_y 0
		.amdhsa_system_sgpr_workgroup_id_z 0
		.amdhsa_system_sgpr_workgroup_info 0
		.amdhsa_system_vgpr_workitem_id 0
		.amdhsa_next_free_vgpr 17
		.amdhsa_next_free_sgpr 62
		.amdhsa_accum_offset 20
		.amdhsa_reserve_vcc 1
		.amdhsa_reserve_flat_scratch 0
		.amdhsa_float_round_mode_32 0
		.amdhsa_float_round_mode_16_64 0
		.amdhsa_float_denorm_mode_32 3
		.amdhsa_float_denorm_mode_16_64 3
		.amdhsa_dx10_clamp 1
		.amdhsa_ieee_mode 1
		.amdhsa_fp16_overflow 0
		.amdhsa_tg_split 0
		.amdhsa_exception_fp_ieee_invalid_op 0
		.amdhsa_exception_fp_denorm_src 0
		.amdhsa_exception_fp_ieee_div_zero 0
		.amdhsa_exception_fp_ieee_overflow 0
		.amdhsa_exception_fp_ieee_underflow 0
		.amdhsa_exception_fp_ieee_inexact 0
		.amdhsa_exception_int_div_zero 0
	.end_amdhsa_kernel
	.section	.text._ZN2at6native32elementwise_kernel_manual_unrollILi128ELi4EZNS0_15gpu_kernel_implINS0_11FillFunctorIsEEEEvRNS_18TensorIteratorBaseERKT_EUlibE_EEviT1_,"axG",@progbits,_ZN2at6native32elementwise_kernel_manual_unrollILi128ELi4EZNS0_15gpu_kernel_implINS0_11FillFunctorIsEEEEvRNS_18TensorIteratorBaseERKT_EUlibE_EEviT1_,comdat
.Lfunc_end38:
	.size	_ZN2at6native32elementwise_kernel_manual_unrollILi128ELi4EZNS0_15gpu_kernel_implINS0_11FillFunctorIsEEEEvRNS_18TensorIteratorBaseERKT_EUlibE_EEviT1_, .Lfunc_end38-_ZN2at6native32elementwise_kernel_manual_unrollILi128ELi4EZNS0_15gpu_kernel_implINS0_11FillFunctorIsEEEEvRNS_18TensorIteratorBaseERKT_EUlibE_EEviT1_
                                        ; -- End function
	.section	.AMDGPU.csdata,"",@progbits
; Kernel info:
; codeLenInByte = 14168
; NumSgprs: 66
; NumVgprs: 17
; NumAgprs: 0
; TotalNumVgprs: 17
; ScratchSize: 0
; MemoryBound: 0
; FloatMode: 240
; IeeeMode: 1
; LDSByteSize: 0 bytes/workgroup (compile time only)
; SGPRBlocks: 8
; VGPRBlocks: 2
; NumSGPRsForWavesPerEU: 66
; NumVGPRsForWavesPerEU: 17
; AccumOffset: 20
; Occupancy: 8
; WaveLimiterHint : 0
; COMPUTE_PGM_RSRC2:SCRATCH_EN: 0
; COMPUTE_PGM_RSRC2:USER_SGPR: 6
; COMPUTE_PGM_RSRC2:TRAP_HANDLER: 0
; COMPUTE_PGM_RSRC2:TGID_X_EN: 1
; COMPUTE_PGM_RSRC2:TGID_Y_EN: 0
; COMPUTE_PGM_RSRC2:TGID_Z_EN: 0
; COMPUTE_PGM_RSRC2:TIDIG_COMP_CNT: 0
; COMPUTE_PGM_RSRC3_GFX90A:ACCUM_OFFSET: 4
; COMPUTE_PGM_RSRC3_GFX90A:TG_SPLIT: 0
	.section	.text._ZN2at6native32elementwise_kernel_manual_unrollILi128ELi4EZNS0_15gpu_kernel_implINS0_11FillFunctorIsEEEEvRNS_18TensorIteratorBaseERKT_EUlibE0_EEviT1_,"axG",@progbits,_ZN2at6native32elementwise_kernel_manual_unrollILi128ELi4EZNS0_15gpu_kernel_implINS0_11FillFunctorIsEEEEvRNS_18TensorIteratorBaseERKT_EUlibE0_EEviT1_,comdat
	.protected	_ZN2at6native32elementwise_kernel_manual_unrollILi128ELi4EZNS0_15gpu_kernel_implINS0_11FillFunctorIsEEEEvRNS_18TensorIteratorBaseERKT_EUlibE0_EEviT1_ ; -- Begin function _ZN2at6native32elementwise_kernel_manual_unrollILi128ELi4EZNS0_15gpu_kernel_implINS0_11FillFunctorIsEEEEvRNS_18TensorIteratorBaseERKT_EUlibE0_EEviT1_
	.globl	_ZN2at6native32elementwise_kernel_manual_unrollILi128ELi4EZNS0_15gpu_kernel_implINS0_11FillFunctorIsEEEEvRNS_18TensorIteratorBaseERKT_EUlibE0_EEviT1_
	.p2align	8
	.type	_ZN2at6native32elementwise_kernel_manual_unrollILi128ELi4EZNS0_15gpu_kernel_implINS0_11FillFunctorIsEEEEvRNS_18TensorIteratorBaseERKT_EUlibE0_EEviT1_,@function
_ZN2at6native32elementwise_kernel_manual_unrollILi128ELi4EZNS0_15gpu_kernel_implINS0_11FillFunctorIsEEEEvRNS_18TensorIteratorBaseERKT_EUlibE0_EEviT1_: ; @_ZN2at6native32elementwise_kernel_manual_unrollILi128ELi4EZNS0_15gpu_kernel_implINS0_11FillFunctorIsEEEEvRNS_18TensorIteratorBaseERKT_EUlibE0_EEviT1_
; %bb.0:
	s_load_dword s94, s[4:5], 0x0
	s_load_dword s33, s[4:5], 0x8
	s_or_b32 s28, s4, 8
	v_lshl_or_b32 v9, s6, 9, v0
	v_or_b32_e32 v8, 0x180, v9
	s_mov_b32 s29, s5
	s_waitcnt lgkmcnt(0)
	s_add_i32 s39, s33, -1
	s_cmp_gt_u32 s39, 1
	v_cmp_le_i32_e32 vcc, s94, v8
	s_cselect_b64 s[34:35], -1, 0
	s_mov_b64 s[30:31], 0
	s_mov_b64 s[6:7], 0
	s_and_saveexec_b64 s[0:1], vcc
	s_xor_b64 s[36:37], exec, s[0:1]
	s_cbranch_execz .LBB39_464
; %bb.1:
	s_load_dwordx2 s[60:61], s[28:29], 0xc4
	s_load_dwordx2 s[58:59], s[28:29], 0x108
	s_load_dword s38, s[28:29], 0x110
	s_cmp_lg_u32 s33, 0
	s_cselect_b64 s[68:69], -1, 0
	s_add_u32 s66, s28, 0xc4
	s_addc_u32 s67, s29, 0
	s_min_u32 s95, s39, 15
	s_cmp_gt_u32 s33, 1
	s_cselect_b64 s[62:63], -1, 0
	s_waitcnt lgkmcnt(0)
	s_and_b32 s1, s38, 0xffff
	s_sext_i32_i16 s84, s1
	s_load_dword s0, s[4:5], 0x118
	v_cvt_f32_i32_e32 v4, s84
	s_bfe_i64 s[40:41], s[38:39], 0x100000
	s_load_dwordx4 s[16:19], s[28:29], 0x4
	s_load_dwordx2 s[64:65], s[28:29], 0x14
	v_cvt_f16_i16_e32 v8, s38
	v_and_b32_e32 v2, 0x400000, v4
	s_waitcnt lgkmcnt(0)
	s_lshr_b32 s93, s0, 16
	v_bfe_u32 v1, v4, 23, 8
	s_movk_i32 s0, 0xff
	v_cmp_ne_u32_e32 vcc, 0, v2
	v_and_b32_e32 v2, 0x3fffff, v4
	v_cmp_eq_u32_e64 s[6:7], s0, v1
	v_or_b32_e32 v1, v1, v2
	v_cmp_ne_u32_e64 s[0:1], 0, v1
	v_readfirstlane_b32 s8, v4
	s_and_b64 s[0:1], vcc, s[0:1]
	s_and_b32 s9, s8, 0x7fffffff
	s_cmp_lt_u32 s9, 0x43800000
	s_cselect_b64 s[54:55], -1, 0
	s_cmp_gt_u32 s9, 0x3bffffff
	v_cndmask_b32_e64 v1, 0, 1, s[0:1]
	s_cselect_b64 s[2:3], -1, 0
	s_bfe_u32 s0, s8, 0x10014
	s_add_i32 s10, s8, s0
	s_add_i32 s0, s10, 0x487ffff
	s_lshr_b32 s92, s0, 20
	s_mov_b32 s0, 0x46000000
	v_add_f32_e64 v14, |v4|, s0
	v_readfirstlane_b32 s0, v14
	s_and_b32 s0, s0, 0xff
	s_cmp_lg_u32 s0, 0
	s_cselect_b64 s[56:57], -1, 0
	s_cmp_gt_u32 s9, 0x477fffff
	s_cselect_b64 s[42:43], -1, 0
	s_cmp_lt_u32 s9, 0x47800000
	s_movk_i32 s0, 0x80
	s_cselect_b64 s[50:51], -1, 0
	s_cmp_gt_u32 s9, 0x37ffffff
	v_and_b32_sdwa v11, v4, s0 dst_sel:DWORD dst_unused:UNUSED_PAD src0_sel:BYTE_3 src1_sel:DWORD
	s_cselect_b64 s[0:1], -1, 0
	s_bfe_u32 s11, s8, 0x10015
	s_add_i32 s8, s8, s11
	s_add_i32 s11, s8, 0x88fffff
	s_lshr_b32 s90, s11, 21
	s_mov_b32 s11, 0x42800000
	v_add_f32_e64 v13, |v4|, s11
	v_readfirstlane_b32 s11, v13
	s_and_b32 s11, s11, 0xff
	s_cmp_lg_u32 s11, 0
	s_cselect_b64 s[52:53], -1, 0
	s_cmp_gt_u32 s9, 0x43efffff
	s_cselect_b64 s[46:47], -1, 0
	s_cmp_lt_u32 s9, 0x3c800000
	s_cselect_b64 s[48:49], -1, 0
	s_add_i32 s10, s10, 0x407ffff
	s_lshr_b32 s11, s10, 20
	s_and_b32 s10, s10, 0xff00000
	s_cmp_lg_u32 s10, 0x7f00000
	s_cselect_b32 s88, s11, 0x7e
	s_cmp_lt_u32 s9, 0x38800000
	s_cselect_b64 s[44:45], -1, 0
	s_add_i32 s8, s8, 0x80fffff
	s_lshr_b32 s85, s8, 21
	v_lshrrev_b32_e32 v0, 23, v4
	s_mov_b32 s10, 0x46800000
	s_cmp_gt_u32 s9, 0x7f800000
	s_movk_i32 s8, 0x7f
	v_add_u32_e32 v15, v0, v1
	v_add_f32_e64 v0, |v4|, s10
	s_cselect_b32 s91, s8, 0x7e
	s_mov_b32 s8, 0x43000000
	v_readfirstlane_b32 s89, v0
	v_add_f32_e64 v0, |v4|, s8
	v_readfirstlane_b32 s86, v0
	v_bfe_u32 v0, v4, 16, 1
	s_movk_i32 s8, 0x7c
	v_add_u32_e32 v0, v4, v0
	s_cselect_b32 s87, 0x7f, s8
	v_add_u32_e32 v0, 0x7fff, v0
	v_cmp_ne_u16_e64 s[8:9], s38, 0
	v_lshrrev_b32_e32 v12, 16, v0
	v_cndmask_b32_e64 v10, 0, 1, s[8:9]
	v_cvt_f64_i32_e32 v[0:1], s84
	v_cmp_gt_i32_e32 vcc, s94, v9
	s_mov_b64 s[10:11], -1
	s_mov_b64 s[76:77], 0
	s_mov_b64 s[70:71], 0
	s_and_saveexec_b64 s[72:73], vcc
	s_cbranch_execz .LBB39_114
; %bb.2:
	s_andn2_b64 vcc, exec, s[34:35]
	s_cbranch_vccnz .LBB39_7
; %bb.3:
	s_andn2_b64 vcc, exec, s[68:69]
	s_cbranch_vccnz .LBB39_8
; %bb.4:
	s_add_i32 s79, s95, 1
	s_mov_b32 s78, 0
	s_cmp_eq_u32 s39, 2
	v_mov_b32_e32 v2, 0
	s_cbranch_scc1 .LBB39_9
; %bb.5:
	s_and_b32 s78, s79, 28
	s_mov_b32 s80, 0
	v_mov_b32_e32 v2, 0
	s_mov_b64 s[70:71], s[28:29]
	s_mov_b64 s[74:75], s[66:67]
	v_mov_b32_e32 v5, v9
.LBB39_6:                               ; =>This Inner Loop Header: Depth=1
	s_load_dwordx8 s[8:15], s[70:71], 0x4
	s_load_dwordx4 s[20:23], s[70:71], 0x24
	s_load_dwordx4 s[24:27], s[74:75], 0x0
	s_add_u32 s70, s70, 48
	s_addc_u32 s71, s71, 0
	s_waitcnt lgkmcnt(0)
	v_mul_hi_u32 v3, s9, v5
	v_add_u32_e32 v3, v5, v3
	v_lshrrev_b32_e32 v3, s10, v3
	v_mul_lo_u32 v6, v3, s8
	v_mul_hi_u32 v7, s12, v3
	v_sub_u32_e32 v5, v5, v6
	v_add_u32_e32 v6, v3, v7
	v_lshrrev_b32_e32 v6, s13, v6
	v_mul_lo_u32 v7, v6, s11
	v_mul_hi_u32 v16, s15, v6
	v_sub_u32_e32 v3, v3, v7
	v_add_u32_e32 v7, v6, v16
	v_mul_lo_u32 v5, v5, s24
	v_mul_lo_u32 v3, v3, s25
	v_lshrrev_b32_e32 v7, s20, v7
	v_add3_u32 v2, v5, v2, v3
	v_mul_hi_u32 v5, s22, v7
	v_add_u32_e32 v5, v7, v5
	v_mul_lo_u32 v3, v7, s14
	v_lshrrev_b32_e32 v5, s23, v5
	s_add_i32 s80, s80, 4
	v_sub_u32_e32 v3, v6, v3
	v_mul_lo_u32 v6, v5, s21
	s_add_u32 s74, s74, 16
	v_sub_u32_e32 v6, v7, v6
	s_addc_u32 s75, s75, 0
	v_mul_lo_u32 v3, v3, s26
	v_mul_lo_u32 v6, v6, s27
	s_cmp_lg_u32 s78, s80
	v_add3_u32 v2, v3, v2, v6
	s_cbranch_scc1 .LBB39_6
	s_branch .LBB39_10
.LBB39_7:
                                        ; implicit-def: $vgpr2
	s_branch .LBB39_14
.LBB39_8:
	v_mov_b32_e32 v2, 0
	s_branch .LBB39_13
.LBB39_9:
	v_mov_b32_e32 v5, v9
.LBB39_10:
	s_and_b32 s12, s79, 3
	s_cmp_eq_u32 s12, 0
	s_cbranch_scc1 .LBB39_13
; %bb.11:
	s_lshl_b32 s8, s78, 2
	s_add_u32 s8, s8, s28
	s_addc_u32 s9, s29, 0
	s_add_u32 s8, s8, 0xc4
	s_addc_u32 s9, s9, 0
	s_mul_i32 s10, s78, 12
	s_add_u32 s10, s28, s10
	s_addc_u32 s11, s29, 0
.LBB39_12:                              ; =>This Inner Loop Header: Depth=1
	s_load_dwordx2 s[14:15], s[10:11], 0x4
	s_load_dword s13, s[10:11], 0xc
	s_load_dword s20, s[8:9], 0x0
	s_add_u32 s10, s10, 12
	s_addc_u32 s11, s11, 0
	s_waitcnt lgkmcnt(0)
	v_mul_hi_u32 v3, s15, v5
	v_add_u32_e32 v3, v5, v3
	v_lshrrev_b32_e32 v3, s13, v3
	s_add_u32 s8, s8, 4
	v_mul_lo_u32 v6, v3, s14
	s_addc_u32 s9, s9, 0
	s_add_i32 s12, s12, -1
	v_sub_u32_e32 v6, v5, v6
	s_cmp_lg_u32 s12, 0
	v_mov_b32_e32 v5, v3
	v_mad_u64_u32 v[2:3], s[14:15], v6, s20, v[2:3]
	s_cbranch_scc1 .LBB39_12
.LBB39_13:
	s_cbranch_execnz .LBB39_16
.LBB39_14:
	v_mul_hi_u32 v2, s17, v9
	v_add_u32_e32 v2, v9, v2
	v_lshrrev_b32_e32 v3, s18, v2
	v_mul_lo_u32 v2, v3, s16
	v_sub_u32_e32 v2, v9, v2
	s_andn2_b64 vcc, exec, s[62:63]
	v_mul_lo_u32 v2, v2, s60
	s_cbranch_vccnz .LBB39_16
; %bb.15:
	v_mul_hi_u32 v5, s64, v3
	v_add_u32_e32 v5, v3, v5
	v_lshrrev_b32_e32 v5, s65, v5
	v_mul_lo_u32 v5, v5, s19
	v_sub_u32_e32 v3, v3, v5
	v_mad_u64_u32 v[2:3], s[8:9], v3, s61, v[2:3]
.LBB39_16:
	v_mov_b32_e32 v3, s59
	v_add_co_u32_e32 v6, vcc, s58, v2
	v_mov_b32_e32 v2, 11
	v_addc_co_u32_e32 v7, vcc, 0, v3, vcc
	v_cmp_lt_i16_sdwa s[8:9], s93, v2 src0_sel:BYTE_0 src1_sel:DWORD
	s_and_b64 vcc, exec, s[8:9]
	s_cbranch_vccnz .LBB39_23
; %bb.17:
	v_mov_b32_e32 v2, 25
	v_cmp_gt_i16_sdwa s[8:9], s93, v2 src0_sel:BYTE_0 src1_sel:DWORD
	s_and_b64 vcc, exec, s[8:9]
	s_cbranch_vccz .LBB39_26
; %bb.18:
	v_mov_b32_e32 v2, 28
	v_cmp_gt_i16_sdwa s[8:9], s93, v2 src0_sel:BYTE_0 src1_sel:DWORD
	s_and_b64 vcc, exec, s[8:9]
	s_cbranch_vccz .LBB39_27
	;; [unrolled: 5-line block ×4, first 2 shown]
; %bb.21:
	v_mov_b32_e32 v2, 46
	v_cmp_eq_u16_sdwa s[10:11], s93, v2 src0_sel:BYTE_0 src1_sel:DWORD
	s_mov_b64 s[12:13], 0
	s_mov_b64 s[8:9], -1
	s_and_b64 vcc, exec, s[10:11]
	s_mov_b64 s[10:11], 0
	s_cbranch_vccz .LBB39_30
; %bb.22:
	global_store_dword v[6:7], v12, off
	s_mov_b64 s[10:11], -1
	s_mov_b64 s[8:9], 0
	s_branch .LBB39_30
.LBB39_23:
	s_mov_b64 s[8:9], 0
	s_mov_b64 s[10:11], 0
	s_cbranch_execnz .LBB39_74
.LBB39_24:
	s_andn2_b64 vcc, exec, s[10:11]
	s_cbranch_vccnz .LBB39_112
.LBB39_25:
	v_add_u32_e32 v9, 0x80, v9
	s_mov_b64 s[10:11], -1
	s_branch .LBB39_113
.LBB39_26:
	s_mov_b64 s[8:9], 0
	s_mov_b64 s[10:11], 0
	s_cbranch_execnz .LBB39_52
	s_branch .LBB39_73
.LBB39_27:
	s_mov_b64 s[12:13], -1
	s_mov_b64 s[8:9], 0
	s_mov_b64 s[10:11], 0
	s_branch .LBB39_38
.LBB39_28:
	s_mov_b64 s[12:13], -1
	s_mov_b64 s[8:9], 0
	s_mov_b64 s[10:11], 0
	s_branch .LBB39_34
.LBB39_29:
	s_mov_b64 s[12:13], -1
	s_mov_b64 s[8:9], 0
	s_mov_b64 s[10:11], 0
.LBB39_30:
	s_and_b64 vcc, exec, s[12:13]
	s_cbranch_vccz .LBB39_33
; %bb.31:
	v_mov_b32_e32 v2, 44
	v_cmp_eq_u16_sdwa s[12:13], s93, v2 src0_sel:BYTE_0 src1_sel:DWORD
	s_mov_b64 s[8:9], -1
	s_and_b64 vcc, exec, s[12:13]
	s_cbranch_vccz .LBB39_33
; %bb.32:
	v_mov_b32_e32 v2, 0xff
	v_cndmask_b32_e64 v2, v15, v2, s[6:7]
	global_store_byte v[6:7], v2, off
	s_mov_b64 s[10:11], -1
	s_mov_b64 s[8:9], 0
.LBB39_33:
	s_mov_b64 s[12:13], 0
.LBB39_34:
	s_and_b64 vcc, exec, s[12:13]
	s_cbranch_vccz .LBB39_37
; %bb.35:
	v_mov_b32_e32 v2, 29
	v_cmp_eq_u16_sdwa s[12:13], s93, v2 src0_sel:BYTE_0 src1_sel:DWORD
	s_mov_b64 s[8:9], -1
	s_and_b64 vcc, exec, s[12:13]
	s_cbranch_vccz .LBB39_37
; %bb.36:
	v_pk_mov_b32 v[2:3], s[40:41], s[40:41] op_sel:[0,1]
	global_store_dwordx2 v[6:7], v[2:3], off
	s_mov_b64 s[10:11], -1
	s_mov_b64 s[8:9], 0
.LBB39_37:
	s_mov_b64 s[12:13], 0
.LBB39_38:
	s_and_b64 vcc, exec, s[12:13]
	s_cbranch_vccz .LBB39_51
; %bb.39:
	v_mov_b32_e32 v2, 27
	v_cmp_lt_i16_sdwa s[12:13], s93, v2 src0_sel:BYTE_0 src1_sel:DWORD
	s_mov_b64 s[10:11], -1
	s_and_b64 vcc, exec, s[12:13]
	s_cbranch_vccnz .LBB39_45
; %bb.40:
	v_cmp_gt_i16_sdwa s[12:13], s93, v2 src0_sel:BYTE_0 src1_sel:DWORD
	s_and_b64 vcc, exec, s[12:13]
	s_cbranch_vccz .LBB39_42
; %bb.41:
	v_mov_b32_e32 v2, s84
	s_mov_b64 s[10:11], 0
	global_store_dword v[6:7], v2, off
.LBB39_42:
	s_andn2_b64 vcc, exec, s[10:11]
	s_cbranch_vccnz .LBB39_44
; %bb.43:
	v_mov_b32_e32 v2, s38
	global_store_short v[6:7], v2, off
.LBB39_44:
	s_mov_b64 s[10:11], 0
.LBB39_45:
	s_andn2_b64 vcc, exec, s[10:11]
	s_cbranch_vccnz .LBB39_50
; %bb.46:
	s_andn2_b64 vcc, exec, s[54:55]
	v_mov_b32_e32 v2, 0x80
	s_cbranch_vccnz .LBB39_49
; %bb.47:
	s_or_b64 s[10:11], s[2:3], s[56:57]
	s_andn2_b64 vcc, exec, s[10:11]
	v_mov_b32_e32 v2, 0
	s_cbranch_vccnz .LBB39_49
; %bb.48:
	v_mov_b32_e32 v2, s92
	v_cndmask_b32_e64 v2, v14, v2, s[2:3]
	v_or_b32_e32 v2, v2, v11
.LBB39_49:
	global_store_byte v[6:7], v2, off
.LBB39_50:
	s_mov_b64 s[10:11], -1
.LBB39_51:
	s_branch .LBB39_73
.LBB39_52:
	v_mov_b32_e32 v2, 22
	v_cmp_gt_i16_sdwa s[14:15], s93, v2 src0_sel:BYTE_0 src1_sel:DWORD
	s_mov_b64 s[12:13], -1
	s_and_b64 vcc, exec, s[14:15]
	s_cbranch_vccz .LBB39_65
; %bb.53:
	v_mov_b32_e32 v2, 24
	v_cmp_lt_i16_sdwa s[12:13], s93, v2 src0_sel:BYTE_0 src1_sel:DWORD
	s_mov_b64 s[10:11], -1
	s_and_b64 vcc, exec, s[12:13]
	s_cbranch_vccnz .LBB39_62
; %bb.54:
	v_cmp_gt_i16_sdwa s[12:13], s93, v2 src0_sel:BYTE_0 src1_sel:DWORD
	s_and_b64 vcc, exec, s[12:13]
	s_cbranch_vccz .LBB39_59
; %bb.55:
	s_andn2_b64 vcc, exec, s[50:51]
	v_mov_b32_e32 v2, 0x80
	s_cbranch_vccnz .LBB39_58
; %bb.56:
	s_or_b64 s[10:11], s[0:1], s[52:53]
	s_andn2_b64 vcc, exec, s[10:11]
	v_mov_b32_e32 v2, 0
	s_cbranch_vccnz .LBB39_58
; %bb.57:
	v_mov_b32_e32 v2, s90
	v_cndmask_b32_e64 v2, v13, v2, s[0:1]
	v_or_b32_e32 v2, v2, v11
.LBB39_58:
	s_mov_b64 s[10:11], 0
	global_store_byte v[6:7], v2, off
.LBB39_59:
	s_and_b64 vcc, exec, s[10:11]
	s_cbranch_vccz .LBB39_61
; %bb.60:
	s_and_b64 s[10:11], s[48:49], exec
	s_cselect_b32 s12, s89, s88
	s_and_b64 s[10:11], s[46:47], exec
	s_cselect_b32 s10, s91, s12
	v_or_b32_e32 v2, s10, v11
	global_store_byte v[6:7], v2, off
.LBB39_61:
	s_mov_b64 s[10:11], 0
.LBB39_62:
	s_andn2_b64 vcc, exec, s[10:11]
	s_cbranch_vccnz .LBB39_64
; %bb.63:
	s_and_b64 s[10:11], s[44:45], exec
	s_cselect_b32 s12, s86, s85
	s_and_b64 s[10:11], s[42:43], exec
	s_cselect_b32 s10, s87, s12
	v_or_b32_e32 v2, s10, v11
	global_store_byte v[6:7], v2, off
.LBB39_64:
	s_mov_b64 s[12:13], 0
	s_mov_b64 s[10:11], -1
.LBB39_65:
	s_andn2_b64 vcc, exec, s[12:13]
	s_cbranch_vccnz .LBB39_73
; %bb.66:
	v_mov_b32_e32 v2, 14
	v_cmp_gt_i16_sdwa s[14:15], s93, v2 src0_sel:BYTE_0 src1_sel:DWORD
	s_mov_b64 s[12:13], -1
	s_and_b64 vcc, exec, s[14:15]
	s_cbranch_vccz .LBB39_70
; %bb.67:
	v_mov_b32_e32 v2, 15
	v_cmp_eq_u16_sdwa s[12:13], s93, v2 src0_sel:BYTE_0 src1_sel:DWORD
	s_mov_b64 s[8:9], -1
	s_and_b64 vcc, exec, s[12:13]
	s_cbranch_vccz .LBB39_69
; %bb.68:
	global_store_short v[6:7], v12, off
	s_mov_b64 s[10:11], -1
	s_mov_b64 s[8:9], 0
.LBB39_69:
	s_mov_b64 s[12:13], 0
.LBB39_70:
	s_and_b64 vcc, exec, s[12:13]
	s_cbranch_vccz .LBB39_73
; %bb.71:
	v_mov_b32_e32 v2, 11
	v_cmp_eq_u16_sdwa s[12:13], s93, v2 src0_sel:BYTE_0 src1_sel:DWORD
	s_mov_b64 s[8:9], -1
	s_and_b64 vcc, exec, s[12:13]
	s_cbranch_vccz .LBB39_73
; %bb.72:
	s_mov_b64 s[10:11], -1
	s_mov_b64 s[8:9], 0
	global_store_byte v[6:7], v10, off
.LBB39_73:
	s_branch .LBB39_24
.LBB39_74:
	v_mov_b32_e32 v2, 5
	v_cmp_lt_i16_sdwa s[12:13], s93, v2 src0_sel:BYTE_0 src1_sel:DWORD
	s_mov_b64 s[10:11], -1
	s_and_b64 vcc, exec, s[12:13]
	s_cbranch_vccnz .LBB39_95
; %bb.75:
	v_mov_b32_e32 v2, 8
	v_cmp_lt_i16_sdwa s[12:13], s93, v2 src0_sel:BYTE_0 src1_sel:DWORD
	s_and_b64 vcc, exec, s[12:13]
	s_cbranch_vccnz .LBB39_85
; %bb.76:
	v_mov_b32_e32 v2, 9
	v_cmp_lt_i16_sdwa s[12:13], s93, v2 src0_sel:BYTE_0 src1_sel:DWORD
	s_and_b64 vcc, exec, s[12:13]
	s_cbranch_vccnz .LBB39_82
; %bb.77:
	v_cmp_gt_i16_sdwa s[12:13], s93, v2 src0_sel:BYTE_0 src1_sel:DWORD
	s_and_b64 vcc, exec, s[12:13]
	s_cbranch_vccz .LBB39_79
; %bb.78:
	v_mov_b32_e32 v2, 0
	v_mov_b32_e32 v3, v2
	global_store_dwordx4 v[6:7], v[0:3], off
	s_mov_b64 s[10:11], 0
.LBB39_79:
	s_andn2_b64 vcc, exec, s[10:11]
	s_cbranch_vccnz .LBB39_81
; %bb.80:
	v_mov_b32_e32 v5, 0
	global_store_dwordx2 v[6:7], v[4:5], off
.LBB39_81:
	s_mov_b64 s[10:11], 0
.LBB39_82:
	s_andn2_b64 vcc, exec, s[10:11]
	s_cbranch_vccnz .LBB39_84
; %bb.83:
	global_store_dword v[6:7], v8, off
.LBB39_84:
	s_mov_b64 s[10:11], 0
.LBB39_85:
	s_andn2_b64 vcc, exec, s[10:11]
	s_cbranch_vccnz .LBB39_94
; %bb.86:
	v_mov_b32_e32 v2, 6
	v_cmp_lt_i16_sdwa s[12:13], s93, v2 src0_sel:BYTE_0 src1_sel:DWORD
	s_mov_b64 s[10:11], -1
	s_and_b64 vcc, exec, s[12:13]
	s_cbranch_vccnz .LBB39_92
; %bb.87:
	v_cmp_gt_i16_sdwa s[12:13], s93, v2 src0_sel:BYTE_0 src1_sel:DWORD
	s_and_b64 vcc, exec, s[12:13]
	s_cbranch_vccz .LBB39_89
; %bb.88:
	global_store_dwordx2 v[6:7], v[0:1], off
	s_mov_b64 s[10:11], 0
.LBB39_89:
	s_andn2_b64 vcc, exec, s[10:11]
	s_cbranch_vccnz .LBB39_91
; %bb.90:
	global_store_dword v[6:7], v4, off
.LBB39_91:
	s_mov_b64 s[10:11], 0
.LBB39_92:
	s_andn2_b64 vcc, exec, s[10:11]
	s_cbranch_vccnz .LBB39_94
; %bb.93:
	global_store_short v[6:7], v8, off
.LBB39_94:
	s_mov_b64 s[10:11], 0
.LBB39_95:
	s_andn2_b64 vcc, exec, s[10:11]
	s_cbranch_vccnz .LBB39_111
; %bb.96:
	v_mov_b32_e32 v2, 2
	v_cmp_lt_i16_sdwa s[12:13], s93, v2 src0_sel:BYTE_0 src1_sel:DWORD
	s_mov_b64 s[10:11], -1
	s_and_b64 vcc, exec, s[12:13]
	s_cbranch_vccnz .LBB39_106
; %bb.97:
	v_mov_b32_e32 v2, 3
	v_cmp_lt_i16_sdwa s[12:13], s93, v2 src0_sel:BYTE_0 src1_sel:DWORD
	s_and_b64 vcc, exec, s[12:13]
	s_cbranch_vccnz .LBB39_103
; %bb.98:
	v_cmp_gt_i16_sdwa s[12:13], s93, v2 src0_sel:BYTE_0 src1_sel:DWORD
	s_and_b64 vcc, exec, s[12:13]
	s_cbranch_vccz .LBB39_100
; %bb.99:
	v_pk_mov_b32 v[2:3], s[40:41], s[40:41] op_sel:[0,1]
	global_store_dwordx2 v[6:7], v[2:3], off
	s_mov_b64 s[10:11], 0
.LBB39_100:
	s_andn2_b64 vcc, exec, s[10:11]
	s_cbranch_vccnz .LBB39_102
; %bb.101:
	v_mov_b32_e32 v2, s84
	global_store_dword v[6:7], v2, off
.LBB39_102:
	s_mov_b64 s[10:11], 0
.LBB39_103:
	s_andn2_b64 vcc, exec, s[10:11]
	s_cbranch_vccnz .LBB39_105
; %bb.104:
	v_mov_b32_e32 v2, s38
	global_store_short v[6:7], v2, off
.LBB39_105:
	s_mov_b64 s[10:11], 0
.LBB39_106:
	s_andn2_b64 vcc, exec, s[10:11]
	s_cbranch_vccnz .LBB39_111
; %bb.107:
	v_mov_b32_e32 v2, 0
	v_cmp_gt_i16_sdwa s[12:13], s93, v2 src0_sel:BYTE_0 src1_sel:DWORD
	s_mov_b64 s[10:11], -1
	s_and_b64 vcc, exec, s[12:13]
	s_cbranch_vccz .LBB39_109
; %bb.108:
	v_mov_b32_e32 v2, s38
	global_store_byte v[6:7], v2, off
	s_mov_b64 s[10:11], 0
.LBB39_109:
	s_andn2_b64 vcc, exec, s[10:11]
	s_cbranch_vccnz .LBB39_111
; %bb.110:
	v_mov_b32_e32 v2, s38
	global_store_byte v[6:7], v2, off
.LBB39_111:
	s_branch .LBB39_25
.LBB39_112:
	s_mov_b64 s[10:11], 0
                                        ; implicit-def: $vgpr9
.LBB39_113:
	s_and_b64 s[70:71], s[8:9], exec
	s_orn2_b64 s[10:11], s[10:11], exec
.LBB39_114:
	s_or_b64 exec, exec, s[72:73]
	s_mov_b64 s[8:9], 0
                                        ; implicit-def: $vgpr16
                                        ; implicit-def: $vgpr6_vgpr7
	s_and_saveexec_b64 s[72:73], s[10:11]
	s_cbranch_execz .LBB39_121
; %bb.115:
	v_cmp_gt_i32_e32 vcc, s94, v9
	s_mov_b64 s[8:9], -1
	s_mov_b64 s[74:75], s[70:71]
	s_and_saveexec_b64 s[76:77], vcc
	s_cbranch_execz .LBB39_232
; %bb.116:
	s_andn2_b64 vcc, exec, s[34:35]
	s_cbranch_vccnz .LBB39_124
; %bb.117:
	s_andn2_b64 vcc, exec, s[68:69]
	s_cbranch_vccnz .LBB39_125
; %bb.118:
	s_add_i32 s81, s95, 1
	s_mov_b32 s80, 0
	s_cmp_eq_u32 s39, 2
	v_mov_b32_e32 v2, 0
	s_cbranch_scc1 .LBB39_126
; %bb.119:
	s_and_b32 s80, s81, 28
	s_mov_b32 s82, 0
	v_mov_b32_e32 v2, 0
	s_mov_b64 s[74:75], s[28:29]
	s_mov_b64 s[78:79], s[66:67]
	v_mov_b32_e32 v5, v9
.LBB39_120:                             ; =>This Inner Loop Header: Depth=1
	s_load_dwordx8 s[8:15], s[74:75], 0x4
	s_load_dwordx4 s[20:23], s[74:75], 0x24
	s_load_dwordx4 s[24:27], s[78:79], 0x0
	s_add_u32 s74, s74, 48
	s_addc_u32 s75, s75, 0
	s_waitcnt lgkmcnt(0)
	v_mul_hi_u32 v3, s9, v5
	v_add_u32_e32 v3, v5, v3
	v_lshrrev_b32_e32 v3, s10, v3
	v_mul_lo_u32 v6, v3, s8
	v_mul_hi_u32 v7, s12, v3
	v_sub_u32_e32 v5, v5, v6
	v_add_u32_e32 v6, v3, v7
	v_lshrrev_b32_e32 v6, s13, v6
	v_mul_lo_u32 v7, v6, s11
	v_mul_hi_u32 v16, s15, v6
	v_sub_u32_e32 v3, v3, v7
	v_add_u32_e32 v7, v6, v16
	v_mul_lo_u32 v5, v5, s24
	v_mul_lo_u32 v3, v3, s25
	v_lshrrev_b32_e32 v7, s20, v7
	v_add3_u32 v2, v5, v2, v3
	v_mul_hi_u32 v5, s22, v7
	v_add_u32_e32 v5, v7, v5
	v_mul_lo_u32 v3, v7, s14
	v_lshrrev_b32_e32 v5, s23, v5
	s_add_i32 s82, s82, 4
	v_sub_u32_e32 v3, v6, v3
	v_mul_lo_u32 v6, v5, s21
	s_add_u32 s78, s78, 16
	v_sub_u32_e32 v6, v7, v6
	s_addc_u32 s79, s79, 0
	v_mul_lo_u32 v3, v3, s26
	v_mul_lo_u32 v6, v6, s27
	s_cmp_eq_u32 s80, s82
	v_add3_u32 v2, v3, v2, v6
	s_cbranch_scc0 .LBB39_120
	s_branch .LBB39_127
.LBB39_121:
	s_or_b64 exec, exec, s[72:73]
	s_mov_b64 s[0:1], 0
	s_and_saveexec_b64 s[2:3], s[70:71]
	s_cbranch_execnz .LBB39_424
.LBB39_122:
	s_or_b64 exec, exec, s[2:3]
	s_and_saveexec_b64 s[2:3], s[76:77]
	s_xor_b64 s[2:3], exec, s[2:3]
	s_cbranch_execz .LBB39_425
.LBB39_123:
	global_store_byte v[6:7], v10, off
	s_or_b64 exec, exec, s[2:3]
	s_and_saveexec_b64 s[2:3], s[8:9]
	s_xor_b64 s[2:3], exec, s[2:3]
	s_cbranch_execz .LBB39_463
	s_branch .LBB39_426
.LBB39_124:
                                        ; implicit-def: $vgpr2
	s_andn2_b64 vcc, exec, s[8:9]
	s_cbranch_vccz .LBB39_131
	s_branch .LBB39_133
.LBB39_125:
	v_mov_b32_e32 v2, 0
	s_branch .LBB39_130
.LBB39_126:
	v_mov_b32_e32 v5, v9
.LBB39_127:
	s_and_b32 s12, s81, 3
	s_cmp_eq_u32 s12, 0
	s_cbranch_scc1 .LBB39_130
; %bb.128:
	s_lshl_b32 s8, s80, 2
	s_add_u32 s8, s8, s28
	s_addc_u32 s9, s29, 0
	s_add_u32 s8, s8, 0xc4
	s_addc_u32 s9, s9, 0
	s_mul_i32 s10, s80, 12
	s_add_u32 s10, s28, s10
	s_addc_u32 s11, s29, 0
.LBB39_129:                             ; =>This Inner Loop Header: Depth=1
	s_load_dwordx2 s[14:15], s[10:11], 0x4
	s_load_dword s13, s[10:11], 0xc
	s_load_dword s20, s[8:9], 0x0
	s_add_u32 s10, s10, 12
	s_addc_u32 s11, s11, 0
	s_waitcnt lgkmcnt(0)
	v_mul_hi_u32 v3, s15, v5
	v_add_u32_e32 v3, v5, v3
	v_lshrrev_b32_e32 v3, s13, v3
	s_add_u32 s8, s8, 4
	v_mul_lo_u32 v6, v3, s14
	s_addc_u32 s9, s9, 0
	s_add_i32 s12, s12, -1
	v_sub_u32_e32 v6, v5, v6
	s_cmp_lg_u32 s12, 0
	v_mov_b32_e32 v5, v3
	v_mad_u64_u32 v[2:3], s[14:15], v6, s20, v[2:3]
	s_cbranch_scc1 .LBB39_129
.LBB39_130:
	s_cbranch_execnz .LBB39_133
.LBB39_131:
	v_mul_hi_u32 v2, s17, v9
	v_add_u32_e32 v2, v9, v2
	v_lshrrev_b32_e32 v3, s18, v2
	v_mul_lo_u32 v2, v3, s16
	v_sub_u32_e32 v2, v9, v2
	s_andn2_b64 vcc, exec, s[62:63]
	v_mul_lo_u32 v2, v2, s60
	s_cbranch_vccnz .LBB39_133
; %bb.132:
	v_mul_hi_u32 v5, s64, v3
	v_add_u32_e32 v5, v3, v5
	v_lshrrev_b32_e32 v5, s65, v5
	v_mul_lo_u32 v5, v5, s19
	v_sub_u32_e32 v3, v3, v5
	v_mad_u64_u32 v[2:3], s[8:9], v3, s61, v[2:3]
.LBB39_133:
	v_mov_b32_e32 v3, s59
	v_add_co_u32_e32 v6, vcc, s58, v2
	v_mov_b32_e32 v2, 11
	v_addc_co_u32_e32 v7, vcc, 0, v3, vcc
	v_cmp_lt_i16_sdwa s[8:9], s93, v2 src0_sel:BYTE_0 src1_sel:DWORD
	s_and_b64 vcc, exec, s[8:9]
	s_cbranch_vccnz .LBB39_140
; %bb.134:
	v_mov_b32_e32 v2, 25
	v_cmp_gt_i16_sdwa s[8:9], s93, v2 src0_sel:BYTE_0 src1_sel:DWORD
	s_and_b64 vcc, exec, s[8:9]
	s_cbranch_vccz .LBB39_143
; %bb.135:
	v_mov_b32_e32 v2, 28
	v_cmp_gt_i16_sdwa s[8:9], s93, v2 src0_sel:BYTE_0 src1_sel:DWORD
	s_and_b64 vcc, exec, s[8:9]
	s_cbranch_vccz .LBB39_144
	;; [unrolled: 5-line block ×4, first 2 shown]
; %bb.138:
	v_mov_b32_e32 v2, 46
	v_cmp_eq_u16_sdwa s[10:11], s93, v2 src0_sel:BYTE_0 src1_sel:DWORD
	s_mov_b64 s[12:13], 0
	s_mov_b64 s[8:9], -1
	s_and_b64 vcc, exec, s[10:11]
	s_mov_b64 s[10:11], 0
	s_cbranch_vccz .LBB39_147
; %bb.139:
	global_store_dword v[6:7], v12, off
	s_mov_b64 s[10:11], -1
	s_mov_b64 s[8:9], 0
	s_branch .LBB39_147
.LBB39_140:
	s_mov_b64 s[10:11], 0
	s_mov_b64 s[8:9], s[70:71]
	s_cbranch_execnz .LBB39_192
.LBB39_141:
	s_andn2_b64 vcc, exec, s[10:11]
	s_cbranch_vccnz .LBB39_230
.LBB39_142:
	v_add_u32_e32 v9, 0x80, v9
	s_mov_b64 s[10:11], -1
	s_branch .LBB39_231
.LBB39_143:
	s_mov_b64 s[12:13], -1
	s_mov_b64 s[10:11], 0
	s_mov_b64 s[8:9], s[70:71]
	s_branch .LBB39_169
.LBB39_144:
	s_mov_b64 s[12:13], -1
	s_mov_b64 s[10:11], 0
	s_mov_b64 s[8:9], s[70:71]
	s_branch .LBB39_155
.LBB39_145:
	s_mov_b64 s[12:13], -1
	s_mov_b64 s[10:11], 0
	s_mov_b64 s[8:9], s[70:71]
	s_branch .LBB39_151
.LBB39_146:
	s_mov_b64 s[12:13], -1
	s_mov_b64 s[10:11], 0
	s_mov_b64 s[8:9], s[70:71]
.LBB39_147:
	s_and_b64 vcc, exec, s[12:13]
	s_cbranch_vccz .LBB39_150
; %bb.148:
	v_mov_b32_e32 v2, 44
	v_cmp_eq_u16_sdwa s[12:13], s93, v2 src0_sel:BYTE_0 src1_sel:DWORD
	s_mov_b64 s[8:9], -1
	s_and_b64 vcc, exec, s[12:13]
	s_cbranch_vccz .LBB39_150
; %bb.149:
	v_mov_b32_e32 v2, 0xff
	v_cndmask_b32_e64 v2, v15, v2, s[6:7]
	s_mov_b64 s[10:11], -1
	s_mov_b64 s[8:9], 0
	global_store_byte v[6:7], v2, off
.LBB39_150:
	s_mov_b64 s[12:13], 0
.LBB39_151:
	s_and_b64 vcc, exec, s[12:13]
	s_cbranch_vccz .LBB39_154
; %bb.152:
	v_mov_b32_e32 v2, 29
	v_cmp_eq_u16_sdwa s[12:13], s93, v2 src0_sel:BYTE_0 src1_sel:DWORD
	s_mov_b64 s[8:9], -1
	s_and_b64 vcc, exec, s[12:13]
	s_cbranch_vccz .LBB39_154
; %bb.153:
	v_pk_mov_b32 v[2:3], s[40:41], s[40:41] op_sel:[0,1]
	global_store_dwordx2 v[6:7], v[2:3], off
	s_mov_b64 s[10:11], -1
	s_mov_b64 s[8:9], 0
.LBB39_154:
	s_mov_b64 s[12:13], 0
.LBB39_155:
	s_and_b64 vcc, exec, s[12:13]
	s_cbranch_vccz .LBB39_168
; %bb.156:
	v_mov_b32_e32 v2, 27
	v_cmp_lt_i16_sdwa s[12:13], s93, v2 src0_sel:BYTE_0 src1_sel:DWORD
	s_mov_b64 s[10:11], -1
	s_and_b64 vcc, exec, s[12:13]
	s_cbranch_vccnz .LBB39_162
; %bb.157:
	v_cmp_gt_i16_sdwa s[12:13], s93, v2 src0_sel:BYTE_0 src1_sel:DWORD
	s_and_b64 vcc, exec, s[12:13]
	s_cbranch_vccz .LBB39_159
; %bb.158:
	v_mov_b32_e32 v2, s84
	s_mov_b64 s[10:11], 0
	global_store_dword v[6:7], v2, off
.LBB39_159:
	s_andn2_b64 vcc, exec, s[10:11]
	s_cbranch_vccnz .LBB39_161
; %bb.160:
	v_mov_b32_e32 v2, s38
	global_store_short v[6:7], v2, off
.LBB39_161:
	s_mov_b64 s[10:11], 0
.LBB39_162:
	s_andn2_b64 vcc, exec, s[10:11]
	s_cbranch_vccnz .LBB39_167
; %bb.163:
	s_andn2_b64 vcc, exec, s[54:55]
	v_mov_b32_e32 v2, 0x80
	s_cbranch_vccnz .LBB39_166
; %bb.164:
	s_or_b64 s[10:11], s[2:3], s[56:57]
	s_andn2_b64 vcc, exec, s[10:11]
	v_mov_b32_e32 v2, 0
	s_cbranch_vccnz .LBB39_166
; %bb.165:
	v_mov_b32_e32 v2, s92
	v_cndmask_b32_e64 v2, v14, v2, s[2:3]
	v_or_b32_e32 v2, v2, v11
.LBB39_166:
	global_store_byte v[6:7], v2, off
.LBB39_167:
	s_mov_b64 s[10:11], -1
.LBB39_168:
	s_mov_b64 s[12:13], 0
.LBB39_169:
	s_and_b64 vcc, exec, s[12:13]
	s_cbranch_vccz .LBB39_191
; %bb.170:
	v_mov_b32_e32 v2, 22
	v_cmp_gt_i16_sdwa s[14:15], s93, v2 src0_sel:BYTE_0 src1_sel:DWORD
	s_mov_b64 s[12:13], -1
	s_and_b64 vcc, exec, s[14:15]
	s_cbranch_vccz .LBB39_183
; %bb.171:
	v_mov_b32_e32 v2, 24
	v_cmp_lt_i16_sdwa s[12:13], s93, v2 src0_sel:BYTE_0 src1_sel:DWORD
	s_mov_b64 s[10:11], -1
	s_and_b64 vcc, exec, s[12:13]
	s_cbranch_vccnz .LBB39_180
; %bb.172:
	v_cmp_gt_i16_sdwa s[12:13], s93, v2 src0_sel:BYTE_0 src1_sel:DWORD
	s_and_b64 vcc, exec, s[12:13]
	s_cbranch_vccz .LBB39_177
; %bb.173:
	s_andn2_b64 vcc, exec, s[50:51]
	v_mov_b32_e32 v2, 0x80
	s_cbranch_vccnz .LBB39_176
; %bb.174:
	s_or_b64 s[10:11], s[0:1], s[52:53]
	s_andn2_b64 vcc, exec, s[10:11]
	v_mov_b32_e32 v2, 0
	s_cbranch_vccnz .LBB39_176
; %bb.175:
	v_mov_b32_e32 v2, s90
	v_cndmask_b32_e64 v2, v13, v2, s[0:1]
	v_or_b32_e32 v2, v2, v11
.LBB39_176:
	s_mov_b64 s[10:11], 0
	global_store_byte v[6:7], v2, off
.LBB39_177:
	s_and_b64 vcc, exec, s[10:11]
	s_cbranch_vccz .LBB39_179
; %bb.178:
	s_and_b64 s[10:11], s[48:49], exec
	s_cselect_b32 s12, s89, s88
	s_and_b64 s[10:11], s[46:47], exec
	s_cselect_b32 s10, s91, s12
	v_or_b32_e32 v2, s10, v11
	global_store_byte v[6:7], v2, off
.LBB39_179:
	s_mov_b64 s[10:11], 0
.LBB39_180:
	s_andn2_b64 vcc, exec, s[10:11]
	s_cbranch_vccnz .LBB39_182
; %bb.181:
	s_and_b64 s[10:11], s[44:45], exec
	s_cselect_b32 s12, s86, s85
	s_and_b64 s[10:11], s[42:43], exec
	s_cselect_b32 s10, s87, s12
	v_or_b32_e32 v2, s10, v11
	global_store_byte v[6:7], v2, off
.LBB39_182:
	s_mov_b64 s[12:13], 0
	s_mov_b64 s[10:11], -1
.LBB39_183:
	s_andn2_b64 vcc, exec, s[12:13]
	s_cbranch_vccnz .LBB39_191
; %bb.184:
	v_mov_b32_e32 v2, 14
	v_cmp_gt_i16_sdwa s[14:15], s93, v2 src0_sel:BYTE_0 src1_sel:DWORD
	s_mov_b64 s[12:13], -1
	s_and_b64 vcc, exec, s[14:15]
	s_cbranch_vccz .LBB39_188
; %bb.185:
	v_mov_b32_e32 v2, 15
	v_cmp_eq_u16_sdwa s[12:13], s93, v2 src0_sel:BYTE_0 src1_sel:DWORD
	s_mov_b64 s[8:9], -1
	s_and_b64 vcc, exec, s[12:13]
	s_cbranch_vccz .LBB39_187
; %bb.186:
	global_store_short v[6:7], v12, off
	s_mov_b64 s[10:11], -1
	s_mov_b64 s[8:9], 0
.LBB39_187:
	s_mov_b64 s[12:13], 0
.LBB39_188:
	s_and_b64 vcc, exec, s[12:13]
	s_cbranch_vccz .LBB39_191
; %bb.189:
	v_mov_b32_e32 v2, 11
	v_cmp_eq_u16_sdwa s[12:13], s93, v2 src0_sel:BYTE_0 src1_sel:DWORD
	s_mov_b64 s[8:9], -1
	s_and_b64 vcc, exec, s[12:13]
	s_cbranch_vccz .LBB39_191
; %bb.190:
	s_mov_b64 s[10:11], -1
	s_mov_b64 s[8:9], 0
	global_store_byte v[6:7], v10, off
.LBB39_191:
	s_branch .LBB39_141
.LBB39_192:
	v_mov_b32_e32 v2, 5
	v_cmp_lt_i16_sdwa s[12:13], s93, v2 src0_sel:BYTE_0 src1_sel:DWORD
	s_mov_b64 s[10:11], -1
	s_and_b64 vcc, exec, s[12:13]
	s_cbranch_vccnz .LBB39_213
; %bb.193:
	v_mov_b32_e32 v2, 8
	v_cmp_lt_i16_sdwa s[12:13], s93, v2 src0_sel:BYTE_0 src1_sel:DWORD
	s_and_b64 vcc, exec, s[12:13]
	s_cbranch_vccnz .LBB39_203
; %bb.194:
	v_mov_b32_e32 v2, 9
	v_cmp_lt_i16_sdwa s[12:13], s93, v2 src0_sel:BYTE_0 src1_sel:DWORD
	s_and_b64 vcc, exec, s[12:13]
	s_cbranch_vccnz .LBB39_200
; %bb.195:
	v_cmp_gt_i16_sdwa s[12:13], s93, v2 src0_sel:BYTE_0 src1_sel:DWORD
	s_and_b64 vcc, exec, s[12:13]
	s_cbranch_vccz .LBB39_197
; %bb.196:
	v_mov_b32_e32 v2, 0
	v_mov_b32_e32 v3, v2
	s_mov_b64 s[10:11], 0
	global_store_dwordx4 v[6:7], v[0:3], off
.LBB39_197:
	s_andn2_b64 vcc, exec, s[10:11]
	s_cbranch_vccnz .LBB39_199
; %bb.198:
	v_mov_b32_e32 v5, 0
	global_store_dwordx2 v[6:7], v[4:5], off
.LBB39_199:
	s_mov_b64 s[10:11], 0
.LBB39_200:
	s_andn2_b64 vcc, exec, s[10:11]
	s_cbranch_vccnz .LBB39_202
; %bb.201:
	global_store_dword v[6:7], v8, off
.LBB39_202:
	s_mov_b64 s[10:11], 0
.LBB39_203:
	s_andn2_b64 vcc, exec, s[10:11]
	s_cbranch_vccnz .LBB39_212
; %bb.204:
	v_mov_b32_e32 v2, 6
	v_cmp_lt_i16_sdwa s[12:13], s93, v2 src0_sel:BYTE_0 src1_sel:DWORD
	s_mov_b64 s[10:11], -1
	s_and_b64 vcc, exec, s[12:13]
	s_cbranch_vccnz .LBB39_210
; %bb.205:
	v_cmp_gt_i16_sdwa s[12:13], s93, v2 src0_sel:BYTE_0 src1_sel:DWORD
	s_and_b64 vcc, exec, s[12:13]
	s_cbranch_vccz .LBB39_207
; %bb.206:
	s_mov_b64 s[10:11], 0
	global_store_dwordx2 v[6:7], v[0:1], off
.LBB39_207:
	s_andn2_b64 vcc, exec, s[10:11]
	s_cbranch_vccnz .LBB39_209
; %bb.208:
	global_store_dword v[6:7], v4, off
.LBB39_209:
	s_mov_b64 s[10:11], 0
.LBB39_210:
	s_andn2_b64 vcc, exec, s[10:11]
	s_cbranch_vccnz .LBB39_212
; %bb.211:
	global_store_short v[6:7], v8, off
.LBB39_212:
	s_mov_b64 s[10:11], 0
.LBB39_213:
	s_andn2_b64 vcc, exec, s[10:11]
	s_cbranch_vccnz .LBB39_229
; %bb.214:
	v_mov_b32_e32 v2, 2
	v_cmp_lt_i16_sdwa s[12:13], s93, v2 src0_sel:BYTE_0 src1_sel:DWORD
	s_mov_b64 s[10:11], -1
	s_and_b64 vcc, exec, s[12:13]
	s_cbranch_vccnz .LBB39_224
; %bb.215:
	v_mov_b32_e32 v2, 3
	v_cmp_lt_i16_sdwa s[12:13], s93, v2 src0_sel:BYTE_0 src1_sel:DWORD
	s_and_b64 vcc, exec, s[12:13]
	s_cbranch_vccnz .LBB39_221
; %bb.216:
	v_cmp_gt_i16_sdwa s[12:13], s93, v2 src0_sel:BYTE_0 src1_sel:DWORD
	s_and_b64 vcc, exec, s[12:13]
	s_cbranch_vccz .LBB39_218
; %bb.217:
	v_pk_mov_b32 v[2:3], s[40:41], s[40:41] op_sel:[0,1]
	s_mov_b64 s[10:11], 0
	global_store_dwordx2 v[6:7], v[2:3], off
.LBB39_218:
	s_andn2_b64 vcc, exec, s[10:11]
	s_cbranch_vccnz .LBB39_220
; %bb.219:
	v_mov_b32_e32 v2, s84
	global_store_dword v[6:7], v2, off
.LBB39_220:
	s_mov_b64 s[10:11], 0
.LBB39_221:
	s_andn2_b64 vcc, exec, s[10:11]
	s_cbranch_vccnz .LBB39_223
; %bb.222:
	v_mov_b32_e32 v2, s38
	global_store_short v[6:7], v2, off
.LBB39_223:
	s_mov_b64 s[10:11], 0
.LBB39_224:
	s_andn2_b64 vcc, exec, s[10:11]
	s_cbranch_vccnz .LBB39_229
; %bb.225:
	v_mov_b32_e32 v2, 0
	v_cmp_gt_i16_sdwa s[12:13], s93, v2 src0_sel:BYTE_0 src1_sel:DWORD
	s_mov_b64 s[10:11], -1
	s_and_b64 vcc, exec, s[12:13]
	s_cbranch_vccz .LBB39_227
; %bb.226:
	v_mov_b32_e32 v2, s38
	s_mov_b64 s[10:11], 0
	global_store_byte v[6:7], v2, off
.LBB39_227:
	s_andn2_b64 vcc, exec, s[10:11]
	s_cbranch_vccnz .LBB39_229
; %bb.228:
	v_mov_b32_e32 v2, s38
	global_store_byte v[6:7], v2, off
.LBB39_229:
	s_branch .LBB39_142
.LBB39_230:
	s_mov_b64 s[10:11], 0
                                        ; implicit-def: $vgpr9
.LBB39_231:
	s_andn2_b64 s[12:13], s[70:71], exec
	s_and_b64 s[8:9], s[8:9], exec
	s_or_b64 s[74:75], s[12:13], s[8:9]
	s_orn2_b64 s[8:9], s[10:11], exec
.LBB39_232:
	s_or_b64 exec, exec, s[76:77]
	s_mov_b64 s[10:11], 0
	s_mov_b64 s[12:13], 0
                                        ; implicit-def: $vgpr16
                                        ; implicit-def: $vgpr6_vgpr7
	s_and_saveexec_b64 s[76:77], s[8:9]
	s_cbranch_execz .LBB39_423
; %bb.233:
	v_cmp_gt_i32_e32 vcc, s94, v9
	s_mov_b64 s[10:11], -1
	s_mov_b64 s[80:81], s[74:75]
	s_and_saveexec_b64 s[78:79], vcc
	s_cbranch_execz .LBB39_350
; %bb.234:
	s_andn2_b64 vcc, exec, s[34:35]
	s_cbranch_vccnz .LBB39_240
; %bb.235:
	s_andn2_b64 vcc, exec, s[68:69]
	s_cbranch_vccnz .LBB39_241
; %bb.236:
	s_add_i32 vcc_hi, s95, 1
	s_mov_b32 vcc_lo, 0
	s_cmp_eq_u32 s39, 2
	v_mov_b32_e32 v2, 0
	s_cbranch_scc1 .LBB39_242
; %bb.237:
	s_and_b32 vcc_lo, vcc_hi, 28
	s_mov_b32 s64, 0
	v_mov_b32_e32 v2, 0
	s_mov_b64 s[80:81], s[28:29]
	s_mov_b64 s[82:83], s[66:67]
	v_mov_b32_e32 v5, v9
.LBB39_238:                             ; =>This Inner Loop Header: Depth=1
	s_load_dwordx8 s[8:15], s[80:81], 0x4
	s_load_dwordx4 s[20:23], s[80:81], 0x24
	s_load_dwordx4 s[24:27], s[82:83], 0x0
	s_add_u32 s80, s80, 48
	s_addc_u32 s81, s81, 0
	s_waitcnt lgkmcnt(0)
	v_mul_hi_u32 v3, s9, v5
	v_add_u32_e32 v3, v5, v3
	v_lshrrev_b32_e32 v3, s10, v3
	v_mul_lo_u32 v6, v3, s8
	v_mul_hi_u32 v7, s12, v3
	v_sub_u32_e32 v5, v5, v6
	v_add_u32_e32 v6, v3, v7
	v_lshrrev_b32_e32 v6, s13, v6
	v_mul_lo_u32 v7, v6, s11
	v_mul_hi_u32 v16, s15, v6
	v_sub_u32_e32 v3, v3, v7
	v_add_u32_e32 v7, v6, v16
	v_mul_lo_u32 v5, v5, s24
	v_mul_lo_u32 v3, v3, s25
	v_lshrrev_b32_e32 v7, s20, v7
	v_add3_u32 v2, v5, v2, v3
	v_mul_hi_u32 v5, s22, v7
	v_add_u32_e32 v5, v7, v5
	v_mul_lo_u32 v3, v7, s14
	v_lshrrev_b32_e32 v5, s23, v5
	s_add_i32 s64, s64, 4
	v_sub_u32_e32 v3, v6, v3
	v_mul_lo_u32 v6, v5, s21
	s_add_u32 s82, s82, 16
	v_sub_u32_e32 v6, v7, v6
	s_addc_u32 s83, s83, 0
	v_mul_lo_u32 v3, v3, s26
	v_mul_lo_u32 v6, v6, s27
	s_cmp_eq_u32 vcc_lo, s64
	v_add3_u32 v2, v3, v2, v6
	s_cbranch_scc0 .LBB39_238
; %bb.239:
	s_load_dwordx2 s[64:65], s[28:29], 0x14
	s_branch .LBB39_243
.LBB39_240:
	s_mov_b64 s[8:9], -1
                                        ; implicit-def: $vgpr2
	s_branch .LBB39_247
.LBB39_241:
	v_mov_b32_e32 v2, 0
	s_branch .LBB39_246
.LBB39_242:
	v_mov_b32_e32 v5, v9
.LBB39_243:
	s_and_b32 s12, vcc_hi, 3
	s_cmp_eq_u32 s12, 0
	s_cbranch_scc1 .LBB39_246
; %bb.244:
	s_lshl_b32 s8, vcc_lo, 2
	s_add_u32 s8, s8, s28
	s_addc_u32 s9, s29, 0
	s_add_u32 s8, s8, 0xc4
	s_addc_u32 s9, s9, 0
	s_mul_i32 s10, vcc_lo, 12
	s_add_u32 s10, s28, s10
	s_addc_u32 s11, s29, 0
.LBB39_245:                             ; =>This Inner Loop Header: Depth=1
	s_load_dwordx2 s[14:15], s[10:11], 0x4
	s_load_dword s13, s[10:11], 0xc
	s_load_dword s20, s[8:9], 0x0
	s_add_u32 s10, s10, 12
	s_addc_u32 s11, s11, 0
	s_waitcnt lgkmcnt(0)
	v_mul_hi_u32 v3, s15, v5
	v_add_u32_e32 v3, v5, v3
	v_lshrrev_b32_e32 v3, s13, v3
	s_add_u32 s8, s8, 4
	v_mul_lo_u32 v6, v3, s14
	s_addc_u32 s9, s9, 0
	s_add_i32 s12, s12, -1
	v_sub_u32_e32 v6, v5, v6
	s_cmp_lg_u32 s12, 0
	v_mov_b32_e32 v5, v3
	v_mad_u64_u32 v[2:3], s[14:15], v6, s20, v[2:3]
	s_cbranch_scc1 .LBB39_245
.LBB39_246:
	s_mov_b64 s[8:9], 0
.LBB39_247:
	s_andn2_b64 vcc, exec, s[8:9]
	s_cbranch_vccnz .LBB39_250
; %bb.248:
	v_mul_hi_u32 v2, s17, v9
	v_add_u32_e32 v2, v9, v2
	v_lshrrev_b32_e32 v3, s18, v2
	v_mul_lo_u32 v2, v3, s16
	v_sub_u32_e32 v2, v9, v2
	s_andn2_b64 vcc, exec, s[62:63]
	v_mul_lo_u32 v2, v2, s60
	s_cbranch_vccnz .LBB39_250
; %bb.249:
	s_waitcnt lgkmcnt(0)
	v_mul_hi_u32 v5, s64, v3
	v_add_u32_e32 v5, v3, v5
	v_lshrrev_b32_e32 v5, s65, v5
	v_mul_lo_u32 v5, v5, s19
	v_sub_u32_e32 v3, v3, v5
	v_mad_u64_u32 v[2:3], s[8:9], v3, s61, v[2:3]
.LBB39_250:
	v_mov_b32_e32 v3, s59
	v_add_co_u32_e32 v6, vcc, s58, v2
	v_mov_b32_e32 v2, 11
	v_addc_co_u32_e32 v7, vcc, 0, v3, vcc
	v_cmp_lt_i16_sdwa s[8:9], s93, v2 src0_sel:BYTE_0 src1_sel:DWORD
	s_and_b64 vcc, exec, s[8:9]
	s_cbranch_vccnz .LBB39_257
; %bb.251:
	v_mov_b32_e32 v2, 25
	v_cmp_gt_i16_sdwa s[8:9], s93, v2 src0_sel:BYTE_0 src1_sel:DWORD
	s_and_b64 vcc, exec, s[8:9]
	s_cbranch_vccz .LBB39_258
; %bb.252:
	v_mov_b32_e32 v2, 28
	v_cmp_gt_i16_sdwa s[8:9], s93, v2 src0_sel:BYTE_0 src1_sel:DWORD
	s_and_b64 vcc, exec, s[8:9]
	s_cbranch_vccz .LBB39_259
	;; [unrolled: 5-line block ×4, first 2 shown]
; %bb.255:
	v_mov_b32_e32 v2, 46
	v_cmp_eq_u16_sdwa s[10:11], s93, v2 src0_sel:BYTE_0 src1_sel:DWORD
	s_mov_b64 s[12:13], 0
	s_mov_b64 s[8:9], -1
	s_and_b64 vcc, exec, s[10:11]
	s_mov_b64 s[10:11], 0
	s_cbranch_vccz .LBB39_262
; %bb.256:
	global_store_dword v[6:7], v12, off
	s_mov_b64 s[10:11], -1
	s_mov_b64 s[8:9], 0
	s_branch .LBB39_262
.LBB39_257:
	s_mov_b64 s[12:13], -1
	s_mov_b64 s[10:11], 0
	s_mov_b64 s[8:9], s[74:75]
	s_branch .LBB39_307
.LBB39_258:
	s_mov_b64 s[12:13], -1
	s_mov_b64 s[10:11], 0
	s_mov_b64 s[8:9], s[74:75]
	s_branch .LBB39_284
.LBB39_259:
	s_mov_b64 s[12:13], -1
	s_mov_b64 s[10:11], 0
	s_mov_b64 s[8:9], s[74:75]
	s_branch .LBB39_270
.LBB39_260:
	s_mov_b64 s[12:13], -1
	s_mov_b64 s[10:11], 0
	s_mov_b64 s[8:9], s[74:75]
	s_branch .LBB39_266
.LBB39_261:
	s_mov_b64 s[12:13], -1
	s_mov_b64 s[10:11], 0
	s_mov_b64 s[8:9], s[74:75]
.LBB39_262:
	s_and_b64 vcc, exec, s[12:13]
	s_cbranch_vccz .LBB39_265
; %bb.263:
	v_mov_b32_e32 v2, 44
	v_cmp_eq_u16_sdwa s[12:13], s93, v2 src0_sel:BYTE_0 src1_sel:DWORD
	s_mov_b64 s[8:9], -1
	s_and_b64 vcc, exec, s[12:13]
	s_cbranch_vccz .LBB39_265
; %bb.264:
	v_mov_b32_e32 v2, 0xff
	v_cndmask_b32_e64 v2, v15, v2, s[6:7]
	s_mov_b64 s[10:11], -1
	s_mov_b64 s[8:9], 0
	global_store_byte v[6:7], v2, off
.LBB39_265:
	s_mov_b64 s[12:13], 0
.LBB39_266:
	s_and_b64 vcc, exec, s[12:13]
	s_cbranch_vccz .LBB39_269
; %bb.267:
	v_mov_b32_e32 v2, 29
	v_cmp_eq_u16_sdwa s[12:13], s93, v2 src0_sel:BYTE_0 src1_sel:DWORD
	s_mov_b64 s[8:9], -1
	s_and_b64 vcc, exec, s[12:13]
	s_cbranch_vccz .LBB39_269
; %bb.268:
	v_pk_mov_b32 v[2:3], s[40:41], s[40:41] op_sel:[0,1]
	global_store_dwordx2 v[6:7], v[2:3], off
	s_mov_b64 s[10:11], -1
	s_mov_b64 s[8:9], 0
.LBB39_269:
	s_mov_b64 s[12:13], 0
.LBB39_270:
	s_and_b64 vcc, exec, s[12:13]
	s_cbranch_vccz .LBB39_283
; %bb.271:
	v_mov_b32_e32 v2, 27
	v_cmp_lt_i16_sdwa s[12:13], s93, v2 src0_sel:BYTE_0 src1_sel:DWORD
	s_mov_b64 s[10:11], -1
	s_and_b64 vcc, exec, s[12:13]
	s_cbranch_vccnz .LBB39_277
; %bb.272:
	v_cmp_gt_i16_sdwa s[12:13], s93, v2 src0_sel:BYTE_0 src1_sel:DWORD
	s_and_b64 vcc, exec, s[12:13]
	s_cbranch_vccz .LBB39_274
; %bb.273:
	v_mov_b32_e32 v2, s84
	s_mov_b64 s[10:11], 0
	global_store_dword v[6:7], v2, off
.LBB39_274:
	s_andn2_b64 vcc, exec, s[10:11]
	s_cbranch_vccnz .LBB39_276
; %bb.275:
	v_mov_b32_e32 v2, s38
	global_store_short v[6:7], v2, off
.LBB39_276:
	s_mov_b64 s[10:11], 0
.LBB39_277:
	s_andn2_b64 vcc, exec, s[10:11]
	s_cbranch_vccnz .LBB39_282
; %bb.278:
	s_andn2_b64 vcc, exec, s[54:55]
	v_mov_b32_e32 v2, 0x80
	s_cbranch_vccnz .LBB39_281
; %bb.279:
	s_or_b64 s[10:11], s[2:3], s[56:57]
	s_andn2_b64 vcc, exec, s[10:11]
	v_mov_b32_e32 v2, 0
	s_cbranch_vccnz .LBB39_281
; %bb.280:
	v_mov_b32_e32 v2, s92
	v_cndmask_b32_e64 v2, v14, v2, s[2:3]
	v_or_b32_e32 v2, v2, v11
.LBB39_281:
	global_store_byte v[6:7], v2, off
.LBB39_282:
	s_mov_b64 s[10:11], -1
.LBB39_283:
	s_mov_b64 s[12:13], 0
.LBB39_284:
	s_and_b64 vcc, exec, s[12:13]
	s_cbranch_vccz .LBB39_306
; %bb.285:
	v_mov_b32_e32 v2, 22
	v_cmp_gt_i16_sdwa s[14:15], s93, v2 src0_sel:BYTE_0 src1_sel:DWORD
	s_mov_b64 s[12:13], -1
	s_and_b64 vcc, exec, s[14:15]
	s_cbranch_vccz .LBB39_298
; %bb.286:
	v_mov_b32_e32 v2, 24
	v_cmp_lt_i16_sdwa s[12:13], s93, v2 src0_sel:BYTE_0 src1_sel:DWORD
	s_mov_b64 s[10:11], -1
	s_and_b64 vcc, exec, s[12:13]
	s_cbranch_vccnz .LBB39_295
; %bb.287:
	v_cmp_gt_i16_sdwa s[12:13], s93, v2 src0_sel:BYTE_0 src1_sel:DWORD
	s_and_b64 vcc, exec, s[12:13]
	s_cbranch_vccz .LBB39_292
; %bb.288:
	s_andn2_b64 vcc, exec, s[50:51]
	v_mov_b32_e32 v2, 0x80
	s_cbranch_vccnz .LBB39_291
; %bb.289:
	s_or_b64 s[10:11], s[0:1], s[52:53]
	s_andn2_b64 vcc, exec, s[10:11]
	v_mov_b32_e32 v2, 0
	s_cbranch_vccnz .LBB39_291
; %bb.290:
	v_mov_b32_e32 v2, s90
	v_cndmask_b32_e64 v2, v13, v2, s[0:1]
	v_or_b32_e32 v2, v2, v11
.LBB39_291:
	s_mov_b64 s[10:11], 0
	global_store_byte v[6:7], v2, off
.LBB39_292:
	s_and_b64 vcc, exec, s[10:11]
	s_cbranch_vccz .LBB39_294
; %bb.293:
	s_and_b64 s[10:11], s[48:49], exec
	s_cselect_b32 s12, s89, s88
	s_and_b64 s[10:11], s[46:47], exec
	s_cselect_b32 s10, s91, s12
	v_or_b32_e32 v2, s10, v11
	global_store_byte v[6:7], v2, off
.LBB39_294:
	s_mov_b64 s[10:11], 0
.LBB39_295:
	s_andn2_b64 vcc, exec, s[10:11]
	s_cbranch_vccnz .LBB39_297
; %bb.296:
	s_and_b64 s[10:11], s[44:45], exec
	s_cselect_b32 s12, s86, s85
	s_and_b64 s[10:11], s[42:43], exec
	s_cselect_b32 s10, s87, s12
	v_or_b32_e32 v2, s10, v11
	global_store_byte v[6:7], v2, off
.LBB39_297:
	s_mov_b64 s[12:13], 0
	s_mov_b64 s[10:11], -1
.LBB39_298:
	s_andn2_b64 vcc, exec, s[12:13]
	s_cbranch_vccnz .LBB39_306
; %bb.299:
	v_mov_b32_e32 v2, 14
	v_cmp_gt_i16_sdwa s[14:15], s93, v2 src0_sel:BYTE_0 src1_sel:DWORD
	s_mov_b64 s[12:13], -1
	s_and_b64 vcc, exec, s[14:15]
	s_cbranch_vccz .LBB39_303
; %bb.300:
	v_mov_b32_e32 v2, 15
	v_cmp_eq_u16_sdwa s[12:13], s93, v2 src0_sel:BYTE_0 src1_sel:DWORD
	s_mov_b64 s[8:9], -1
	s_and_b64 vcc, exec, s[12:13]
	s_cbranch_vccz .LBB39_302
; %bb.301:
	global_store_short v[6:7], v12, off
	s_mov_b64 s[10:11], -1
	s_mov_b64 s[8:9], 0
.LBB39_302:
	s_mov_b64 s[12:13], 0
.LBB39_303:
	s_and_b64 vcc, exec, s[12:13]
	s_cbranch_vccz .LBB39_306
; %bb.304:
	v_mov_b32_e32 v2, 11
	v_cmp_eq_u16_sdwa s[12:13], s93, v2 src0_sel:BYTE_0 src1_sel:DWORD
	s_mov_b64 s[8:9], -1
	s_and_b64 vcc, exec, s[12:13]
	s_cbranch_vccz .LBB39_306
; %bb.305:
	s_mov_b64 s[10:11], -1
	s_mov_b64 s[8:9], 0
	global_store_byte v[6:7], v10, off
.LBB39_306:
	s_mov_b64 s[12:13], 0
.LBB39_307:
	s_and_b64 vcc, exec, s[12:13]
	s_cbranch_vccz .LBB39_346
; %bb.308:
	v_mov_b32_e32 v2, 5
	v_cmp_lt_i16_sdwa s[12:13], s93, v2 src0_sel:BYTE_0 src1_sel:DWORD
	s_mov_b64 s[10:11], -1
	s_and_b64 vcc, exec, s[12:13]
	s_cbranch_vccnz .LBB39_329
; %bb.309:
	v_mov_b32_e32 v2, 8
	v_cmp_lt_i16_sdwa s[12:13], s93, v2 src0_sel:BYTE_0 src1_sel:DWORD
	s_and_b64 vcc, exec, s[12:13]
	s_cbranch_vccnz .LBB39_319
; %bb.310:
	v_mov_b32_e32 v2, 9
	v_cmp_lt_i16_sdwa s[12:13], s93, v2 src0_sel:BYTE_0 src1_sel:DWORD
	s_and_b64 vcc, exec, s[12:13]
	s_cbranch_vccnz .LBB39_316
; %bb.311:
	v_cmp_gt_i16_sdwa s[12:13], s93, v2 src0_sel:BYTE_0 src1_sel:DWORD
	s_and_b64 vcc, exec, s[12:13]
	s_cbranch_vccz .LBB39_313
; %bb.312:
	v_mov_b32_e32 v2, 0
	v_mov_b32_e32 v3, v2
	s_mov_b64 s[10:11], 0
	global_store_dwordx4 v[6:7], v[0:3], off
.LBB39_313:
	s_andn2_b64 vcc, exec, s[10:11]
	s_cbranch_vccnz .LBB39_315
; %bb.314:
	v_mov_b32_e32 v5, 0
	global_store_dwordx2 v[6:7], v[4:5], off
.LBB39_315:
	s_mov_b64 s[10:11], 0
.LBB39_316:
	s_andn2_b64 vcc, exec, s[10:11]
	s_cbranch_vccnz .LBB39_318
; %bb.317:
	global_store_dword v[6:7], v8, off
.LBB39_318:
	s_mov_b64 s[10:11], 0
.LBB39_319:
	s_andn2_b64 vcc, exec, s[10:11]
	s_cbranch_vccnz .LBB39_328
; %bb.320:
	v_mov_b32_e32 v2, 6
	v_cmp_lt_i16_sdwa s[12:13], s93, v2 src0_sel:BYTE_0 src1_sel:DWORD
	s_mov_b64 s[10:11], -1
	s_and_b64 vcc, exec, s[12:13]
	s_cbranch_vccnz .LBB39_326
; %bb.321:
	v_cmp_gt_i16_sdwa s[12:13], s93, v2 src0_sel:BYTE_0 src1_sel:DWORD
	s_and_b64 vcc, exec, s[12:13]
	s_cbranch_vccz .LBB39_323
; %bb.322:
	s_mov_b64 s[10:11], 0
	global_store_dwordx2 v[6:7], v[0:1], off
.LBB39_323:
	s_andn2_b64 vcc, exec, s[10:11]
	s_cbranch_vccnz .LBB39_325
; %bb.324:
	global_store_dword v[6:7], v4, off
.LBB39_325:
	s_mov_b64 s[10:11], 0
.LBB39_326:
	s_andn2_b64 vcc, exec, s[10:11]
	s_cbranch_vccnz .LBB39_328
; %bb.327:
	global_store_short v[6:7], v8, off
.LBB39_328:
	s_mov_b64 s[10:11], 0
.LBB39_329:
	s_andn2_b64 vcc, exec, s[10:11]
	s_cbranch_vccnz .LBB39_345
; %bb.330:
	v_mov_b32_e32 v2, 2
	v_cmp_lt_i16_sdwa s[12:13], s93, v2 src0_sel:BYTE_0 src1_sel:DWORD
	s_mov_b64 s[10:11], -1
	s_and_b64 vcc, exec, s[12:13]
	s_cbranch_vccnz .LBB39_340
; %bb.331:
	v_mov_b32_e32 v2, 3
	v_cmp_lt_i16_sdwa s[12:13], s93, v2 src0_sel:BYTE_0 src1_sel:DWORD
	s_and_b64 vcc, exec, s[12:13]
	s_cbranch_vccnz .LBB39_337
; %bb.332:
	v_cmp_gt_i16_sdwa s[12:13], s93, v2 src0_sel:BYTE_0 src1_sel:DWORD
	s_and_b64 vcc, exec, s[12:13]
	s_cbranch_vccz .LBB39_334
; %bb.333:
	v_pk_mov_b32 v[2:3], s[40:41], s[40:41] op_sel:[0,1]
	s_mov_b64 s[10:11], 0
	global_store_dwordx2 v[6:7], v[2:3], off
.LBB39_334:
	s_andn2_b64 vcc, exec, s[10:11]
	s_cbranch_vccnz .LBB39_336
; %bb.335:
	v_mov_b32_e32 v2, s84
	global_store_dword v[6:7], v2, off
.LBB39_336:
	s_mov_b64 s[10:11], 0
.LBB39_337:
	s_andn2_b64 vcc, exec, s[10:11]
	s_cbranch_vccnz .LBB39_339
; %bb.338:
	v_mov_b32_e32 v2, s38
	global_store_short v[6:7], v2, off
.LBB39_339:
	s_mov_b64 s[10:11], 0
.LBB39_340:
	s_andn2_b64 vcc, exec, s[10:11]
	s_cbranch_vccnz .LBB39_345
; %bb.341:
	v_mov_b32_e32 v2, 0
	v_cmp_gt_i16_sdwa s[12:13], s93, v2 src0_sel:BYTE_0 src1_sel:DWORD
	s_mov_b64 s[10:11], -1
	s_and_b64 vcc, exec, s[12:13]
	s_cbranch_vccz .LBB39_343
; %bb.342:
	v_mov_b32_e32 v2, s38
	s_mov_b64 s[10:11], 0
	global_store_byte v[6:7], v2, off
.LBB39_343:
	s_andn2_b64 vcc, exec, s[10:11]
	s_cbranch_vccnz .LBB39_345
; %bb.344:
	v_mov_b32_e32 v2, s38
	global_store_byte v[6:7], v2, off
.LBB39_345:
	s_mov_b64 s[10:11], -1
.LBB39_346:
	s_andn2_b64 vcc, exec, s[10:11]
	s_cbranch_vccnz .LBB39_348
; %bb.347:
	v_add_u32_e32 v9, 0x80, v9
	s_mov_b64 s[10:11], -1
	s_branch .LBB39_349
.LBB39_348:
	s_mov_b64 s[10:11], 0
                                        ; implicit-def: $vgpr9
.LBB39_349:
	s_andn2_b64 s[12:13], s[74:75], exec
	s_and_b64 s[8:9], s[8:9], exec
	s_or_b64 s[80:81], s[12:13], s[8:9]
	s_orn2_b64 s[10:11], s[10:11], exec
.LBB39_350:
	s_or_b64 exec, exec, s[78:79]
	s_mov_b64 s[8:9], 0
	s_mov_b64 s[14:15], 0
                                        ; implicit-def: $vgpr16
                                        ; implicit-def: $vgpr6_vgpr7
	s_and_saveexec_b64 s[78:79], s[10:11]
	s_cbranch_execz .LBB39_422
; %bb.351:
	v_cmp_gt_i32_e32 vcc, s94, v9
	s_mov_b64 s[10:11], 0
	s_mov_b64 s[12:13], s[80:81]
                                        ; implicit-def: $vgpr16
                                        ; implicit-def: $vgpr6_vgpr7
	s_and_saveexec_b64 s[82:83], vcc
	s_cbranch_execz .LBB39_421
; %bb.352:
	s_andn2_b64 vcc, exec, s[34:35]
	s_cbranch_vccnz .LBB39_358
; %bb.353:
	s_andn2_b64 vcc, exec, s[68:69]
	s_cbranch_vccnz .LBB39_359
; %bb.354:
	s_add_i32 s95, s95, 1
	s_mov_b32 s94, 0
	s_cmp_eq_u32 s39, 2
	v_mov_b32_e32 v2, 0
	s_cbranch_scc1 .LBB39_360
; %bb.355:
	s_waitcnt lgkmcnt(0)
	s_mov_b64 vcc, s[64:65]
	s_and_b32 s94, s95, 28
	s_mov_b32 s64, 0
	v_mov_b32_e32 v2, 0
	s_mov_b64 s[68:69], s[28:29]
	v_mov_b32_e32 v5, v9
.LBB39_356:                             ; =>This Inner Loop Header: Depth=1
	s_load_dwordx8 s[8:15], s[68:69], 0x4
	s_load_dwordx4 s[20:23], s[68:69], 0x24
	s_load_dwordx4 s[24:27], s[66:67], 0x0
	s_add_u32 s68, s68, 48
	s_addc_u32 s69, s69, 0
	s_waitcnt lgkmcnt(0)
	v_mul_hi_u32 v3, s9, v5
	v_add_u32_e32 v3, v5, v3
	v_lshrrev_b32_e32 v3, s10, v3
	v_mul_lo_u32 v6, v3, s8
	v_mul_hi_u32 v7, s12, v3
	v_sub_u32_e32 v5, v5, v6
	v_add_u32_e32 v6, v3, v7
	v_lshrrev_b32_e32 v6, s13, v6
	v_mul_lo_u32 v7, v6, s11
	v_mul_hi_u32 v16, s15, v6
	v_sub_u32_e32 v3, v3, v7
	v_add_u32_e32 v7, v6, v16
	v_mul_lo_u32 v5, v5, s24
	v_mul_lo_u32 v3, v3, s25
	v_lshrrev_b32_e32 v7, s20, v7
	v_add3_u32 v2, v5, v2, v3
	v_mul_hi_u32 v5, s22, v7
	v_add_u32_e32 v5, v7, v5
	v_mul_lo_u32 v3, v7, s14
	v_lshrrev_b32_e32 v5, s23, v5
	s_add_i32 s64, s64, 4
	v_sub_u32_e32 v3, v6, v3
	v_mul_lo_u32 v6, v5, s21
	s_add_u32 s66, s66, 16
	v_sub_u32_e32 v6, v7, v6
	s_addc_u32 s67, s67, 0
	v_mul_lo_u32 v3, v3, s26
	v_mul_lo_u32 v6, v6, s27
	s_cmp_eq_u32 s94, s64
	v_add3_u32 v2, v3, v2, v6
	s_cbranch_scc0 .LBB39_356
; %bb.357:
	s_mov_b64 s[64:65], vcc
	s_branch .LBB39_361
.LBB39_358:
	s_mov_b64 s[8:9], -1
                                        ; implicit-def: $vgpr2
	s_branch .LBB39_365
.LBB39_359:
	v_mov_b32_e32 v2, 0
	s_branch .LBB39_364
.LBB39_360:
	v_mov_b32_e32 v5, v9
.LBB39_361:
	s_and_b32 s12, s95, 3
	s_cmp_eq_u32 s12, 0
	s_cbranch_scc1 .LBB39_364
; %bb.362:
	s_lshl_b32 s8, s94, 2
	s_add_u32 s8, s8, s28
	s_addc_u32 s9, s29, 0
	s_add_u32 s8, s8, 0xc4
	s_addc_u32 s9, s9, 0
	s_mul_i32 s10, s94, 12
	s_add_u32 s10, s28, s10
	s_addc_u32 s11, s29, 0
.LBB39_363:                             ; =>This Inner Loop Header: Depth=1
	s_load_dwordx2 s[14:15], s[10:11], 0x4
	s_load_dword s13, s[10:11], 0xc
	s_load_dword s20, s[8:9], 0x0
	s_add_u32 s10, s10, 12
	s_addc_u32 s11, s11, 0
	s_waitcnt lgkmcnt(0)
	v_mul_hi_u32 v3, s15, v5
	v_add_u32_e32 v3, v5, v3
	v_lshrrev_b32_e32 v3, s13, v3
	s_add_u32 s8, s8, 4
	v_mul_lo_u32 v6, v3, s14
	s_addc_u32 s9, s9, 0
	s_add_i32 s12, s12, -1
	v_sub_u32_e32 v6, v5, v6
	s_cmp_lg_u32 s12, 0
	v_mov_b32_e32 v5, v3
	v_mad_u64_u32 v[2:3], s[14:15], v6, s20, v[2:3]
	s_cbranch_scc1 .LBB39_363
.LBB39_364:
	s_mov_b64 s[8:9], 0
.LBB39_365:
	s_andn2_b64 vcc, exec, s[8:9]
	s_cbranch_vccnz .LBB39_368
; %bb.366:
	v_mul_hi_u32 v2, s17, v9
	v_add_u32_e32 v2, v9, v2
	v_lshrrev_b32_e32 v3, s18, v2
	v_mul_lo_u32 v2, v3, s16
	v_sub_u32_e32 v2, v9, v2
	s_andn2_b64 vcc, exec, s[62:63]
	v_mul_lo_u32 v2, v2, s60
	s_cbranch_vccnz .LBB39_368
; %bb.367:
	s_waitcnt lgkmcnt(0)
	v_mul_hi_u32 v5, s64, v3
	v_add_u32_e32 v5, v3, v5
	v_lshrrev_b32_e32 v5, s65, v5
	v_mul_lo_u32 v5, v5, s19
	v_sub_u32_e32 v3, v3, v5
	v_mad_u64_u32 v[2:3], s[8:9], v3, s61, v[2:3]
.LBB39_368:
	v_mov_b32_e32 v3, s59
	v_add_co_u32_e32 v6, vcc, s58, v2
	v_mov_b32_e32 v2, 0xff
	v_addc_co_u32_e32 v7, vcc, 0, v3, vcc
	v_and_b32_e32 v16, s93, v2
	v_cmp_gt_i16_e32 vcc, 11, v16
	s_cbranch_vccnz .LBB39_418
; %bb.369:
	v_cmp_lt_i16_e32 vcc, 25, v16
	s_mov_b64 s[10:11], -1
	s_mov_b64 s[8:9], s[80:81]
	s_cbranch_vccz .LBB39_397
; %bb.370:
	v_cmp_lt_i16_e32 vcc, 28, v16
	s_mov_b64 s[8:9], s[80:81]
	s_cbranch_vccz .LBB39_384
; %bb.371:
	v_cmp_lt_i16_e32 vcc, 43, v16
	;; [unrolled: 4-line block ×3, first 2 shown]
	s_mov_b64 s[8:9], s[80:81]
	s_cbranch_vccz .LBB39_376
; %bb.373:
	v_cmp_eq_u16_e32 vcc, 46, v16
	s_mov_b64 s[8:9], -1
	s_cbranch_vccz .LBB39_375
; %bb.374:
	global_store_dword v[6:7], v12, off
	s_mov_b64 s[8:9], 0
.LBB39_375:
	s_mov_b64 s[10:11], 0
.LBB39_376:
	s_and_b64 vcc, exec, s[10:11]
	s_cbranch_vccz .LBB39_379
; %bb.377:
	v_cmp_eq_u16_e32 vcc, 44, v16
	s_mov_b64 s[8:9], -1
	s_cbranch_vccz .LBB39_379
; %bb.378:
	v_mov_b32_e32 v2, 0xff
	v_cndmask_b32_e64 v2, v15, v2, s[6:7]
	global_store_byte v[6:7], v2, off
	s_mov_b64 s[8:9], 0
.LBB39_379:
	s_mov_b64 s[10:11], 0
.LBB39_380:
	s_and_b64 vcc, exec, s[10:11]
	s_cbranch_vccz .LBB39_383
; %bb.381:
	v_cmp_eq_u16_e32 vcc, 29, v16
	s_mov_b64 s[8:9], -1
	s_cbranch_vccz .LBB39_383
; %bb.382:
	v_pk_mov_b32 v[2:3], s[40:41], s[40:41] op_sel:[0,1]
	global_store_dwordx2 v[6:7], v[2:3], off
	s_mov_b64 s[8:9], 0
.LBB39_383:
	s_mov_b64 s[10:11], 0
.LBB39_384:
	s_and_b64 vcc, exec, s[10:11]
	s_cbranch_vccz .LBB39_396
; %bb.385:
	v_cmp_gt_i16_e32 vcc, 27, v16
	s_mov_b64 s[6:7], -1
	s_cbranch_vccnz .LBB39_391
; %bb.386:
	v_cmp_lt_i16_e32 vcc, 27, v16
	s_cbranch_vccz .LBB39_388
; %bb.387:
	v_mov_b32_e32 v2, s84
	s_mov_b64 s[6:7], 0
	global_store_dword v[6:7], v2, off
.LBB39_388:
	s_andn2_b64 vcc, exec, s[6:7]
	s_cbranch_vccnz .LBB39_390
; %bb.389:
	v_mov_b32_e32 v2, s38
	global_store_short v[6:7], v2, off
.LBB39_390:
	s_mov_b64 s[6:7], 0
.LBB39_391:
	s_andn2_b64 vcc, exec, s[6:7]
	s_cbranch_vccnz .LBB39_396
; %bb.392:
	s_andn2_b64 vcc, exec, s[54:55]
	v_mov_b32_e32 v2, 0x80
	s_cbranch_vccnz .LBB39_395
; %bb.393:
	s_or_b64 s[6:7], s[2:3], s[56:57]
	s_andn2_b64 vcc, exec, s[6:7]
	v_mov_b32_e32 v2, 0
	s_cbranch_vccnz .LBB39_395
; %bb.394:
	v_mov_b32_e32 v2, s92
	v_cndmask_b32_e64 v2, v14, v2, s[2:3]
	v_or_b32_e32 v2, v2, v11
.LBB39_395:
	global_store_byte v[6:7], v2, off
.LBB39_396:
	s_mov_b64 s[10:11], 0
.LBB39_397:
	s_mov_b64 s[2:3], 0
	s_and_b64 vcc, exec, s[10:11]
	s_cbranch_vccz .LBB39_419
; %bb.398:
	v_cmp_lt_i16_e32 vcc, 22, v16
	s_mov_b64 s[6:7], -1
	s_cbranch_vccz .LBB39_411
; %bb.399:
	v_cmp_gt_i16_e32 vcc, 24, v16
	s_cbranch_vccnz .LBB39_408
; %bb.400:
	v_cmp_lt_i16_e32 vcc, 24, v16
	s_cbranch_vccz .LBB39_405
; %bb.401:
	s_andn2_b64 vcc, exec, s[50:51]
	v_mov_b32_e32 v2, 0x80
	s_cbranch_vccnz .LBB39_404
; %bb.402:
	s_or_b64 s[6:7], s[0:1], s[52:53]
	s_andn2_b64 vcc, exec, s[6:7]
	v_mov_b32_e32 v2, 0
	s_cbranch_vccnz .LBB39_404
; %bb.403:
	v_mov_b32_e32 v2, s90
	v_cndmask_b32_e64 v2, v13, v2, s[0:1]
	v_or_b32_e32 v2, v2, v11
.LBB39_404:
	s_mov_b64 s[6:7], 0
	global_store_byte v[6:7], v2, off
.LBB39_405:
	s_and_b64 vcc, exec, s[6:7]
	s_cbranch_vccz .LBB39_407
; %bb.406:
	s_and_b64 s[0:1], s[48:49], exec
	s_cselect_b32 s6, s89, s88
	s_and_b64 s[0:1], s[46:47], exec
	s_cselect_b32 s0, s91, s6
	v_or_b32_e32 v2, s0, v11
	global_store_byte v[6:7], v2, off
.LBB39_407:
	s_mov_b64 s[6:7], 0
.LBB39_408:
	s_andn2_b64 vcc, exec, s[6:7]
	s_cbranch_vccnz .LBB39_410
; %bb.409:
	s_and_b64 s[0:1], s[44:45], exec
	s_cselect_b32 s6, s86, s85
	s_and_b64 s[0:1], s[42:43], exec
	s_cselect_b32 s0, s87, s6
	v_or_b32_e32 v2, s0, v11
	global_store_byte v[6:7], v2, off
.LBB39_410:
	s_mov_b64 s[6:7], 0
.LBB39_411:
	s_andn2_b64 vcc, exec, s[6:7]
	s_mov_b64 s[0:1], 0
	s_cbranch_vccnz .LBB39_420
; %bb.412:
	v_cmp_lt_i16_e32 vcc, 14, v16
	s_mov_b64 s[6:7], -1
	s_cbranch_vccz .LBB39_416
; %bb.413:
	v_cmp_eq_u16_e32 vcc, 15, v16
	s_mov_b64 s[8:9], -1
	s_cbranch_vccz .LBB39_415
; %bb.414:
	global_store_short v[6:7], v12, off
	s_mov_b64 s[8:9], 0
.LBB39_415:
	s_mov_b64 s[6:7], 0
.LBB39_416:
	s_and_b64 vcc, exec, s[6:7]
	s_cbranch_vccz .LBB39_420
; %bb.417:
	v_cmp_ne_u16_e32 vcc, 11, v16
	s_andn2_b64 s[6:7], s[8:9], exec
	s_and_b64 s[8:9], vcc, exec
	s_mov_b64 s[0:1], -1
	s_or_b64 s[8:9], s[6:7], s[8:9]
	s_branch .LBB39_420
.LBB39_418:
	s_mov_b64 s[0:1], 0
	s_mov_b64 s[2:3], -1
	s_mov_b64 s[8:9], s[80:81]
	s_branch .LBB39_420
.LBB39_419:
	s_mov_b64 s[0:1], 0
.LBB39_420:
	s_and_b64 s[14:15], s[2:3], exec
	s_and_b64 s[10:11], s[0:1], exec
	s_andn2_b64 s[0:1], s[80:81], exec
	s_and_b64 s[2:3], s[8:9], exec
	s_or_b64 s[12:13], s[0:1], s[2:3]
.LBB39_421:
	s_or_b64 exec, exec, s[82:83]
	s_andn2_b64 s[0:1], s[80:81], exec
	s_and_b64 s[2:3], s[12:13], exec
	s_and_b64 s[14:15], s[14:15], exec
	;; [unrolled: 1-line block ×3, first 2 shown]
	s_or_b64 s[80:81], s[0:1], s[2:3]
.LBB39_422:
	s_or_b64 exec, exec, s[78:79]
	s_andn2_b64 s[0:1], s[74:75], exec
	s_and_b64 s[2:3], s[80:81], exec
	s_and_b64 s[12:13], s[14:15], exec
	s_and_b64 s[10:11], s[8:9], exec
	s_or_b64 s[74:75], s[0:1], s[2:3]
.LBB39_423:
	s_or_b64 exec, exec, s[76:77]
	s_andn2_b64 s[0:1], s[70:71], exec
	s_and_b64 s[2:3], s[74:75], exec
	s_and_b64 s[8:9], s[12:13], exec
	;; [unrolled: 1-line block ×3, first 2 shown]
	s_or_b64 s[70:71], s[0:1], s[2:3]
	s_or_b64 exec, exec, s[72:73]
	s_mov_b64 s[0:1], 0
	s_and_saveexec_b64 s[2:3], s[70:71]
	s_cbranch_execz .LBB39_122
.LBB39_424:
	s_mov_b64 s[0:1], exec
	s_andn2_b64 s[76:77], s[76:77], exec
	s_trap 2
	s_or_b64 exec, exec, s[2:3]
	s_and_saveexec_b64 s[2:3], s[76:77]
	s_xor_b64 s[2:3], exec, s[2:3]
	s_cbranch_execnz .LBB39_123
.LBB39_425:
	s_or_b64 exec, exec, s[2:3]
	s_and_saveexec_b64 s[2:3], s[8:9]
	s_xor_b64 s[2:3], exec, s[2:3]
	s_cbranch_execz .LBB39_463
.LBB39_426:
	v_cmp_gt_i16_e32 vcc, 5, v16
	s_mov_b64 s[6:7], -1
	s_cbranch_vccnz .LBB39_447
; %bb.427:
	v_cmp_gt_i16_e32 vcc, 8, v16
	s_cbranch_vccnz .LBB39_437
; %bb.428:
	v_cmp_gt_i16_e32 vcc, 9, v16
	s_cbranch_vccnz .LBB39_434
; %bb.429:
	v_cmp_lt_i16_e32 vcc, 9, v16
	s_cbranch_vccz .LBB39_431
; %bb.430:
	v_mov_b32_e32 v2, 0
	v_mov_b32_e32 v3, v2
	s_mov_b64 s[6:7], 0
	global_store_dwordx4 v[6:7], v[0:3], off
.LBB39_431:
	s_andn2_b64 vcc, exec, s[6:7]
	s_cbranch_vccnz .LBB39_433
; %bb.432:
	v_mov_b32_e32 v5, 0
	global_store_dwordx2 v[6:7], v[4:5], off
.LBB39_433:
	s_mov_b64 s[6:7], 0
.LBB39_434:
	s_andn2_b64 vcc, exec, s[6:7]
	s_cbranch_vccnz .LBB39_436
; %bb.435:
	global_store_dword v[6:7], v8, off
.LBB39_436:
	s_mov_b64 s[6:7], 0
.LBB39_437:
	s_andn2_b64 vcc, exec, s[6:7]
	s_cbranch_vccnz .LBB39_446
; %bb.438:
	v_cmp_gt_i16_e32 vcc, 6, v16
	s_mov_b64 s[6:7], -1
	s_cbranch_vccnz .LBB39_444
; %bb.439:
	v_cmp_lt_i16_e32 vcc, 6, v16
	s_cbranch_vccz .LBB39_441
; %bb.440:
	s_mov_b64 s[6:7], 0
	global_store_dwordx2 v[6:7], v[0:1], off
.LBB39_441:
	s_andn2_b64 vcc, exec, s[6:7]
	s_cbranch_vccnz .LBB39_443
; %bb.442:
	global_store_dword v[6:7], v4, off
.LBB39_443:
	s_mov_b64 s[6:7], 0
.LBB39_444:
	s_andn2_b64 vcc, exec, s[6:7]
	s_cbranch_vccnz .LBB39_446
; %bb.445:
	global_store_short v[6:7], v8, off
.LBB39_446:
	s_mov_b64 s[6:7], 0
.LBB39_447:
	s_andn2_b64 vcc, exec, s[6:7]
	s_cbranch_vccnz .LBB39_463
; %bb.448:
	v_cmp_gt_i16_e32 vcc, 2, v16
	s_mov_b64 s[6:7], -1
	s_cbranch_vccnz .LBB39_458
; %bb.449:
	v_cmp_gt_i16_e32 vcc, 3, v16
	s_cbranch_vccnz .LBB39_455
; %bb.450:
	v_cmp_lt_i16_e32 vcc, 3, v16
	s_cbranch_vccz .LBB39_452
; %bb.451:
	v_pk_mov_b32 v[0:1], s[40:41], s[40:41] op_sel:[0,1]
	s_mov_b64 s[6:7], 0
	global_store_dwordx2 v[6:7], v[0:1], off
.LBB39_452:
	s_andn2_b64 vcc, exec, s[6:7]
	s_cbranch_vccnz .LBB39_454
; %bb.453:
	v_mov_b32_e32 v0, s84
	global_store_dword v[6:7], v0, off
.LBB39_454:
	s_mov_b64 s[6:7], 0
.LBB39_455:
	s_andn2_b64 vcc, exec, s[6:7]
	s_cbranch_vccnz .LBB39_457
; %bb.456:
	v_mov_b32_e32 v0, s38
	global_store_short v[6:7], v0, off
.LBB39_457:
	s_mov_b64 s[6:7], 0
.LBB39_458:
	s_andn2_b64 vcc, exec, s[6:7]
	s_cbranch_vccnz .LBB39_463
; %bb.459:
	v_cmp_lt_i16_e32 vcc, 0, v16
	s_mov_b64 s[6:7], -1
	s_cbranch_vccz .LBB39_461
; %bb.460:
	v_mov_b32_e32 v0, s38
	s_mov_b64 s[6:7], 0
	global_store_byte v[6:7], v0, off
.LBB39_461:
	s_andn2_b64 vcc, exec, s[6:7]
	s_cbranch_vccnz .LBB39_463
; %bb.462:
	v_mov_b32_e32 v0, s38
	global_store_byte v[6:7], v0, off
.LBB39_463:
	s_or_b64 exec, exec, s[2:3]
	s_and_b64 s[6:7], s[0:1], exec
                                        ; implicit-def: $vgpr8
                                        ; implicit-def: $vgpr9
.LBB39_464:
	s_or_saveexec_b64 s[24:25], s[36:37]
	s_mov_b64 s[0:1], 0
                                        ; implicit-def: $vgpr2
                                        ; implicit-def: $vgpr0_vgpr1
                                        ; implicit-def: $sgpr14
	s_xor_b64 exec, exec, s[24:25]
	s_cbranch_execz .LBB39_950
; %bb.465:
	v_cndmask_b32_e64 v0, 0, 1, s[34:35]
	v_cmp_ne_u32_e64 s[0:1], 1, v0
	s_andn2_b64 vcc, exec, s[34:35]
	s_cbranch_vccnz .LBB39_471
; %bb.466:
	s_mov_b32 s30, 0
	s_cmp_eq_u32 s33, 0
	v_mov_b32_e32 v6, 0
	s_cbranch_scc1 .LBB39_475
; %bb.467:
	s_min_u32 s31, s39, 15
	s_add_i32 s31, s31, 1
	s_cmp_eq_u32 s39, 2
	v_mov_b32_e32 v6, 0
	s_cbranch_scc1 .LBB39_472
; %bb.468:
	s_add_u32 s2, s28, 0xc4
	s_addc_u32 s3, s29, 0
	s_and_b32 s30, s31, 28
	s_mov_b32 s34, 0
	v_mov_b32_e32 v6, 0
	s_mov_b64 s[26:27], s[28:29]
	v_mov_b32_e32 v0, v9
.LBB39_469:                             ; =>This Inner Loop Header: Depth=1
	s_load_dwordx8 s[8:15], s[26:27], 0x4
	s_load_dwordx4 s[16:19], s[26:27], 0x24
	s_load_dwordx4 s[20:23], s[2:3], 0x0
	s_add_u32 s26, s26, 48
	s_addc_u32 s27, s27, 0
	s_waitcnt lgkmcnt(0)
	v_mul_hi_u32 v1, s9, v0
	v_add_u32_e32 v1, v0, v1
	v_lshrrev_b32_e32 v1, s10, v1
	v_mul_lo_u32 v2, v1, s8
	v_mul_hi_u32 v3, s12, v1
	v_sub_u32_e32 v0, v0, v2
	v_add_u32_e32 v2, v1, v3
	v_lshrrev_b32_e32 v2, s13, v2
	v_mul_lo_u32 v3, v2, s11
	v_mul_hi_u32 v4, s15, v2
	v_sub_u32_e32 v1, v1, v3
	v_add_u32_e32 v3, v2, v4
	v_mul_lo_u32 v0, v0, s20
	v_mul_lo_u32 v1, v1, s21
	v_lshrrev_b32_e32 v3, s16, v3
	v_add3_u32 v1, v0, v6, v1
	v_mul_lo_u32 v0, v3, s14
	v_mul_hi_u32 v4, s18, v3
	v_sub_u32_e32 v0, v2, v0
	v_add_u32_e32 v2, v3, v4
	v_mul_lo_u32 v4, v0, s22
	v_lshrrev_b32_e32 v0, s19, v2
	s_add_i32 s34, s34, 4
	v_mul_lo_u32 v2, v0, s17
	s_add_u32 s2, s2, 16
	v_sub_u32_e32 v2, v3, v2
	s_addc_u32 s3, s3, 0
	v_mul_lo_u32 v2, v2, s23
	s_cmp_lg_u32 s30, s34
	v_add3_u32 v6, v4, v1, v2
	s_cbranch_scc1 .LBB39_469
; %bb.470:
	s_and_b32 s10, s31, 3
	s_cmp_eq_u32 s10, 0
	s_cbranch_scc0 .LBB39_473
	s_branch .LBB39_475
.LBB39_471:
                                        ; implicit-def: $vgpr6
	s_branch .LBB39_476
.LBB39_472:
	v_mov_b32_e32 v0, v9
	s_and_b32 s10, s31, 3
	s_cmp_eq_u32 s10, 0
	s_cbranch_scc1 .LBB39_475
.LBB39_473:
	s_lshl_b32 s2, s30, 2
	s_add_u32 s2, s2, s28
	s_addc_u32 s3, 0, s29
	s_add_u32 s2, s2, 0xc4
	s_addc_u32 s3, s3, 0
	s_mul_i32 s8, s30, 12
	s_add_u32 s8, s28, s8
	s_addc_u32 s9, 0, s29
.LBB39_474:                             ; =>This Inner Loop Header: Depth=1
	s_load_dwordx2 s[12:13], s[8:9], 0x4
	s_load_dword s11, s[8:9], 0xc
	s_load_dword s14, s[2:3], 0x0
	s_add_u32 s8, s8, 12
	s_addc_u32 s9, s9, 0
	s_waitcnt lgkmcnt(0)
	v_mul_hi_u32 v1, s13, v0
	v_add_u32_e32 v1, v0, v1
	v_lshrrev_b32_e32 v1, s11, v1
	s_add_u32 s2, s2, 4
	v_mul_lo_u32 v2, v1, s12
	s_addc_u32 s3, s3, 0
	s_add_i32 s10, s10, -1
	v_sub_u32_e32 v2, v0, v2
	s_cmp_lg_u32 s10, 0
	v_mov_b32_e32 v0, v1
	v_mad_u64_u32 v[6:7], s[12:13], v2, s14, v[6:7]
	s_cbranch_scc1 .LBB39_474
.LBB39_475:
	s_cbranch_execnz .LBB39_478
.LBB39_476:
	s_load_dwordx4 s[8:11], s[28:29], 0x4
	s_load_dword s2, s[28:29], 0xc4
	s_cmp_lt_u32 s33, 2
	s_waitcnt lgkmcnt(0)
	v_mul_hi_u32 v0, s9, v9
	v_add_u32_e32 v0, v9, v0
	v_lshrrev_b32_e32 v0, s10, v0
	v_mul_lo_u32 v1, v0, s8
	v_sub_u32_e32 v1, v9, v1
	v_mul_lo_u32 v6, v1, s2
	s_cbranch_scc1 .LBB39_478
; %bb.477:
	s_load_dwordx4 s[8:11], s[28:29], 0x10
	s_load_dword s2, s[28:29], 0xc8
	s_waitcnt lgkmcnt(0)
	v_mul_hi_u32 v1, s9, v0
	v_add_u32_e32 v1, v0, v1
	v_lshrrev_b32_e32 v1, s10, v1
	v_mul_lo_u32 v1, v1, s8
	v_sub_u32_e32 v0, v0, v1
	v_mad_u64_u32 v[6:7], s[2:3], v0, s2, v[6:7]
.LBB39_478:
	s_and_b64 vcc, exec, s[0:1]
	v_add_u32_e32 v0, 0x80, v9
	s_cbranch_vccnz .LBB39_484
; %bb.479:
	s_mov_b32 s30, 0
	s_cmp_eq_u32 s33, 0
	v_mov_b32_e32 v4, 0
	s_cbranch_scc1 .LBB39_488
; %bb.480:
	s_min_u32 s31, s39, 15
	s_add_i32 s31, s31, 1
	s_cmp_eq_u32 s39, 2
	v_mov_b32_e32 v4, 0
	s_cbranch_scc1 .LBB39_485
; %bb.481:
	s_add_u32 s2, s28, 0xc4
	s_addc_u32 s3, s29, 0
	s_and_b32 s30, s31, 28
	s_mov_b32 s34, 0
	v_mov_b32_e32 v4, 0
	s_mov_b64 s[26:27], s[28:29]
	v_mov_b32_e32 v1, v0
.LBB39_482:                             ; =>This Inner Loop Header: Depth=1
	s_load_dwordx8 s[8:15], s[26:27], 0x4
	s_load_dwordx4 s[16:19], s[26:27], 0x24
	s_load_dwordx4 s[20:23], s[2:3], 0x0
	s_add_u32 s26, s26, 48
	s_addc_u32 s27, s27, 0
	s_waitcnt lgkmcnt(0)
	v_mul_hi_u32 v2, s9, v1
	v_add_u32_e32 v2, v1, v2
	v_lshrrev_b32_e32 v2, s10, v2
	v_mul_lo_u32 v3, v2, s8
	v_mul_hi_u32 v5, s12, v2
	v_sub_u32_e32 v1, v1, v3
	v_add_u32_e32 v3, v2, v5
	v_lshrrev_b32_e32 v3, s13, v3
	v_mul_lo_u32 v5, v3, s11
	v_mul_hi_u32 v7, s15, v3
	v_sub_u32_e32 v2, v2, v5
	v_add_u32_e32 v5, v3, v7
	v_mul_lo_u32 v1, v1, s20
	v_mul_lo_u32 v2, v2, s21
	v_lshrrev_b32_e32 v5, s16, v5
	v_add3_u32 v2, v1, v4, v2
	v_mul_lo_u32 v1, v5, s14
	v_mul_hi_u32 v4, s18, v5
	v_sub_u32_e32 v1, v3, v1
	v_add_u32_e32 v3, v5, v4
	v_mul_lo_u32 v4, v1, s22
	v_lshrrev_b32_e32 v1, s19, v3
	s_add_i32 s34, s34, 4
	v_mul_lo_u32 v3, v1, s17
	s_add_u32 s2, s2, 16
	v_sub_u32_e32 v3, v5, v3
	s_addc_u32 s3, s3, 0
	v_mul_lo_u32 v3, v3, s23
	s_cmp_lg_u32 s30, s34
	v_add3_u32 v4, v4, v2, v3
	s_cbranch_scc1 .LBB39_482
; %bb.483:
	s_and_b32 s10, s31, 3
	s_cmp_eq_u32 s10, 0
	s_cbranch_scc0 .LBB39_486
	s_branch .LBB39_488
.LBB39_484:
                                        ; implicit-def: $vgpr4
	s_branch .LBB39_489
.LBB39_485:
	v_mov_b32_e32 v1, v0
	s_and_b32 s10, s31, 3
	s_cmp_eq_u32 s10, 0
	s_cbranch_scc1 .LBB39_488
.LBB39_486:
	s_lshl_b32 s2, s30, 2
	s_add_u32 s2, s2, s28
	s_addc_u32 s3, 0, s29
	s_add_u32 s2, s2, 0xc4
	s_addc_u32 s3, s3, 0
	s_mul_i32 s8, s30, 12
	s_add_u32 s8, s28, s8
	s_addc_u32 s9, 0, s29
.LBB39_487:                             ; =>This Inner Loop Header: Depth=1
	s_load_dwordx2 s[12:13], s[8:9], 0x4
	s_load_dword s11, s[8:9], 0xc
	s_load_dword s14, s[2:3], 0x0
	s_add_u32 s8, s8, 12
	s_addc_u32 s9, s9, 0
	s_waitcnt lgkmcnt(0)
	v_mul_hi_u32 v2, s13, v1
	v_add_u32_e32 v2, v1, v2
	v_lshrrev_b32_e32 v2, s11, v2
	s_add_u32 s2, s2, 4
	v_mul_lo_u32 v3, v2, s12
	s_addc_u32 s3, s3, 0
	s_add_i32 s10, s10, -1
	v_sub_u32_e32 v3, v1, v3
	s_cmp_lg_u32 s10, 0
	v_mov_b32_e32 v1, v2
	v_mad_u64_u32 v[4:5], s[12:13], v3, s14, v[4:5]
	s_cbranch_scc1 .LBB39_487
.LBB39_488:
	s_cbranch_execnz .LBB39_491
.LBB39_489:
	s_load_dwordx4 s[8:11], s[28:29], 0x4
	s_load_dword s2, s[28:29], 0xc4
	s_cmp_lt_u32 s33, 2
	s_waitcnt lgkmcnt(0)
	v_mul_hi_u32 v1, s9, v0
	v_add_u32_e32 v1, v0, v1
	v_lshrrev_b32_e32 v1, s10, v1
	v_mul_lo_u32 v2, v1, s8
	v_sub_u32_e32 v0, v0, v2
	v_mul_lo_u32 v4, v0, s2
	s_cbranch_scc1 .LBB39_491
; %bb.490:
	s_load_dwordx4 s[8:11], s[28:29], 0x10
	s_load_dword s2, s[28:29], 0xc8
	s_waitcnt lgkmcnt(0)
	v_mul_hi_u32 v0, s9, v1
	v_add_u32_e32 v0, v1, v0
	v_lshrrev_b32_e32 v0, s10, v0
	v_mul_lo_u32 v0, v0, s8
	v_sub_u32_e32 v0, v1, v0
	v_mad_u64_u32 v[4:5], s[2:3], v0, s2, v[4:5]
.LBB39_491:
	s_and_b64 vcc, exec, s[0:1]
	v_add_u32_e32 v0, 0x100, v9
	s_cbranch_vccnz .LBB39_497
; %bb.492:
	s_mov_b32 s30, 0
	s_cmp_eq_u32 s33, 0
	v_mov_b32_e32 v2, 0
	s_cbranch_scc1 .LBB39_501
; %bb.493:
	s_min_u32 s31, s39, 15
	s_add_i32 s31, s31, 1
	s_cmp_eq_u32 s39, 2
	v_mov_b32_e32 v2, 0
	s_cbranch_scc1 .LBB39_498
; %bb.494:
	s_add_u32 s2, s28, 0xc4
	s_addc_u32 s3, s29, 0
	s_and_b32 s30, s31, 28
	s_mov_b32 s34, 0
	v_mov_b32_e32 v2, 0
	s_mov_b64 s[26:27], s[28:29]
	v_mov_b32_e32 v1, v0
.LBB39_495:                             ; =>This Inner Loop Header: Depth=1
	s_load_dwordx8 s[8:15], s[26:27], 0x4
	s_load_dwordx4 s[16:19], s[26:27], 0x24
	s_load_dwordx4 s[20:23], s[2:3], 0x0
	s_add_u32 s26, s26, 48
	s_addc_u32 s27, s27, 0
	s_waitcnt lgkmcnt(0)
	v_mul_hi_u32 v3, s9, v1
	v_add_u32_e32 v3, v1, v3
	v_lshrrev_b32_e32 v3, s10, v3
	v_mul_lo_u32 v5, v3, s8
	v_mul_hi_u32 v7, s12, v3
	v_sub_u32_e32 v1, v1, v5
	v_add_u32_e32 v5, v3, v7
	v_lshrrev_b32_e32 v5, s13, v5
	v_mul_lo_u32 v7, v5, s11
	v_mul_hi_u32 v9, s15, v5
	v_sub_u32_e32 v3, v3, v7
	v_add_u32_e32 v7, v5, v9
	v_mul_lo_u32 v1, v1, s20
	v_mul_lo_u32 v3, v3, s21
	v_lshrrev_b32_e32 v7, s16, v7
	v_add3_u32 v2, v1, v2, v3
	v_mul_lo_u32 v1, v7, s14
	v_mul_hi_u32 v3, s18, v7
	v_sub_u32_e32 v1, v5, v1
	v_add_u32_e32 v3, v7, v3
	v_mul_lo_u32 v5, v1, s22
	v_lshrrev_b32_e32 v1, s19, v3
	s_add_i32 s34, s34, 4
	v_mul_lo_u32 v3, v1, s17
	s_add_u32 s2, s2, 16
	v_sub_u32_e32 v3, v7, v3
	s_addc_u32 s3, s3, 0
	v_mul_lo_u32 v3, v3, s23
	s_cmp_lg_u32 s30, s34
	v_add3_u32 v2, v5, v2, v3
	s_cbranch_scc1 .LBB39_495
; %bb.496:
	s_and_b32 s10, s31, 3
	s_cmp_eq_u32 s10, 0
	s_cbranch_scc0 .LBB39_499
	s_branch .LBB39_501
.LBB39_497:
                                        ; implicit-def: $vgpr2
	s_branch .LBB39_502
.LBB39_498:
	v_mov_b32_e32 v1, v0
	s_and_b32 s10, s31, 3
	s_cmp_eq_u32 s10, 0
	s_cbranch_scc1 .LBB39_501
.LBB39_499:
	s_lshl_b32 s2, s30, 2
	s_add_u32 s2, s2, s28
	s_addc_u32 s3, 0, s29
	s_add_u32 s2, s2, 0xc4
	s_addc_u32 s3, s3, 0
	s_mul_i32 s8, s30, 12
	s_add_u32 s8, s28, s8
	s_addc_u32 s9, 0, s29
.LBB39_500:                             ; =>This Inner Loop Header: Depth=1
	s_load_dwordx2 s[12:13], s[8:9], 0x4
	s_load_dword s11, s[8:9], 0xc
	s_load_dword s14, s[2:3], 0x0
	s_add_u32 s8, s8, 12
	s_addc_u32 s9, s9, 0
	s_waitcnt lgkmcnt(0)
	v_mul_hi_u32 v3, s13, v1
	v_add_u32_e32 v3, v1, v3
	v_lshrrev_b32_e32 v3, s11, v3
	s_add_u32 s2, s2, 4
	v_mul_lo_u32 v5, v3, s12
	s_addc_u32 s3, s3, 0
	s_add_i32 s10, s10, -1
	v_sub_u32_e32 v5, v1, v5
	s_cmp_lg_u32 s10, 0
	v_mov_b32_e32 v1, v3
	v_mad_u64_u32 v[2:3], s[12:13], v5, s14, v[2:3]
	s_cbranch_scc1 .LBB39_500
.LBB39_501:
	s_cbranch_execnz .LBB39_504
.LBB39_502:
	s_load_dwordx4 s[8:11], s[28:29], 0x4
	s_load_dword s2, s[28:29], 0xc4
	s_cmp_lt_u32 s33, 2
	s_waitcnt lgkmcnt(0)
	v_mul_hi_u32 v1, s9, v0
	v_add_u32_e32 v1, v0, v1
	v_lshrrev_b32_e32 v1, s10, v1
	v_mul_lo_u32 v2, v1, s8
	v_sub_u32_e32 v0, v0, v2
	v_mul_lo_u32 v2, v0, s2
	s_cbranch_scc1 .LBB39_504
; %bb.503:
	s_load_dwordx4 s[8:11], s[28:29], 0x10
	s_load_dword s2, s[28:29], 0xc8
	s_waitcnt lgkmcnt(0)
	v_mul_hi_u32 v0, s9, v1
	v_add_u32_e32 v0, v1, v0
	v_lshrrev_b32_e32 v0, s10, v0
	v_mul_lo_u32 v0, v0, s8
	v_sub_u32_e32 v0, v1, v0
	v_mad_u64_u32 v[2:3], s[2:3], v0, s2, v[2:3]
.LBB39_504:
	s_and_b64 vcc, exec, s[0:1]
	s_cbranch_vccnz .LBB39_510
; %bb.505:
	s_mov_b32 s26, 0
	s_cmp_eq_u32 s33, 0
	v_mov_b32_e32 v0, 0
	s_cbranch_scc1 .LBB39_514
; %bb.506:
	s_min_u32 s27, s39, 15
	s_add_i32 s27, s27, 1
	s_cmp_eq_u32 s39, 2
	v_mov_b32_e32 v0, 0
	s_cbranch_scc1 .LBB39_511
; %bb.507:
	s_add_u32 s20, s28, 0xc4
	s_addc_u32 s21, s29, 0
	s_and_b32 s26, s27, 28
	s_mov_b32 s30, 0
	v_mov_b32_e32 v0, 0
	s_mov_b64 s[22:23], s[28:29]
	v_mov_b32_e32 v3, v8
.LBB39_508:                             ; =>This Inner Loop Header: Depth=1
	s_load_dwordx8 s[8:15], s[22:23], 0x4
	s_load_dwordx4 s[0:3], s[22:23], 0x24
	s_load_dwordx4 s[16:19], s[20:21], 0x0
	s_add_u32 s22, s22, 48
	s_addc_u32 s23, s23, 0
	s_waitcnt lgkmcnt(0)
	v_mul_hi_u32 v1, s9, v3
	v_add_u32_e32 v1, v3, v1
	v_lshrrev_b32_e32 v1, s10, v1
	v_mul_lo_u32 v5, v1, s8
	v_mul_hi_u32 v7, s12, v1
	v_sub_u32_e32 v3, v3, v5
	v_add_u32_e32 v5, v1, v7
	v_lshrrev_b32_e32 v5, s13, v5
	v_mul_lo_u32 v7, v5, s11
	v_mul_hi_u32 v9, s15, v5
	v_sub_u32_e32 v1, v1, v7
	v_add_u32_e32 v7, v5, v9
	v_mul_lo_u32 v3, v3, s16
	v_mul_lo_u32 v1, v1, s17
	v_lshrrev_b32_e32 v7, s0, v7
	v_add3_u32 v0, v3, v0, v1
	v_mul_hi_u32 v3, s2, v7
	v_add_u32_e32 v3, v7, v3
	v_mul_lo_u32 v1, v7, s14
	v_lshrrev_b32_e32 v3, s3, v3
	s_add_i32 s30, s30, 4
	v_sub_u32_e32 v1, v5, v1
	v_mul_lo_u32 v5, v3, s1
	s_add_u32 s20, s20, 16
	v_sub_u32_e32 v5, v7, v5
	s_addc_u32 s21, s21, 0
	v_mul_lo_u32 v1, v1, s18
	v_mul_lo_u32 v5, v5, s19
	s_cmp_lg_u32 s26, s30
	v_add3_u32 v0, v1, v0, v5
	s_cbranch_scc1 .LBB39_508
; %bb.509:
	s_and_b32 s8, s27, 3
	s_cmp_eq_u32 s8, 0
	s_cbranch_scc0 .LBB39_512
	s_branch .LBB39_514
.LBB39_510:
                                        ; implicit-def: $vgpr0
	s_branch .LBB39_515
.LBB39_511:
	v_mov_b32_e32 v3, v8
	s_and_b32 s8, s27, 3
	s_cmp_eq_u32 s8, 0
	s_cbranch_scc1 .LBB39_514
.LBB39_512:
	s_lshl_b32 s0, s26, 2
	s_add_u32 s0, s0, s28
	s_addc_u32 s1, 0, s29
	s_add_u32 s0, s0, 0xc4
	s_addc_u32 s1, s1, 0
	s_mul_i32 s2, s26, 12
	s_add_u32 s2, s28, s2
	s_addc_u32 s3, 0, s29
.LBB39_513:                             ; =>This Inner Loop Header: Depth=1
	s_load_dwordx2 s[10:11], s[2:3], 0x4
	s_load_dword s9, s[2:3], 0xc
	s_load_dword s12, s[0:1], 0x0
	s_add_u32 s2, s2, 12
	s_addc_u32 s3, s3, 0
	s_waitcnt lgkmcnt(0)
	v_mul_hi_u32 v1, s11, v3
	v_add_u32_e32 v1, v3, v1
	v_lshrrev_b32_e32 v1, s9, v1
	s_add_u32 s0, s0, 4
	v_mul_lo_u32 v5, v1, s10
	s_addc_u32 s1, s1, 0
	s_add_i32 s8, s8, -1
	v_sub_u32_e32 v5, v3, v5
	s_cmp_lg_u32 s8, 0
	v_mov_b32_e32 v3, v1
	v_mad_u64_u32 v[0:1], s[10:11], v5, s12, v[0:1]
	s_cbranch_scc1 .LBB39_513
.LBB39_514:
	s_cbranch_execnz .LBB39_517
.LBB39_515:
	s_load_dwordx4 s[0:3], s[28:29], 0x4
	s_waitcnt lgkmcnt(0)
	s_load_dword s3, s[28:29], 0xc4
	s_cmp_lt_u32 s33, 2
	v_mul_hi_u32 v0, s1, v8
	v_add_u32_e32 v0, v8, v0
	v_lshrrev_b32_e32 v1, s2, v0
	v_mul_lo_u32 v0, v1, s0
	v_sub_u32_e32 v0, v8, v0
	s_waitcnt lgkmcnt(0)
	v_mul_lo_u32 v0, v0, s3
	s_cbranch_scc1 .LBB39_517
; %bb.516:
	s_load_dwordx4 s[0:3], s[28:29], 0x10
	s_waitcnt lgkmcnt(0)
	s_load_dword s3, s[28:29], 0xc8
	v_mul_hi_u32 v3, s1, v1
	v_add_u32_e32 v3, v1, v3
	v_lshrrev_b32_e32 v3, s2, v3
	v_mul_lo_u32 v3, v3, s0
	v_sub_u32_e32 v1, v1, v3
	s_waitcnt lgkmcnt(0)
	v_mad_u64_u32 v[0:1], s[0:1], v1, s3, v[0:1]
.LBB39_517:
	s_load_dwordx2 s[0:1], s[28:29], 0x108
	s_load_dword s14, s[28:29], 0x110
	s_load_dword s2, s[4:5], 0x118
	s_waitcnt lgkmcnt(0)
	v_mov_b32_e32 v1, s1
	v_add_co_u32_e32 v6, vcc, s0, v6
	v_addc_co_u32_e32 v7, vcc, 0, v1, vcc
	s_lshr_b32 s15, s2, 16
	v_mov_b32_e32 v1, 11
	v_cmp_lt_i16_sdwa s[2:3], s15, v1 src0_sel:BYTE_0 src1_sel:DWORD
	s_and_b64 vcc, exec, s[2:3]
	s_cbranch_vccnz .LBB39_524
; %bb.518:
	v_mov_b32_e32 v1, 25
	v_cmp_gt_i16_sdwa s[2:3], s15, v1 src0_sel:BYTE_0 src1_sel:DWORD
	s_mov_b64 s[10:11], -1
	s_mov_b64 s[4:5], 0
	s_and_b64 vcc, exec, s[2:3]
	s_mov_b64 s[8:9], 0
	s_mov_b64 s[2:3], 0
	s_cbranch_vccz .LBB39_556
; %bb.519:
	v_mov_b32_e32 v1, 28
	v_cmp_gt_i16_sdwa s[2:3], s15, v1 src0_sel:BYTE_0 src1_sel:DWORD
	s_and_b64 vcc, exec, s[2:3]
	s_cbranch_vccz .LBB39_526
; %bb.520:
	v_mov_b32_e32 v1, 43
	v_cmp_gt_i16_sdwa s[2:3], s15, v1 src0_sel:BYTE_0 src1_sel:DWORD
	s_and_b64 vcc, exec, s[2:3]
	;; [unrolled: 5-line block ×3, first 2 shown]
	s_cbranch_vccz .LBB39_528
; %bb.522:
	v_mov_b32_e32 v1, 46
	v_cmp_eq_u16_sdwa s[8:9], s15, v1 src0_sel:BYTE_0 src1_sel:DWORD
	s_mov_b64 s[2:3], -1
	s_mov_b64 s[10:11], 0
	s_and_b64 vcc, exec, s[8:9]
	s_mov_b64 s[8:9], 0
	s_cbranch_vccz .LBB39_529
; %bb.523:
	s_sext_i32_i16 s2, s14
	v_cvt_f32_i32_e32 v1, s2
	s_mov_b64 s[2:3], 0
	s_mov_b64 s[8:9], -1
	v_bfe_u32 v3, v1, 16, 1
	v_add_u32_e32 v1, v1, v3
	v_add_u32_e32 v1, 0x7fff, v1
	v_lshrrev_b32_e32 v1, 16, v1
	global_store_dword v[6:7], v1, off
	s_branch .LBB39_529
.LBB39_524:
	s_mov_b64 s[8:9], 0
	s_mov_b64 s[2:3], s[6:7]
	s_cbranch_execnz .LBB39_606
.LBB39_525:
	s_andn2_b64 vcc, exec, s[8:9]
	s_cbranch_vccz .LBB39_644
	s_branch .LBB39_948
.LBB39_526:
	s_mov_b64 s[2:3], 0
	s_and_b64 vcc, exec, s[10:11]
	s_cbranch_vccz .LBB39_555
	s_branch .LBB39_538
.LBB39_527:
	s_mov_b64 s[2:3], 0
	s_and_b64 vcc, exec, s[10:11]
	s_cbranch_vccnz .LBB39_535
	s_branch .LBB39_537
.LBB39_528:
	s_mov_b64 s[2:3], 0
.LBB39_529:
	s_and_b64 vcc, exec, s[10:11]
	s_cbranch_vccz .LBB39_534
; %bb.530:
	v_mov_b32_e32 v1, 44
	v_cmp_eq_u16_sdwa s[10:11], s15, v1 src0_sel:BYTE_0 src1_sel:DWORD
	s_mov_b64 s[2:3], -1
	s_and_b64 vcc, exec, s[10:11]
	s_cbranch_vccz .LBB39_534
; %bb.531:
	s_sext_i32_i16 s2, s14
	v_cvt_f32_i32_e32 v1, s2
	v_mov_b32_e32 v3, 0xff
	v_readfirstlane_b32 s2, v1
	s_bfe_u32 s3, s2, 0x80017
	s_cmpk_eq_i32 s3, 0xff
	s_cbranch_scc1 .LBB39_533
; %bb.532:
	s_bitcmp1_b32 s2, 22
	s_cselect_b64 s[8:9], -1, 0
	s_and_b32 s2, s2, 0x3fffff
	s_or_b32 s2, s3, s2
	s_cmp_lg_u32 s2, 0
	s_cselect_b64 s[2:3], -1, 0
	s_and_b64 s[2:3], s[8:9], s[2:3]
	v_lshrrev_b32_e32 v1, 23, v1
	v_cndmask_b32_e64 v3, 0, 1, s[2:3]
	v_add_u32_e32 v3, v1, v3
.LBB39_533:
	s_mov_b64 s[2:3], 0
	s_mov_b64 s[8:9], -1
	global_store_byte v[6:7], v3, off
.LBB39_534:
	s_branch .LBB39_537
.LBB39_535:
	v_mov_b32_e32 v1, 29
	v_cmp_eq_u16_sdwa s[10:11], s15, v1 src0_sel:BYTE_0 src1_sel:DWORD
	s_mov_b64 s[2:3], -1
	s_and_b64 vcc, exec, s[10:11]
	s_cbranch_vccz .LBB39_537
; %bb.536:
	s_sext_i32_i16 s2, s14
	s_ashr_i32 s3, s2, 31
	v_mov_b32_e32 v8, s2
	v_mov_b32_e32 v9, s3
	global_store_dwordx2 v[6:7], v[8:9], off
	s_mov_b64 s[2:3], 0
	s_mov_b64 s[8:9], -1
.LBB39_537:
	s_branch .LBB39_555
.LBB39_538:
	v_mov_b32_e32 v1, 27
	v_cmp_lt_i16_sdwa s[10:11], s15, v1 src0_sel:BYTE_0 src1_sel:DWORD
	s_mov_b64 s[8:9], -1
	s_and_b64 vcc, exec, s[10:11]
	s_cbranch_vccnz .LBB39_544
; %bb.539:
	v_cmp_gt_i16_sdwa s[10:11], s15, v1 src0_sel:BYTE_0 src1_sel:DWORD
	s_and_b64 vcc, exec, s[10:11]
	s_cbranch_vccz .LBB39_541
; %bb.540:
	s_sext_i32_i16 s8, s14
	v_mov_b32_e32 v1, s8
	s_mov_b64 s[8:9], 0
	global_store_dword v[6:7], v1, off
.LBB39_541:
	s_andn2_b64 vcc, exec, s[8:9]
	s_cbranch_vccnz .LBB39_543
; %bb.542:
	v_mov_b32_e32 v1, s14
	global_store_short v[6:7], v1, off
.LBB39_543:
	s_mov_b64 s[8:9], 0
.LBB39_544:
	s_andn2_b64 vcc, exec, s[8:9]
	s_cbranch_vccnz .LBB39_554
; %bb.545:
	s_sext_i32_i16 s8, s14
	v_cvt_f32_i32_e32 v1, s8
	v_mov_b32_e32 v3, 0x80
	v_readfirstlane_b32 s12, v1
	s_and_b32 s8, s12, 0x7fffffff
	s_cmp_gt_u32 s8, 0x437fffff
	s_cbranch_scc1 .LBB39_553
; %bb.546:
	s_cmp_gt_u32 s8, 0x3bffffff
	s_cbranch_scc0 .LBB39_548
; %bb.547:
	s_bfe_u32 s8, s12, 0x10014
	s_add_i32 s8, s12, s8
	s_add_i32 s8, s8, 0x487ffff
	s_lshr_b32 s13, s8, 20
	s_mov_b64 s[10:11], 0
	s_mov_b64 s[8:9], -1
	s_branch .LBB39_549
.LBB39_548:
	s_mov_b64 s[10:11], -1
	s_mov_b64 s[8:9], 0
                                        ; implicit-def: $sgpr13
.LBB39_549:
	s_andn2_b64 vcc, exec, s[10:11]
	v_mov_b32_e32 v1, s13
                                        ; implicit-def: $sgpr10
	s_cbranch_vccnz .LBB39_551
; %bb.550:
	v_mov_b32_e32 v1, 0x46000000
	v_add_f32_e64 v1, |s12|, v1
	v_and_b32_e32 v1, 0xff, v1
	s_mov_b32 s10, 0
	v_cmp_ne_u32_e64 s[8:9], 0, v1
.LBB39_551:
	s_andn2_b64 vcc, exec, s[8:9]
	v_mov_b32_e32 v3, s10
	s_cbranch_vccnz .LBB39_553
; %bb.552:
	s_lshr_b32 s8, s12, 24
	s_and_b32 s8, s8, 0x80
	v_or_b32_e32 v3, s8, v1
.LBB39_553:
	global_store_byte v[6:7], v3, off
.LBB39_554:
	s_mov_b64 s[8:9], -1
.LBB39_555:
	s_mov_b64 s[10:11], 0
.LBB39_556:
	s_and_b64 vcc, exec, s[10:11]
	s_cbranch_vccz .LBB39_602
; %bb.557:
	v_mov_b32_e32 v1, 22
	v_cmp_gt_i16_sdwa s[10:11], s15, v1 src0_sel:BYTE_0 src1_sel:DWORD
	s_mov_b64 s[4:5], -1
	s_and_b64 vcc, exec, s[10:11]
	s_cbranch_vccz .LBB39_595
; %bb.558:
	v_mov_b32_e32 v1, 24
	v_cmp_lt_i16_sdwa s[8:9], s15, v1 src0_sel:BYTE_0 src1_sel:DWORD
	s_and_b64 vcc, exec, s[8:9]
	s_cbranch_vccnz .LBB39_582
; %bb.559:
	v_cmp_gt_i16_sdwa s[8:9], s15, v1 src0_sel:BYTE_0 src1_sel:DWORD
	s_and_b64 vcc, exec, s[8:9]
	s_cbranch_vccz .LBB39_569
; %bb.560:
	s_sext_i32_i16 s4, s14
	v_cvt_f32_i32_e32 v1, s4
	v_mov_b32_e32 v3, 0x80
	v_readfirstlane_b32 s10, v1
	s_and_b32 s4, s10, 0x7fffffff
	s_cmp_gt_u32 s4, 0x477fffff
	s_cbranch_scc1 .LBB39_568
; %bb.561:
	s_cmp_gt_u32 s4, 0x37ffffff
	s_cbranch_scc0 .LBB39_563
; %bb.562:
	s_bfe_u32 s4, s10, 0x10015
	s_add_i32 s4, s10, s4
	s_add_i32 s4, s4, 0x88fffff
	s_lshr_b32 s11, s4, 21
	s_mov_b64 s[8:9], 0
	s_mov_b64 s[4:5], -1
	s_branch .LBB39_564
.LBB39_563:
	s_mov_b64 s[8:9], -1
	s_mov_b64 s[4:5], 0
                                        ; implicit-def: $sgpr11
.LBB39_564:
	s_andn2_b64 vcc, exec, s[8:9]
	v_mov_b32_e32 v1, s11
                                        ; implicit-def: $sgpr8
	s_cbranch_vccnz .LBB39_566
; %bb.565:
	v_mov_b32_e32 v1, 0x42800000
	v_add_f32_e64 v1, |s10|, v1
	v_and_b32_e32 v1, 0xff, v1
	s_mov_b32 s8, 0
	v_cmp_ne_u32_e64 s[4:5], 0, v1
.LBB39_566:
	s_andn2_b64 vcc, exec, s[4:5]
	v_mov_b32_e32 v3, s8
	s_cbranch_vccnz .LBB39_568
; %bb.567:
	s_lshr_b32 s4, s10, 24
	s_and_b32 s4, s4, 0x80
	v_or_b32_e32 v3, s4, v1
.LBB39_568:
	s_mov_b64 s[4:5], 0
	global_store_byte v[6:7], v3, off
.LBB39_569:
	s_and_b64 vcc, exec, s[4:5]
	s_cbranch_vccz .LBB39_581
; %bb.570:
	s_sext_i32_i16 s4, s14
	v_cvt_f32_i32_e32 v1, s4
	v_readfirstlane_b32 s8, v1
	s_and_b32 s9, s8, 0x7fffffff
	s_cmp_lt_u32 s9, 0x43f00000
	s_cbranch_scc0 .LBB39_573
; %bb.571:
	s_cmp_gt_u32 s9, 0x3c7fffff
	s_cbranch_scc0 .LBB39_574
; %bb.572:
	s_bfe_u32 s4, s8, 0x10014
	s_add_i32 s4, s8, s4
	s_add_i32 s4, s4, 0x407ffff
	s_lshr_b32 s5, s4, 20
	s_and_b32 s4, s4, 0xff00000
	s_cmp_lg_u32 s4, 0x7f00000
	s_cselect_b32 s10, s5, 0x7e
	s_mov_b64 s[4:5], 0
	s_branch .LBB39_575
.LBB39_573:
	s_mov_b64 s[4:5], -1
                                        ; implicit-def: $vgpr3
	s_branch .LBB39_578
.LBB39_574:
	s_mov_b64 s[4:5], -1
                                        ; implicit-def: $sgpr10
.LBB39_575:
	s_andn2_b64 vcc, exec, s[4:5]
	v_mov_b32_e32 v3, s10
	s_cbranch_vccnz .LBB39_577
; %bb.576:
	s_mov_b32 s4, 0x46800000
	v_add_f32_e64 v3, |v1|, s4
.LBB39_577:
	s_mov_b64 s[4:5], 0
.LBB39_578:
	s_andn2_b64 vcc, exec, s[4:5]
	s_cbranch_vccnz .LBB39_580
; %bb.579:
	s_cmp_gt_u32 s9, 0x7f800000
	s_movk_i32 s4, 0x7f
	s_cselect_b32 s4, s4, 0x7e
	v_mov_b32_e32 v3, s4
.LBB39_580:
	s_lshr_b32 s4, s8, 24
	s_and_b32 s4, s4, 0x80
	v_or_b32_e32 v1, s4, v3
	global_store_byte v[6:7], v1, off
.LBB39_581:
	s_mov_b64 s[4:5], 0
.LBB39_582:
	s_andn2_b64 vcc, exec, s[4:5]
	s_cbranch_vccnz .LBB39_594
; %bb.583:
	s_sext_i32_i16 s4, s14
	v_cvt_f32_i32_e32 v1, s4
	v_readfirstlane_b32 s8, v1
	s_and_b32 s9, s8, 0x7fffffff
	s_cmp_lt_u32 s9, 0x47800000
	s_cbranch_scc0 .LBB39_586
; %bb.584:
	s_cmp_gt_u32 s9, 0x387fffff
	s_cbranch_scc0 .LBB39_587
; %bb.585:
	s_bfe_u32 s4, s8, 0x10015
	s_add_i32 s4, s8, s4
	s_add_i32 s4, s4, 0x80fffff
	s_lshr_b32 s10, s4, 21
	s_mov_b64 s[4:5], 0
	s_branch .LBB39_588
.LBB39_586:
	s_mov_b64 s[4:5], -1
                                        ; implicit-def: $vgpr3
	s_branch .LBB39_591
.LBB39_587:
	s_mov_b64 s[4:5], -1
                                        ; implicit-def: $sgpr10
.LBB39_588:
	s_andn2_b64 vcc, exec, s[4:5]
	v_mov_b32_e32 v3, s10
	s_cbranch_vccnz .LBB39_590
; %bb.589:
	s_mov_b32 s4, 0x43000000
	v_add_f32_e64 v3, |v1|, s4
.LBB39_590:
	s_mov_b64 s[4:5], 0
.LBB39_591:
	s_andn2_b64 vcc, exec, s[4:5]
	s_cbranch_vccnz .LBB39_593
; %bb.592:
	s_cmp_gt_u32 s9, 0x7f800000
	s_movk_i32 s4, 0x7f
	s_cselect_b32 s4, s4, 0x7c
	v_mov_b32_e32 v3, s4
.LBB39_593:
	s_lshr_b32 s4, s8, 24
	s_and_b32 s4, s4, 0x80
	v_or_b32_e32 v1, s4, v3
	global_store_byte v[6:7], v1, off
.LBB39_594:
	s_mov_b64 s[4:5], 0
	s_mov_b64 s[8:9], -1
.LBB39_595:
	s_andn2_b64 vcc, exec, s[4:5]
	s_mov_b64 s[4:5], 0
	s_cbranch_vccnz .LBB39_602
; %bb.596:
	v_mov_b32_e32 v1, 14
	v_cmp_gt_i16_sdwa s[4:5], s15, v1 src0_sel:BYTE_0 src1_sel:DWORD
	s_mov_b64 s[10:11], -1
	s_and_b64 vcc, exec, s[4:5]
	s_cbranch_vccz .LBB39_600
; %bb.597:
	v_mov_b32_e32 v1, 15
	v_cmp_eq_u16_sdwa s[4:5], s15, v1 src0_sel:BYTE_0 src1_sel:DWORD
	s_mov_b64 s[2:3], -1
	s_and_b64 vcc, exec, s[4:5]
	s_cbranch_vccz .LBB39_599
; %bb.598:
	s_sext_i32_i16 s2, s14
	v_cvt_f32_i32_e32 v1, s2
	s_mov_b64 s[2:3], 0
	s_mov_b64 s[8:9], -1
	v_bfe_u32 v3, v1, 16, 1
	v_add_u32_e32 v1, v1, v3
	v_add_u32_e32 v1, 0x7fff, v1
	global_store_short_d16_hi v[6:7], v1, off
.LBB39_599:
	s_mov_b64 s[10:11], 0
.LBB39_600:
	s_mov_b64 s[4:5], 0
	s_and_b64 vcc, exec, s[10:11]
	s_cbranch_vccz .LBB39_602
; %bb.601:
	v_mov_b32_e32 v1, 11
	v_cmp_ne_u16_sdwa s[2:3], s15, v1 src0_sel:BYTE_0 src1_sel:DWORD
	s_mov_b64 s[4:5], -1
.LBB39_602:
	s_and_b64 vcc, exec, s[2:3]
	s_mov_b64 s[2:3], s[6:7]
	s_cbranch_vccnz .LBB39_655
; %bb.603:
	s_andn2_b64 vcc, exec, s[4:5]
	s_cbranch_vccnz .LBB39_605
.LBB39_604:
	v_cmp_ne_u16_e64 s[4:5], s14, 0
	v_cndmask_b32_e64 v1, 0, 1, s[4:5]
	global_store_byte v[6:7], v1, off
	s_mov_b64 s[8:9], -1
.LBB39_605:
	s_branch .LBB39_525
.LBB39_606:
	v_mov_b32_e32 v1, 5
	v_cmp_lt_i16_sdwa s[8:9], s15, v1 src0_sel:BYTE_0 src1_sel:DWORD
	s_mov_b64 s[4:5], -1
	s_and_b64 vcc, exec, s[8:9]
	s_cbranch_vccnz .LBB39_627
; %bb.607:
	v_mov_b32_e32 v1, 8
	v_cmp_lt_i16_sdwa s[8:9], s15, v1 src0_sel:BYTE_0 src1_sel:DWORD
	s_and_b64 vcc, exec, s[8:9]
	s_cbranch_vccnz .LBB39_617
; %bb.608:
	v_mov_b32_e32 v1, 9
	v_cmp_lt_i16_sdwa s[8:9], s15, v1 src0_sel:BYTE_0 src1_sel:DWORD
	s_and_b64 vcc, exec, s[8:9]
	s_cbranch_vccnz .LBB39_614
; %bb.609:
	v_cmp_gt_i16_sdwa s[8:9], s15, v1 src0_sel:BYTE_0 src1_sel:DWORD
	s_and_b64 vcc, exec, s[8:9]
	s_cbranch_vccz .LBB39_611
; %bb.610:
	s_sext_i32_i16 s4, s14
	v_mov_b32_e32 v10, 0
	v_cvt_f64_i32_e32 v[8:9], s4
	v_mov_b32_e32 v11, v10
	global_store_dwordx4 v[6:7], v[8:11], off
	s_mov_b64 s[4:5], 0
.LBB39_611:
	s_andn2_b64 vcc, exec, s[4:5]
	s_cbranch_vccnz .LBB39_613
; %bb.612:
	s_sext_i32_i16 s4, s14
	v_cvt_f32_i32_e32 v8, s4
	v_mov_b32_e32 v9, 0
	global_store_dwordx2 v[6:7], v[8:9], off
.LBB39_613:
	s_mov_b64 s[4:5], 0
.LBB39_614:
	s_andn2_b64 vcc, exec, s[4:5]
	s_cbranch_vccnz .LBB39_616
; %bb.615:
	v_cvt_f16_i16_e32 v1, s14
	global_store_dword v[6:7], v1, off
.LBB39_616:
	s_mov_b64 s[4:5], 0
.LBB39_617:
	s_andn2_b64 vcc, exec, s[4:5]
	s_cbranch_vccnz .LBB39_626
; %bb.618:
	v_mov_b32_e32 v1, 6
	v_cmp_lt_i16_sdwa s[8:9], s15, v1 src0_sel:BYTE_0 src1_sel:DWORD
	s_mov_b64 s[4:5], -1
	s_and_b64 vcc, exec, s[8:9]
	s_cbranch_vccnz .LBB39_624
; %bb.619:
	v_cmp_gt_i16_sdwa s[8:9], s15, v1 src0_sel:BYTE_0 src1_sel:DWORD
	s_and_b64 vcc, exec, s[8:9]
	s_cbranch_vccz .LBB39_621
; %bb.620:
	s_sext_i32_i16 s4, s14
	v_cvt_f64_i32_e32 v[8:9], s4
	global_store_dwordx2 v[6:7], v[8:9], off
	s_mov_b64 s[4:5], 0
.LBB39_621:
	s_andn2_b64 vcc, exec, s[4:5]
	s_cbranch_vccnz .LBB39_623
; %bb.622:
	s_sext_i32_i16 s4, s14
	v_cvt_f32_i32_e32 v1, s4
	global_store_dword v[6:7], v1, off
.LBB39_623:
	s_mov_b64 s[4:5], 0
.LBB39_624:
	s_andn2_b64 vcc, exec, s[4:5]
	s_cbranch_vccnz .LBB39_626
; %bb.625:
	v_cvt_f16_i16_e32 v1, s14
	global_store_short v[6:7], v1, off
.LBB39_626:
	s_mov_b64 s[4:5], 0
.LBB39_627:
	s_andn2_b64 vcc, exec, s[4:5]
	s_cbranch_vccnz .LBB39_643
; %bb.628:
	v_mov_b32_e32 v1, 2
	v_cmp_lt_i16_sdwa s[8:9], s15, v1 src0_sel:BYTE_0 src1_sel:DWORD
	s_mov_b64 s[4:5], -1
	s_and_b64 vcc, exec, s[8:9]
	s_cbranch_vccnz .LBB39_638
; %bb.629:
	v_mov_b32_e32 v1, 3
	v_cmp_lt_i16_sdwa s[8:9], s15, v1 src0_sel:BYTE_0 src1_sel:DWORD
	s_and_b64 vcc, exec, s[8:9]
	s_cbranch_vccnz .LBB39_635
; %bb.630:
	v_cmp_gt_i16_sdwa s[8:9], s15, v1 src0_sel:BYTE_0 src1_sel:DWORD
	s_and_b64 vcc, exec, s[8:9]
	s_cbranch_vccz .LBB39_632
; %bb.631:
	s_sext_i32_i16 s4, s14
	s_ashr_i32 s5, s4, 31
	v_mov_b32_e32 v8, s4
	v_mov_b32_e32 v9, s5
	global_store_dwordx2 v[6:7], v[8:9], off
	s_mov_b64 s[4:5], 0
.LBB39_632:
	s_andn2_b64 vcc, exec, s[4:5]
	s_cbranch_vccnz .LBB39_634
; %bb.633:
	s_sext_i32_i16 s4, s14
	v_mov_b32_e32 v1, s4
	global_store_dword v[6:7], v1, off
.LBB39_634:
	s_mov_b64 s[4:5], 0
.LBB39_635:
	s_andn2_b64 vcc, exec, s[4:5]
	s_cbranch_vccnz .LBB39_637
; %bb.636:
	v_mov_b32_e32 v1, s14
	global_store_short v[6:7], v1, off
.LBB39_637:
	s_mov_b64 s[4:5], 0
.LBB39_638:
	s_andn2_b64 vcc, exec, s[4:5]
	s_cbranch_vccnz .LBB39_643
; %bb.639:
	v_mov_b32_e32 v1, 0
	v_cmp_gt_i16_sdwa s[8:9], s15, v1 src0_sel:BYTE_0 src1_sel:DWORD
	s_mov_b64 s[4:5], -1
	s_and_b64 vcc, exec, s[8:9]
	s_cbranch_vccz .LBB39_641
; %bb.640:
	v_mov_b32_e32 v1, s14
	global_store_byte v[6:7], v1, off
	s_mov_b64 s[4:5], 0
.LBB39_641:
	s_andn2_b64 vcc, exec, s[4:5]
	s_cbranch_vccnz .LBB39_643
; %bb.642:
	v_mov_b32_e32 v1, s14
	global_store_byte v[6:7], v1, off
.LBB39_643:
.LBB39_644:
	v_mov_b32_e32 v1, s1
	v_add_co_u32_e32 v4, vcc, s0, v4
	v_addc_co_u32_e32 v5, vcc, 0, v1, vcc
	v_mov_b32_e32 v1, 11
	v_cmp_lt_i16_sdwa s[4:5], s15, v1 src0_sel:BYTE_0 src1_sel:DWORD
	s_and_b64 vcc, exec, s[4:5]
	s_cbranch_vccnz .LBB39_651
; %bb.645:
	v_mov_b32_e32 v1, 25
	v_cmp_gt_i16_sdwa s[4:5], s15, v1 src0_sel:BYTE_0 src1_sel:DWORD
	s_mov_b64 s[12:13], -1
	s_mov_b64 s[8:9], 0
	s_and_b64 vcc, exec, s[4:5]
	s_mov_b64 s[10:11], 0
	s_mov_b64 s[4:5], 0
	s_cbranch_vccz .LBB39_686
; %bb.646:
	v_mov_b32_e32 v1, 28
	v_cmp_gt_i16_sdwa s[4:5], s15, v1 src0_sel:BYTE_0 src1_sel:DWORD
	s_and_b64 vcc, exec, s[4:5]
	s_cbranch_vccz .LBB39_653
; %bb.647:
	v_mov_b32_e32 v1, 43
	v_cmp_gt_i16_sdwa s[4:5], s15, v1 src0_sel:BYTE_0 src1_sel:DWORD
	s_and_b64 vcc, exec, s[4:5]
	;; [unrolled: 5-line block ×3, first 2 shown]
	s_cbranch_vccz .LBB39_656
; %bb.649:
	v_mov_b32_e32 v1, 46
	v_cmp_eq_u16_sdwa s[10:11], s15, v1 src0_sel:BYTE_0 src1_sel:DWORD
	s_mov_b64 s[4:5], -1
	s_mov_b64 s[12:13], 0
	s_and_b64 vcc, exec, s[10:11]
	s_mov_b64 s[10:11], 0
	s_cbranch_vccz .LBB39_657
; %bb.650:
	s_sext_i32_i16 s4, s14
	v_cvt_f32_i32_e32 v1, s4
	s_mov_b64 s[4:5], 0
	s_mov_b64 s[10:11], -1
	v_bfe_u32 v3, v1, 16, 1
	v_add_u32_e32 v1, v1, v3
	v_add_u32_e32 v1, 0x7fff, v1
	v_lshrrev_b32_e32 v1, 16, v1
	global_store_dword v[4:5], v1, off
	s_branch .LBB39_657
.LBB39_651:
	s_mov_b64 s[10:11], 0
	s_cbranch_execnz .LBB39_736
.LBB39_652:
	s_andn2_b64 vcc, exec, s[10:11]
	s_cbranch_vccz .LBB39_774
	s_branch .LBB39_948
.LBB39_653:
	s_mov_b64 s[4:5], 0
	s_branch .LBB39_667
.LBB39_654:
	s_mov_b64 s[4:5], 0
	s_branch .LBB39_663
.LBB39_655:
	s_or_b64 s[2:3], s[6:7], exec
	s_trap 2
	s_cbranch_execz .LBB39_604
	s_branch .LBB39_605
.LBB39_656:
	s_mov_b64 s[4:5], 0
.LBB39_657:
	s_and_b64 vcc, exec, s[12:13]
	s_cbranch_vccz .LBB39_662
; %bb.658:
	v_mov_b32_e32 v1, 44
	v_cmp_eq_u16_sdwa s[12:13], s15, v1 src0_sel:BYTE_0 src1_sel:DWORD
	s_mov_b64 s[4:5], -1
	s_and_b64 vcc, exec, s[12:13]
	s_cbranch_vccz .LBB39_662
; %bb.659:
	s_sext_i32_i16 s4, s14
	v_cvt_f32_i32_e32 v1, s4
	v_mov_b32_e32 v3, 0xff
	v_readfirstlane_b32 s4, v1
	s_bfe_u32 s5, s4, 0x80017
	s_cmpk_eq_i32 s5, 0xff
	s_cbranch_scc1 .LBB39_661
; %bb.660:
	s_bitcmp1_b32 s4, 22
	s_cselect_b64 s[10:11], -1, 0
	s_and_b32 s4, s4, 0x3fffff
	s_or_b32 s4, s5, s4
	s_cmp_lg_u32 s4, 0
	s_cselect_b64 s[4:5], -1, 0
	s_and_b64 s[4:5], s[10:11], s[4:5]
	v_lshrrev_b32_e32 v1, 23, v1
	v_cndmask_b32_e64 v3, 0, 1, s[4:5]
	v_add_u32_e32 v3, v1, v3
.LBB39_661:
	s_mov_b64 s[4:5], 0
	s_mov_b64 s[10:11], -1
	global_store_byte v[4:5], v3, off
.LBB39_662:
	s_mov_b64 s[12:13], 0
.LBB39_663:
	s_and_b64 vcc, exec, s[12:13]
	s_cbranch_vccz .LBB39_666
; %bb.664:
	v_mov_b32_e32 v1, 29
	v_cmp_eq_u16_sdwa s[12:13], s15, v1 src0_sel:BYTE_0 src1_sel:DWORD
	s_mov_b64 s[4:5], -1
	s_and_b64 vcc, exec, s[12:13]
	s_cbranch_vccz .LBB39_666
; %bb.665:
	s_sext_i32_i16 s4, s14
	s_ashr_i32 s5, s4, 31
	v_mov_b32_e32 v6, s4
	v_mov_b32_e32 v7, s5
	global_store_dwordx2 v[4:5], v[6:7], off
	s_mov_b64 s[4:5], 0
	s_mov_b64 s[10:11], -1
.LBB39_666:
	s_mov_b64 s[12:13], 0
.LBB39_667:
	s_and_b64 vcc, exec, s[12:13]
	s_cbranch_vccz .LBB39_685
; %bb.668:
	v_mov_b32_e32 v1, 27
	v_cmp_lt_i16_sdwa s[12:13], s15, v1 src0_sel:BYTE_0 src1_sel:DWORD
	s_mov_b64 s[10:11], -1
	s_and_b64 vcc, exec, s[12:13]
	s_cbranch_vccnz .LBB39_674
; %bb.669:
	v_cmp_gt_i16_sdwa s[12:13], s15, v1 src0_sel:BYTE_0 src1_sel:DWORD
	s_and_b64 vcc, exec, s[12:13]
	s_cbranch_vccz .LBB39_671
; %bb.670:
	s_sext_i32_i16 s10, s14
	v_mov_b32_e32 v1, s10
	s_mov_b64 s[10:11], 0
	global_store_dword v[4:5], v1, off
.LBB39_671:
	s_andn2_b64 vcc, exec, s[10:11]
	s_cbranch_vccnz .LBB39_673
; %bb.672:
	v_mov_b32_e32 v1, s14
	global_store_short v[4:5], v1, off
.LBB39_673:
	s_mov_b64 s[10:11], 0
.LBB39_674:
	s_andn2_b64 vcc, exec, s[10:11]
	s_cbranch_vccnz .LBB39_684
; %bb.675:
	s_sext_i32_i16 s10, s14
	v_cvt_f32_i32_e32 v1, s10
	v_mov_b32_e32 v3, 0x80
	v_readfirstlane_b32 s16, v1
	s_and_b32 s10, s16, 0x7fffffff
	s_cmp_gt_u32 s10, 0x437fffff
	s_cbranch_scc1 .LBB39_683
; %bb.676:
	s_cmp_gt_u32 s10, 0x3bffffff
	s_cbranch_scc0 .LBB39_678
; %bb.677:
	s_bfe_u32 s10, s16, 0x10014
	s_add_i32 s10, s16, s10
	s_add_i32 s10, s10, 0x487ffff
	s_lshr_b32 s17, s10, 20
	s_mov_b64 s[12:13], 0
	s_mov_b64 s[10:11], -1
	s_branch .LBB39_679
.LBB39_678:
	s_mov_b64 s[12:13], -1
	s_mov_b64 s[10:11], 0
                                        ; implicit-def: $sgpr17
.LBB39_679:
	s_andn2_b64 vcc, exec, s[12:13]
	v_mov_b32_e32 v1, s17
                                        ; implicit-def: $sgpr12
	s_cbranch_vccnz .LBB39_681
; %bb.680:
	v_mov_b32_e32 v1, 0x46000000
	v_add_f32_e64 v1, |s16|, v1
	v_and_b32_e32 v1, 0xff, v1
	s_mov_b32 s12, 0
	v_cmp_ne_u32_e64 s[10:11], 0, v1
.LBB39_681:
	s_andn2_b64 vcc, exec, s[10:11]
	v_mov_b32_e32 v3, s12
	s_cbranch_vccnz .LBB39_683
; %bb.682:
	s_lshr_b32 s10, s16, 24
	s_and_b32 s10, s10, 0x80
	v_or_b32_e32 v3, s10, v1
.LBB39_683:
	global_store_byte v[4:5], v3, off
.LBB39_684:
	s_mov_b64 s[10:11], -1
.LBB39_685:
	s_mov_b64 s[12:13], 0
.LBB39_686:
	s_and_b64 vcc, exec, s[12:13]
	s_cbranch_vccz .LBB39_732
; %bb.687:
	v_mov_b32_e32 v1, 22
	v_cmp_gt_i16_sdwa s[12:13], s15, v1 src0_sel:BYTE_0 src1_sel:DWORD
	s_mov_b64 s[8:9], -1
	s_and_b64 vcc, exec, s[12:13]
	s_cbranch_vccz .LBB39_725
; %bb.688:
	v_mov_b32_e32 v1, 24
	v_cmp_lt_i16_sdwa s[10:11], s15, v1 src0_sel:BYTE_0 src1_sel:DWORD
	s_and_b64 vcc, exec, s[10:11]
	s_cbranch_vccnz .LBB39_712
; %bb.689:
	v_cmp_gt_i16_sdwa s[10:11], s15, v1 src0_sel:BYTE_0 src1_sel:DWORD
	s_and_b64 vcc, exec, s[10:11]
	s_cbranch_vccz .LBB39_699
; %bb.690:
	s_sext_i32_i16 s8, s14
	v_cvt_f32_i32_e32 v1, s8
	v_mov_b32_e32 v3, 0x80
	v_readfirstlane_b32 s12, v1
	s_and_b32 s8, s12, 0x7fffffff
	s_cmp_gt_u32 s8, 0x477fffff
	s_cbranch_scc1 .LBB39_698
; %bb.691:
	s_cmp_gt_u32 s8, 0x37ffffff
	s_cbranch_scc0 .LBB39_693
; %bb.692:
	s_bfe_u32 s8, s12, 0x10015
	s_add_i32 s8, s12, s8
	s_add_i32 s8, s8, 0x88fffff
	s_lshr_b32 s13, s8, 21
	s_mov_b64 s[10:11], 0
	s_mov_b64 s[8:9], -1
	s_branch .LBB39_694
.LBB39_693:
	s_mov_b64 s[10:11], -1
	s_mov_b64 s[8:9], 0
                                        ; implicit-def: $sgpr13
.LBB39_694:
	s_andn2_b64 vcc, exec, s[10:11]
	v_mov_b32_e32 v1, s13
                                        ; implicit-def: $sgpr10
	s_cbranch_vccnz .LBB39_696
; %bb.695:
	v_mov_b32_e32 v1, 0x42800000
	v_add_f32_e64 v1, |s12|, v1
	v_and_b32_e32 v1, 0xff, v1
	s_mov_b32 s10, 0
	v_cmp_ne_u32_e64 s[8:9], 0, v1
.LBB39_696:
	s_andn2_b64 vcc, exec, s[8:9]
	v_mov_b32_e32 v3, s10
	s_cbranch_vccnz .LBB39_698
; %bb.697:
	s_lshr_b32 s8, s12, 24
	s_and_b32 s8, s8, 0x80
	v_or_b32_e32 v3, s8, v1
.LBB39_698:
	s_mov_b64 s[8:9], 0
	global_store_byte v[4:5], v3, off
.LBB39_699:
	s_and_b64 vcc, exec, s[8:9]
	s_cbranch_vccz .LBB39_711
; %bb.700:
	s_sext_i32_i16 s8, s14
	v_cvt_f32_i32_e32 v1, s8
	v_readfirstlane_b32 s10, v1
	s_and_b32 s11, s10, 0x7fffffff
	s_cmp_lt_u32 s11, 0x43f00000
	s_cbranch_scc0 .LBB39_703
; %bb.701:
	s_cmp_gt_u32 s11, 0x3c7fffff
	s_cbranch_scc0 .LBB39_704
; %bb.702:
	s_bfe_u32 s8, s10, 0x10014
	s_add_i32 s8, s10, s8
	s_add_i32 s8, s8, 0x407ffff
	s_lshr_b32 s9, s8, 20
	s_and_b32 s8, s8, 0xff00000
	s_cmp_lg_u32 s8, 0x7f00000
	s_cselect_b32 s12, s9, 0x7e
	s_mov_b64 s[8:9], 0
	s_branch .LBB39_705
.LBB39_703:
	s_mov_b64 s[8:9], -1
                                        ; implicit-def: $vgpr3
	s_branch .LBB39_708
.LBB39_704:
	s_mov_b64 s[8:9], -1
                                        ; implicit-def: $sgpr12
.LBB39_705:
	s_andn2_b64 vcc, exec, s[8:9]
	v_mov_b32_e32 v3, s12
	s_cbranch_vccnz .LBB39_707
; %bb.706:
	s_mov_b32 s8, 0x46800000
	v_add_f32_e64 v3, |v1|, s8
.LBB39_707:
	s_mov_b64 s[8:9], 0
.LBB39_708:
	s_andn2_b64 vcc, exec, s[8:9]
	s_cbranch_vccnz .LBB39_710
; %bb.709:
	s_cmp_gt_u32 s11, 0x7f800000
	s_movk_i32 s8, 0x7f
	s_cselect_b32 s8, s8, 0x7e
	v_mov_b32_e32 v3, s8
.LBB39_710:
	s_lshr_b32 s8, s10, 24
	s_and_b32 s8, s8, 0x80
	v_or_b32_e32 v1, s8, v3
	global_store_byte v[4:5], v1, off
.LBB39_711:
	s_mov_b64 s[8:9], 0
.LBB39_712:
	s_andn2_b64 vcc, exec, s[8:9]
	s_cbranch_vccnz .LBB39_724
; %bb.713:
	s_sext_i32_i16 s8, s14
	v_cvt_f32_i32_e32 v1, s8
	v_readfirstlane_b32 s10, v1
	s_and_b32 s11, s10, 0x7fffffff
	s_cmp_lt_u32 s11, 0x47800000
	s_cbranch_scc0 .LBB39_716
; %bb.714:
	s_cmp_gt_u32 s11, 0x387fffff
	s_cbranch_scc0 .LBB39_717
; %bb.715:
	s_bfe_u32 s8, s10, 0x10015
	s_add_i32 s8, s10, s8
	s_add_i32 s8, s8, 0x80fffff
	s_lshr_b32 s12, s8, 21
	s_mov_b64 s[8:9], 0
	s_branch .LBB39_718
.LBB39_716:
	s_mov_b64 s[8:9], -1
                                        ; implicit-def: $vgpr3
	s_branch .LBB39_721
.LBB39_717:
	s_mov_b64 s[8:9], -1
                                        ; implicit-def: $sgpr12
.LBB39_718:
	s_andn2_b64 vcc, exec, s[8:9]
	v_mov_b32_e32 v3, s12
	s_cbranch_vccnz .LBB39_720
; %bb.719:
	s_mov_b32 s8, 0x43000000
	v_add_f32_e64 v3, |v1|, s8
.LBB39_720:
	s_mov_b64 s[8:9], 0
.LBB39_721:
	s_andn2_b64 vcc, exec, s[8:9]
	s_cbranch_vccnz .LBB39_723
; %bb.722:
	s_cmp_gt_u32 s11, 0x7f800000
	s_movk_i32 s8, 0x7f
	s_cselect_b32 s8, s8, 0x7c
	v_mov_b32_e32 v3, s8
.LBB39_723:
	s_lshr_b32 s8, s10, 24
	s_and_b32 s8, s8, 0x80
	v_or_b32_e32 v1, s8, v3
	global_store_byte v[4:5], v1, off
.LBB39_724:
	s_mov_b64 s[8:9], 0
	s_mov_b64 s[10:11], -1
.LBB39_725:
	s_andn2_b64 vcc, exec, s[8:9]
	s_mov_b64 s[8:9], 0
	s_cbranch_vccnz .LBB39_732
; %bb.726:
	v_mov_b32_e32 v1, 14
	v_cmp_gt_i16_sdwa s[8:9], s15, v1 src0_sel:BYTE_0 src1_sel:DWORD
	s_mov_b64 s[12:13], -1
	s_and_b64 vcc, exec, s[8:9]
	s_cbranch_vccz .LBB39_730
; %bb.727:
	v_mov_b32_e32 v1, 15
	v_cmp_eq_u16_sdwa s[8:9], s15, v1 src0_sel:BYTE_0 src1_sel:DWORD
	s_mov_b64 s[4:5], -1
	s_and_b64 vcc, exec, s[8:9]
	s_cbranch_vccz .LBB39_729
; %bb.728:
	s_sext_i32_i16 s4, s14
	v_cvt_f32_i32_e32 v1, s4
	s_mov_b64 s[4:5], 0
	s_mov_b64 s[10:11], -1
	v_bfe_u32 v3, v1, 16, 1
	v_add_u32_e32 v1, v1, v3
	v_add_u32_e32 v1, 0x7fff, v1
	global_store_short_d16_hi v[4:5], v1, off
.LBB39_729:
	s_mov_b64 s[12:13], 0
.LBB39_730:
	s_mov_b64 s[8:9], 0
	s_and_b64 vcc, exec, s[12:13]
	s_cbranch_vccz .LBB39_732
; %bb.731:
	v_mov_b32_e32 v1, 11
	v_cmp_ne_u16_sdwa s[4:5], s15, v1 src0_sel:BYTE_0 src1_sel:DWORD
	s_mov_b64 s[8:9], -1
.LBB39_732:
	s_and_b64 vcc, exec, s[4:5]
	s_cbranch_vccnz .LBB39_815
; %bb.733:
	s_andn2_b64 vcc, exec, s[8:9]
	s_cbranch_vccnz .LBB39_735
.LBB39_734:
	v_cmp_ne_u16_e64 s[4:5], s14, 0
	v_cndmask_b32_e64 v1, 0, 1, s[4:5]
	s_mov_b64 s[10:11], -1
	global_store_byte v[4:5], v1, off
.LBB39_735:
	s_branch .LBB39_652
.LBB39_736:
	v_mov_b32_e32 v1, 5
	v_cmp_lt_i16_sdwa s[8:9], s15, v1 src0_sel:BYTE_0 src1_sel:DWORD
	s_mov_b64 s[4:5], -1
	s_and_b64 vcc, exec, s[8:9]
	s_cbranch_vccnz .LBB39_757
; %bb.737:
	v_mov_b32_e32 v1, 8
	v_cmp_lt_i16_sdwa s[8:9], s15, v1 src0_sel:BYTE_0 src1_sel:DWORD
	s_and_b64 vcc, exec, s[8:9]
	s_cbranch_vccnz .LBB39_747
; %bb.738:
	v_mov_b32_e32 v1, 9
	v_cmp_lt_i16_sdwa s[8:9], s15, v1 src0_sel:BYTE_0 src1_sel:DWORD
	s_and_b64 vcc, exec, s[8:9]
	s_cbranch_vccnz .LBB39_744
; %bb.739:
	v_cmp_gt_i16_sdwa s[8:9], s15, v1 src0_sel:BYTE_0 src1_sel:DWORD
	s_and_b64 vcc, exec, s[8:9]
	s_cbranch_vccz .LBB39_741
; %bb.740:
	s_sext_i32_i16 s4, s14
	v_mov_b32_e32 v8, 0
	v_cvt_f64_i32_e32 v[6:7], s4
	v_mov_b32_e32 v9, v8
	global_store_dwordx4 v[4:5], v[6:9], off
	s_mov_b64 s[4:5], 0
.LBB39_741:
	s_andn2_b64 vcc, exec, s[4:5]
	s_cbranch_vccnz .LBB39_743
; %bb.742:
	s_sext_i32_i16 s4, s14
	v_cvt_f32_i32_e32 v6, s4
	v_mov_b32_e32 v7, 0
	global_store_dwordx2 v[4:5], v[6:7], off
.LBB39_743:
	s_mov_b64 s[4:5], 0
.LBB39_744:
	s_andn2_b64 vcc, exec, s[4:5]
	s_cbranch_vccnz .LBB39_746
; %bb.745:
	v_cvt_f16_i16_e32 v1, s14
	global_store_dword v[4:5], v1, off
.LBB39_746:
	s_mov_b64 s[4:5], 0
.LBB39_747:
	s_andn2_b64 vcc, exec, s[4:5]
	s_cbranch_vccnz .LBB39_756
; %bb.748:
	v_mov_b32_e32 v1, 6
	v_cmp_lt_i16_sdwa s[8:9], s15, v1 src0_sel:BYTE_0 src1_sel:DWORD
	s_mov_b64 s[4:5], -1
	s_and_b64 vcc, exec, s[8:9]
	s_cbranch_vccnz .LBB39_754
; %bb.749:
	v_cmp_gt_i16_sdwa s[8:9], s15, v1 src0_sel:BYTE_0 src1_sel:DWORD
	s_and_b64 vcc, exec, s[8:9]
	s_cbranch_vccz .LBB39_751
; %bb.750:
	s_sext_i32_i16 s4, s14
	v_cvt_f64_i32_e32 v[6:7], s4
	global_store_dwordx2 v[4:5], v[6:7], off
	s_mov_b64 s[4:5], 0
.LBB39_751:
	s_andn2_b64 vcc, exec, s[4:5]
	s_cbranch_vccnz .LBB39_753
; %bb.752:
	s_sext_i32_i16 s4, s14
	v_cvt_f32_i32_e32 v1, s4
	global_store_dword v[4:5], v1, off
.LBB39_753:
	s_mov_b64 s[4:5], 0
.LBB39_754:
	s_andn2_b64 vcc, exec, s[4:5]
	s_cbranch_vccnz .LBB39_756
; %bb.755:
	v_cvt_f16_i16_e32 v1, s14
	global_store_short v[4:5], v1, off
.LBB39_756:
	s_mov_b64 s[4:5], 0
.LBB39_757:
	s_andn2_b64 vcc, exec, s[4:5]
	s_cbranch_vccnz .LBB39_773
; %bb.758:
	v_mov_b32_e32 v1, 2
	v_cmp_lt_i16_sdwa s[8:9], s15, v1 src0_sel:BYTE_0 src1_sel:DWORD
	s_mov_b64 s[4:5], -1
	s_and_b64 vcc, exec, s[8:9]
	s_cbranch_vccnz .LBB39_768
; %bb.759:
	v_mov_b32_e32 v1, 3
	v_cmp_lt_i16_sdwa s[8:9], s15, v1 src0_sel:BYTE_0 src1_sel:DWORD
	s_and_b64 vcc, exec, s[8:9]
	s_cbranch_vccnz .LBB39_765
; %bb.760:
	v_cmp_gt_i16_sdwa s[8:9], s15, v1 src0_sel:BYTE_0 src1_sel:DWORD
	s_and_b64 vcc, exec, s[8:9]
	s_cbranch_vccz .LBB39_762
; %bb.761:
	s_sext_i32_i16 s4, s14
	s_ashr_i32 s5, s4, 31
	v_mov_b32_e32 v6, s4
	v_mov_b32_e32 v7, s5
	global_store_dwordx2 v[4:5], v[6:7], off
	s_mov_b64 s[4:5], 0
.LBB39_762:
	s_andn2_b64 vcc, exec, s[4:5]
	s_cbranch_vccnz .LBB39_764
; %bb.763:
	s_sext_i32_i16 s4, s14
	v_mov_b32_e32 v1, s4
	global_store_dword v[4:5], v1, off
.LBB39_764:
	s_mov_b64 s[4:5], 0
.LBB39_765:
	s_andn2_b64 vcc, exec, s[4:5]
	s_cbranch_vccnz .LBB39_767
; %bb.766:
	v_mov_b32_e32 v1, s14
	global_store_short v[4:5], v1, off
.LBB39_767:
	s_mov_b64 s[4:5], 0
.LBB39_768:
	s_andn2_b64 vcc, exec, s[4:5]
	s_cbranch_vccnz .LBB39_773
; %bb.769:
	v_mov_b32_e32 v1, 0
	v_cmp_gt_i16_sdwa s[8:9], s15, v1 src0_sel:BYTE_0 src1_sel:DWORD
	s_mov_b64 s[4:5], -1
	s_and_b64 vcc, exec, s[8:9]
	s_cbranch_vccz .LBB39_771
; %bb.770:
	v_mov_b32_e32 v1, s14
	global_store_byte v[4:5], v1, off
	s_mov_b64 s[4:5], 0
.LBB39_771:
	s_andn2_b64 vcc, exec, s[4:5]
	s_cbranch_vccnz .LBB39_773
; %bb.772:
	v_mov_b32_e32 v1, s14
	global_store_byte v[4:5], v1, off
.LBB39_773:
.LBB39_774:
	v_mov_b32_e32 v1, s1
	v_add_co_u32_e32 v2, vcc, s0, v2
	v_addc_co_u32_e32 v3, vcc, 0, v1, vcc
	v_mov_b32_e32 v1, 11
	v_cmp_lt_i16_sdwa s[4:5], s15, v1 src0_sel:BYTE_0 src1_sel:DWORD
	s_and_b64 vcc, exec, s[4:5]
	s_cbranch_vccnz .LBB39_781
; %bb.775:
	v_mov_b32_e32 v1, 25
	v_cmp_gt_i16_sdwa s[4:5], s15, v1 src0_sel:BYTE_0 src1_sel:DWORD
	s_mov_b64 s[12:13], -1
	s_mov_b64 s[8:9], 0
	s_and_b64 vcc, exec, s[4:5]
	s_mov_b64 s[10:11], 0
	s_mov_b64 s[4:5], 0
	s_cbranch_vccz .LBB39_846
; %bb.776:
	v_mov_b32_e32 v1, 28
	v_cmp_gt_i16_sdwa s[4:5], s15, v1 src0_sel:BYTE_0 src1_sel:DWORD
	s_and_b64 vcc, exec, s[4:5]
	s_cbranch_vccz .LBB39_813
; %bb.777:
	v_mov_b32_e32 v1, 43
	v_cmp_gt_i16_sdwa s[4:5], s15, v1 src0_sel:BYTE_0 src1_sel:DWORD
	s_and_b64 vcc, exec, s[4:5]
	;; [unrolled: 5-line block ×3, first 2 shown]
	s_cbranch_vccz .LBB39_816
; %bb.779:
	v_mov_b32_e32 v1, 46
	v_cmp_eq_u16_sdwa s[10:11], s15, v1 src0_sel:BYTE_0 src1_sel:DWORD
	s_mov_b64 s[4:5], -1
	s_mov_b64 s[12:13], 0
	s_and_b64 vcc, exec, s[10:11]
	s_mov_b64 s[10:11], 0
	s_cbranch_vccz .LBB39_817
; %bb.780:
	s_sext_i32_i16 s4, s14
	v_cvt_f32_i32_e32 v1, s4
	s_mov_b64 s[4:5], 0
	s_mov_b64 s[10:11], -1
	v_bfe_u32 v4, v1, 16, 1
	v_add_u32_e32 v1, v1, v4
	v_add_u32_e32 v1, 0x7fff, v1
	v_lshrrev_b32_e32 v1, 16, v1
	global_store_dword v[2:3], v1, off
	s_branch .LBB39_817
.LBB39_781:
	s_mov_b64 s[10:11], 0
	s_cbranch_execnz .LBB39_910
.LBB39_782:
	s_andn2_b64 vcc, exec, s[10:11]
	s_cbranch_vccnz .LBB39_948
.LBB39_783:
	v_mov_b32_e32 v1, s1
	v_add_co_u32_e32 v0, vcc, s0, v0
	v_mov_b32_e32 v2, 0xff
	v_addc_co_u32_e32 v1, vcc, 0, v1, vcc
	v_and_b32_e32 v2, s15, v2
	v_cmp_gt_i16_e32 vcc, 11, v2
	s_cbranch_vccnz .LBB39_812
; %bb.784:
	v_cmp_lt_i16_e32 vcc, 25, v2
	s_mov_b64 s[8:9], -1
	s_mov_b64 s[4:5], 0
	s_mov_b64 s[0:1], 0
	s_cbranch_vccz .LBB39_860
; %bb.785:
	v_cmp_lt_i16_e32 vcc, 28, v2
	s_cbranch_vccz .LBB39_801
; %bb.786:
	v_cmp_lt_i16_e32 vcc, 43, v2
	;; [unrolled: 3-line block ×3, first 2 shown]
	s_cbranch_vccz .LBB39_791
; %bb.788:
	v_cmp_eq_u16_e32 vcc, 46, v2
	s_mov_b64 s[0:1], -1
	s_cbranch_vccz .LBB39_790
; %bb.789:
	s_sext_i32_i16 s0, s14
	v_cvt_f32_i32_e32 v3, s0
	s_mov_b64 s[0:1], 0
	v_bfe_u32 v4, v3, 16, 1
	v_add_u32_e32 v3, v3, v4
	v_add_u32_e32 v3, 0x7fff, v3
	v_lshrrev_b32_e32 v3, 16, v3
	global_store_dword v[0:1], v3, off
.LBB39_790:
	s_mov_b64 s[8:9], 0
.LBB39_791:
	s_and_b64 vcc, exec, s[8:9]
	s_cbranch_vccz .LBB39_796
; %bb.792:
	v_cmp_eq_u16_e32 vcc, 44, v2
	s_mov_b64 s[0:1], -1
	s_cbranch_vccz .LBB39_796
; %bb.793:
	s_sext_i32_i16 s0, s14
	v_cvt_f32_i32_e32 v3, s0
	v_mov_b32_e32 v4, 0xff
	v_readfirstlane_b32 s0, v3
	s_bfe_u32 s1, s0, 0x80017
	s_cmpk_eq_i32 s1, 0xff
	s_cbranch_scc1 .LBB39_795
; %bb.794:
	s_bitcmp1_b32 s0, 22
	s_cselect_b64 s[8:9], -1, 0
	s_and_b32 s0, s0, 0x3fffff
	s_or_b32 s0, s1, s0
	s_cmp_lg_u32 s0, 0
	s_cselect_b64 s[0:1], -1, 0
	s_and_b64 s[0:1], s[8:9], s[0:1]
	v_lshrrev_b32_e32 v3, 23, v3
	v_cndmask_b32_e64 v4, 0, 1, s[0:1]
	v_add_u32_e32 v4, v3, v4
.LBB39_795:
	s_mov_b64 s[0:1], 0
	global_store_byte v[0:1], v4, off
.LBB39_796:
	s_mov_b64 s[8:9], 0
.LBB39_797:
	s_and_b64 vcc, exec, s[8:9]
	s_cbranch_vccz .LBB39_800
; %bb.798:
	v_cmp_eq_u16_e32 vcc, 29, v2
	s_mov_b64 s[0:1], -1
	s_cbranch_vccz .LBB39_800
; %bb.799:
	s_sext_i32_i16 s0, s14
	s_ashr_i32 s1, s0, 31
	v_mov_b32_e32 v4, s0
	v_mov_b32_e32 v5, s1
	global_store_dwordx2 v[0:1], v[4:5], off
	s_mov_b64 s[0:1], 0
.LBB39_800:
	s_mov_b64 s[8:9], 0
.LBB39_801:
	s_and_b64 vcc, exec, s[8:9]
	s_cbranch_vccz .LBB39_859
; %bb.802:
	v_cmp_gt_i16_e32 vcc, 27, v2
	s_mov_b64 s[8:9], -1
	s_cbranch_vccnz .LBB39_808
; %bb.803:
	v_cmp_lt_i16_e32 vcc, 27, v2
	s_cbranch_vccz .LBB39_805
; %bb.804:
	s_sext_i32_i16 s8, s14
	v_mov_b32_e32 v3, s8
	global_store_dword v[0:1], v3, off
	s_mov_b64 s[8:9], 0
.LBB39_805:
	s_andn2_b64 vcc, exec, s[8:9]
	s_cbranch_vccnz .LBB39_807
; %bb.806:
	v_mov_b32_e32 v3, s14
	global_store_short v[0:1], v3, off
.LBB39_807:
	s_mov_b64 s[8:9], 0
.LBB39_808:
	s_andn2_b64 vcc, exec, s[8:9]
	s_cbranch_vccnz .LBB39_859
; %bb.809:
	s_sext_i32_i16 s8, s14
	v_cvt_f32_i32_e32 v3, s8
	v_mov_b32_e32 v4, 0x80
	v_readfirstlane_b32 s12, v3
	s_and_b32 s8, s12, 0x7fffffff
	s_cmp_gt_u32 s8, 0x437fffff
	s_cbranch_scc1 .LBB39_858
; %bb.810:
	s_cmp_gt_u32 s8, 0x3bffffff
	s_cbranch_scc0 .LBB39_853
; %bb.811:
	s_bfe_u32 s8, s12, 0x10014
	s_add_i32 s8, s12, s8
	s_add_i32 s8, s8, 0x487ffff
	s_lshr_b32 s13, s8, 20
	s_mov_b64 s[10:11], 0
	s_mov_b64 s[8:9], -1
	s_branch .LBB39_854
.LBB39_812:
	s_mov_b64 s[4:5], 0
	s_mov_b64 s[0:1], -1
	s_branch .LBB39_949
.LBB39_813:
	s_mov_b64 s[4:5], 0
	s_branch .LBB39_827
.LBB39_814:
	s_mov_b64 s[4:5], 0
	s_branch .LBB39_823
.LBB39_815:
	s_trap 2
	s_or_b64 s[2:3], s[2:3], exec
	s_cbranch_execz .LBB39_734
	s_branch .LBB39_735
.LBB39_816:
	s_mov_b64 s[4:5], 0
.LBB39_817:
	s_and_b64 vcc, exec, s[12:13]
	s_cbranch_vccz .LBB39_822
; %bb.818:
	v_mov_b32_e32 v1, 44
	v_cmp_eq_u16_sdwa s[12:13], s15, v1 src0_sel:BYTE_0 src1_sel:DWORD
	s_mov_b64 s[4:5], -1
	s_and_b64 vcc, exec, s[12:13]
	s_cbranch_vccz .LBB39_822
; %bb.819:
	s_sext_i32_i16 s4, s14
	v_cvt_f32_i32_e32 v1, s4
	v_mov_b32_e32 v4, 0xff
	v_readfirstlane_b32 s4, v1
	s_bfe_u32 s5, s4, 0x80017
	s_cmpk_eq_i32 s5, 0xff
	s_cbranch_scc1 .LBB39_821
; %bb.820:
	s_bitcmp1_b32 s4, 22
	s_cselect_b64 s[10:11], -1, 0
	s_and_b32 s4, s4, 0x3fffff
	s_or_b32 s4, s5, s4
	s_cmp_lg_u32 s4, 0
	s_cselect_b64 s[4:5], -1, 0
	s_and_b64 s[4:5], s[10:11], s[4:5]
	v_lshrrev_b32_e32 v1, 23, v1
	v_cndmask_b32_e64 v4, 0, 1, s[4:5]
	v_add_u32_e32 v4, v1, v4
.LBB39_821:
	s_mov_b64 s[4:5], 0
	s_mov_b64 s[10:11], -1
	global_store_byte v[2:3], v4, off
.LBB39_822:
	s_mov_b64 s[12:13], 0
.LBB39_823:
	s_and_b64 vcc, exec, s[12:13]
	s_cbranch_vccz .LBB39_826
; %bb.824:
	v_mov_b32_e32 v1, 29
	v_cmp_eq_u16_sdwa s[12:13], s15, v1 src0_sel:BYTE_0 src1_sel:DWORD
	s_mov_b64 s[4:5], -1
	s_and_b64 vcc, exec, s[12:13]
	s_cbranch_vccz .LBB39_826
; %bb.825:
	s_sext_i32_i16 s4, s14
	s_ashr_i32 s5, s4, 31
	v_mov_b32_e32 v4, s4
	v_mov_b32_e32 v5, s5
	global_store_dwordx2 v[2:3], v[4:5], off
	s_mov_b64 s[4:5], 0
	s_mov_b64 s[10:11], -1
.LBB39_826:
	s_mov_b64 s[12:13], 0
.LBB39_827:
	s_and_b64 vcc, exec, s[12:13]
	s_cbranch_vccz .LBB39_845
; %bb.828:
	v_mov_b32_e32 v1, 27
	v_cmp_lt_i16_sdwa s[12:13], s15, v1 src0_sel:BYTE_0 src1_sel:DWORD
	s_mov_b64 s[10:11], -1
	s_and_b64 vcc, exec, s[12:13]
	s_cbranch_vccnz .LBB39_834
; %bb.829:
	v_cmp_gt_i16_sdwa s[12:13], s15, v1 src0_sel:BYTE_0 src1_sel:DWORD
	s_and_b64 vcc, exec, s[12:13]
	s_cbranch_vccz .LBB39_831
; %bb.830:
	s_sext_i32_i16 s10, s14
	v_mov_b32_e32 v1, s10
	s_mov_b64 s[10:11], 0
	global_store_dword v[2:3], v1, off
.LBB39_831:
	s_andn2_b64 vcc, exec, s[10:11]
	s_cbranch_vccnz .LBB39_833
; %bb.832:
	v_mov_b32_e32 v1, s14
	global_store_short v[2:3], v1, off
.LBB39_833:
	s_mov_b64 s[10:11], 0
.LBB39_834:
	s_andn2_b64 vcc, exec, s[10:11]
	s_cbranch_vccnz .LBB39_844
; %bb.835:
	s_sext_i32_i16 s10, s14
	v_cvt_f32_i32_e32 v1, s10
	v_mov_b32_e32 v4, 0x80
	v_readfirstlane_b32 s16, v1
	s_and_b32 s10, s16, 0x7fffffff
	s_cmp_gt_u32 s10, 0x437fffff
	s_cbranch_scc1 .LBB39_843
; %bb.836:
	s_cmp_gt_u32 s10, 0x3bffffff
	s_cbranch_scc0 .LBB39_838
; %bb.837:
	s_bfe_u32 s10, s16, 0x10014
	s_add_i32 s10, s16, s10
	s_add_i32 s10, s10, 0x487ffff
	s_lshr_b32 s17, s10, 20
	s_mov_b64 s[12:13], 0
	s_mov_b64 s[10:11], -1
	s_branch .LBB39_839
.LBB39_838:
	s_mov_b64 s[12:13], -1
	s_mov_b64 s[10:11], 0
                                        ; implicit-def: $sgpr17
.LBB39_839:
	s_andn2_b64 vcc, exec, s[12:13]
	v_mov_b32_e32 v1, s17
                                        ; implicit-def: $sgpr12
	s_cbranch_vccnz .LBB39_841
; %bb.840:
	v_mov_b32_e32 v1, 0x46000000
	v_add_f32_e64 v1, |s16|, v1
	v_and_b32_e32 v1, 0xff, v1
	s_mov_b32 s12, 0
	v_cmp_ne_u32_e64 s[10:11], 0, v1
.LBB39_841:
	s_andn2_b64 vcc, exec, s[10:11]
	v_mov_b32_e32 v4, s12
	s_cbranch_vccnz .LBB39_843
; %bb.842:
	s_lshr_b32 s10, s16, 24
	s_and_b32 s10, s10, 0x80
	v_or_b32_e32 v4, s10, v1
.LBB39_843:
	global_store_byte v[2:3], v4, off
.LBB39_844:
	s_mov_b64 s[10:11], -1
.LBB39_845:
	s_mov_b64 s[12:13], 0
.LBB39_846:
	s_and_b64 vcc, exec, s[12:13]
	s_cbranch_vccz .LBB39_906
; %bb.847:
	v_mov_b32_e32 v1, 22
	v_cmp_gt_i16_sdwa s[12:13], s15, v1 src0_sel:BYTE_0 src1_sel:DWORD
	s_mov_b64 s[8:9], -1
	s_and_b64 vcc, exec, s[12:13]
	s_cbranch_vccz .LBB39_899
; %bb.848:
	v_mov_b32_e32 v1, 24
	v_cmp_lt_i16_sdwa s[10:11], s15, v1 src0_sel:BYTE_0 src1_sel:DWORD
	s_and_b64 vcc, exec, s[10:11]
	s_cbranch_vccnz .LBB39_886
; %bb.849:
	v_cmp_gt_i16_sdwa s[10:11], s15, v1 src0_sel:BYTE_0 src1_sel:DWORD
	s_and_b64 vcc, exec, s[10:11]
	s_cbranch_vccz .LBB39_873
; %bb.850:
	s_sext_i32_i16 s8, s14
	v_cvt_f32_i32_e32 v1, s8
	v_mov_b32_e32 v4, 0x80
	v_readfirstlane_b32 s12, v1
	s_and_b32 s8, s12, 0x7fffffff
	s_cmp_gt_u32 s8, 0x477fffff
	s_cbranch_scc1 .LBB39_872
; %bb.851:
	s_cmp_gt_u32 s8, 0x37ffffff
	s_cbranch_scc0 .LBB39_867
; %bb.852:
	s_bfe_u32 s8, s12, 0x10015
	s_add_i32 s8, s12, s8
	s_add_i32 s8, s8, 0x88fffff
	s_lshr_b32 s13, s8, 21
	s_mov_b64 s[10:11], 0
	s_mov_b64 s[8:9], -1
	s_branch .LBB39_868
.LBB39_853:
	s_mov_b64 s[10:11], -1
	s_mov_b64 s[8:9], 0
                                        ; implicit-def: $sgpr13
.LBB39_854:
	s_andn2_b64 vcc, exec, s[10:11]
	v_mov_b32_e32 v3, s13
                                        ; implicit-def: $sgpr10
	s_cbranch_vccnz .LBB39_856
; %bb.855:
	v_mov_b32_e32 v3, 0x46000000
	v_add_f32_e64 v3, |s12|, v3
	v_and_b32_e32 v3, 0xff, v3
	s_mov_b32 s10, 0
	v_cmp_ne_u32_e64 s[8:9], 0, v3
.LBB39_856:
	s_andn2_b64 vcc, exec, s[8:9]
	v_mov_b32_e32 v4, s10
	s_cbranch_vccnz .LBB39_858
; %bb.857:
	s_lshr_b32 s8, s12, 24
	s_and_b32 s8, s8, 0x80
	v_or_b32_e32 v4, s8, v3
.LBB39_858:
	global_store_byte v[0:1], v4, off
.LBB39_859:
	s_mov_b64 s[8:9], 0
.LBB39_860:
	s_and_b64 vcc, exec, s[8:9]
	s_cbranch_vccz .LBB39_1033
; %bb.861:
	v_cmp_lt_i16_e32 vcc, 22, v2
	s_mov_b64 s[4:5], -1
	s_cbranch_vccz .LBB39_1026
; %bb.862:
	v_cmp_gt_i16_e32 vcc, 24, v2
	s_cbranch_vccnz .LBB39_1013
; %bb.863:
	v_cmp_lt_i16_e32 vcc, 24, v2
	s_cbranch_vccz .LBB39_1000
; %bb.864:
	s_sext_i32_i16 s4, s14
	v_cvt_f32_i32_e32 v3, s4
	v_mov_b32_e32 v4, 0x80
	v_readfirstlane_b32 s10, v3
	s_and_b32 s4, s10, 0x7fffffff
	s_cmp_gt_u32 s4, 0x477fffff
	s_cbranch_scc1 .LBB39_999
; %bb.865:
	s_cmp_gt_u32 s4, 0x37ffffff
	s_cbranch_scc0 .LBB39_994
; %bb.866:
	s_bfe_u32 s4, s10, 0x10015
	s_add_i32 s4, s10, s4
	s_add_i32 s4, s4, 0x88fffff
	s_lshr_b32 s11, s4, 21
	s_mov_b64 s[8:9], 0
	s_mov_b64 s[4:5], -1
	s_branch .LBB39_995
.LBB39_867:
	s_mov_b64 s[10:11], -1
	s_mov_b64 s[8:9], 0
                                        ; implicit-def: $sgpr13
.LBB39_868:
	s_andn2_b64 vcc, exec, s[10:11]
	v_mov_b32_e32 v1, s13
                                        ; implicit-def: $sgpr10
	s_cbranch_vccnz .LBB39_870
; %bb.869:
	v_mov_b32_e32 v1, 0x42800000
	v_add_f32_e64 v1, |s12|, v1
	v_and_b32_e32 v1, 0xff, v1
	s_mov_b32 s10, 0
	v_cmp_ne_u32_e64 s[8:9], 0, v1
.LBB39_870:
	s_andn2_b64 vcc, exec, s[8:9]
	v_mov_b32_e32 v4, s10
	s_cbranch_vccnz .LBB39_872
; %bb.871:
	s_lshr_b32 s8, s12, 24
	s_and_b32 s8, s8, 0x80
	v_or_b32_e32 v4, s8, v1
.LBB39_872:
	s_mov_b64 s[8:9], 0
	global_store_byte v[2:3], v4, off
.LBB39_873:
	s_and_b64 vcc, exec, s[8:9]
	s_cbranch_vccz .LBB39_885
; %bb.874:
	s_sext_i32_i16 s8, s14
	v_cvt_f32_i32_e32 v1, s8
	v_readfirstlane_b32 s10, v1
	s_and_b32 s11, s10, 0x7fffffff
	s_cmp_lt_u32 s11, 0x43f00000
	s_cbranch_scc0 .LBB39_877
; %bb.875:
	s_cmp_gt_u32 s11, 0x3c7fffff
	s_cbranch_scc0 .LBB39_878
; %bb.876:
	s_bfe_u32 s8, s10, 0x10014
	s_add_i32 s8, s10, s8
	s_add_i32 s8, s8, 0x407ffff
	s_lshr_b32 s9, s8, 20
	s_and_b32 s8, s8, 0xff00000
	s_cmp_lg_u32 s8, 0x7f00000
	s_cselect_b32 s12, s9, 0x7e
	s_mov_b64 s[8:9], 0
	s_branch .LBB39_879
.LBB39_877:
	s_mov_b64 s[8:9], -1
                                        ; implicit-def: $vgpr4
	s_branch .LBB39_882
.LBB39_878:
	s_mov_b64 s[8:9], -1
                                        ; implicit-def: $sgpr12
.LBB39_879:
	s_andn2_b64 vcc, exec, s[8:9]
	v_mov_b32_e32 v4, s12
	s_cbranch_vccnz .LBB39_881
; %bb.880:
	s_mov_b32 s8, 0x46800000
	v_add_f32_e64 v4, |v1|, s8
.LBB39_881:
	s_mov_b64 s[8:9], 0
.LBB39_882:
	s_andn2_b64 vcc, exec, s[8:9]
	s_cbranch_vccnz .LBB39_884
; %bb.883:
	s_cmp_gt_u32 s11, 0x7f800000
	s_movk_i32 s8, 0x7f
	s_cselect_b32 s8, s8, 0x7e
	v_mov_b32_e32 v4, s8
.LBB39_884:
	s_lshr_b32 s8, s10, 24
	s_and_b32 s8, s8, 0x80
	v_or_b32_e32 v1, s8, v4
	global_store_byte v[2:3], v1, off
.LBB39_885:
	s_mov_b64 s[8:9], 0
.LBB39_886:
	s_andn2_b64 vcc, exec, s[8:9]
	s_cbranch_vccnz .LBB39_898
; %bb.887:
	s_sext_i32_i16 s8, s14
	v_cvt_f32_i32_e32 v1, s8
	v_readfirstlane_b32 s10, v1
	s_and_b32 s11, s10, 0x7fffffff
	s_cmp_lt_u32 s11, 0x47800000
	s_cbranch_scc0 .LBB39_890
; %bb.888:
	s_cmp_gt_u32 s11, 0x387fffff
	s_cbranch_scc0 .LBB39_891
; %bb.889:
	s_bfe_u32 s8, s10, 0x10015
	s_add_i32 s8, s10, s8
	s_add_i32 s8, s8, 0x80fffff
	s_lshr_b32 s12, s8, 21
	s_mov_b64 s[8:9], 0
	s_branch .LBB39_892
.LBB39_890:
	s_mov_b64 s[8:9], -1
                                        ; implicit-def: $vgpr4
	s_branch .LBB39_895
.LBB39_891:
	s_mov_b64 s[8:9], -1
                                        ; implicit-def: $sgpr12
.LBB39_892:
	s_andn2_b64 vcc, exec, s[8:9]
	v_mov_b32_e32 v4, s12
	s_cbranch_vccnz .LBB39_894
; %bb.893:
	s_mov_b32 s8, 0x43000000
	v_add_f32_e64 v4, |v1|, s8
.LBB39_894:
	s_mov_b64 s[8:9], 0
.LBB39_895:
	s_andn2_b64 vcc, exec, s[8:9]
	s_cbranch_vccnz .LBB39_897
; %bb.896:
	s_cmp_gt_u32 s11, 0x7f800000
	s_movk_i32 s8, 0x7f
	s_cselect_b32 s8, s8, 0x7c
	v_mov_b32_e32 v4, s8
.LBB39_897:
	s_lshr_b32 s8, s10, 24
	s_and_b32 s8, s8, 0x80
	v_or_b32_e32 v1, s8, v4
	global_store_byte v[2:3], v1, off
.LBB39_898:
	s_mov_b64 s[8:9], 0
	s_mov_b64 s[10:11], -1
.LBB39_899:
	s_andn2_b64 vcc, exec, s[8:9]
	s_mov_b64 s[8:9], 0
	s_cbranch_vccnz .LBB39_906
; %bb.900:
	v_mov_b32_e32 v1, 14
	v_cmp_gt_i16_sdwa s[8:9], s15, v1 src0_sel:BYTE_0 src1_sel:DWORD
	s_mov_b64 s[12:13], -1
	s_and_b64 vcc, exec, s[8:9]
	s_cbranch_vccz .LBB39_904
; %bb.901:
	v_mov_b32_e32 v1, 15
	v_cmp_eq_u16_sdwa s[8:9], s15, v1 src0_sel:BYTE_0 src1_sel:DWORD
	s_mov_b64 s[4:5], -1
	s_and_b64 vcc, exec, s[8:9]
	s_cbranch_vccz .LBB39_903
; %bb.902:
	s_sext_i32_i16 s4, s14
	v_cvt_f32_i32_e32 v1, s4
	s_mov_b64 s[4:5], 0
	s_mov_b64 s[10:11], -1
	v_bfe_u32 v4, v1, 16, 1
	v_add_u32_e32 v1, v1, v4
	v_add_u32_e32 v1, 0x7fff, v1
	global_store_short_d16_hi v[2:3], v1, off
.LBB39_903:
	s_mov_b64 s[12:13], 0
.LBB39_904:
	s_mov_b64 s[8:9], 0
	s_and_b64 vcc, exec, s[12:13]
	s_cbranch_vccz .LBB39_906
; %bb.905:
	v_mov_b32_e32 v1, 11
	v_cmp_ne_u16_sdwa s[4:5], s15, v1 src0_sel:BYTE_0 src1_sel:DWORD
	s_mov_b64 s[8:9], -1
.LBB39_906:
	s_and_b64 vcc, exec, s[4:5]
	s_cbranch_vccnz .LBB39_993
; %bb.907:
	s_andn2_b64 vcc, exec, s[8:9]
	s_cbranch_vccnz .LBB39_909
.LBB39_908:
	v_cmp_ne_u16_e64 s[4:5], s14, 0
	v_cndmask_b32_e64 v1, 0, 1, s[4:5]
	s_mov_b64 s[10:11], -1
	global_store_byte v[2:3], v1, off
.LBB39_909:
	s_branch .LBB39_782
.LBB39_910:
	v_mov_b32_e32 v1, 5
	v_cmp_lt_i16_sdwa s[8:9], s15, v1 src0_sel:BYTE_0 src1_sel:DWORD
	s_mov_b64 s[4:5], -1
	s_and_b64 vcc, exec, s[8:9]
	s_cbranch_vccnz .LBB39_931
; %bb.911:
	v_mov_b32_e32 v1, 8
	v_cmp_lt_i16_sdwa s[8:9], s15, v1 src0_sel:BYTE_0 src1_sel:DWORD
	s_and_b64 vcc, exec, s[8:9]
	s_cbranch_vccnz .LBB39_921
; %bb.912:
	v_mov_b32_e32 v1, 9
	v_cmp_lt_i16_sdwa s[8:9], s15, v1 src0_sel:BYTE_0 src1_sel:DWORD
	s_and_b64 vcc, exec, s[8:9]
	s_cbranch_vccnz .LBB39_918
; %bb.913:
	v_cmp_gt_i16_sdwa s[8:9], s15, v1 src0_sel:BYTE_0 src1_sel:DWORD
	s_and_b64 vcc, exec, s[8:9]
	s_cbranch_vccz .LBB39_915
; %bb.914:
	s_sext_i32_i16 s4, s14
	v_mov_b32_e32 v6, 0
	v_cvt_f64_i32_e32 v[4:5], s4
	v_mov_b32_e32 v7, v6
	global_store_dwordx4 v[2:3], v[4:7], off
	s_mov_b64 s[4:5], 0
.LBB39_915:
	s_andn2_b64 vcc, exec, s[4:5]
	s_cbranch_vccnz .LBB39_917
; %bb.916:
	s_sext_i32_i16 s4, s14
	v_cvt_f32_i32_e32 v4, s4
	v_mov_b32_e32 v5, 0
	global_store_dwordx2 v[2:3], v[4:5], off
.LBB39_917:
	s_mov_b64 s[4:5], 0
.LBB39_918:
	s_andn2_b64 vcc, exec, s[4:5]
	s_cbranch_vccnz .LBB39_920
; %bb.919:
	v_cvt_f16_i16_e32 v1, s14
	global_store_dword v[2:3], v1, off
.LBB39_920:
	s_mov_b64 s[4:5], 0
.LBB39_921:
	s_andn2_b64 vcc, exec, s[4:5]
	s_cbranch_vccnz .LBB39_930
; %bb.922:
	v_mov_b32_e32 v1, 6
	v_cmp_lt_i16_sdwa s[8:9], s15, v1 src0_sel:BYTE_0 src1_sel:DWORD
	s_mov_b64 s[4:5], -1
	s_and_b64 vcc, exec, s[8:9]
	s_cbranch_vccnz .LBB39_928
; %bb.923:
	v_cmp_gt_i16_sdwa s[8:9], s15, v1 src0_sel:BYTE_0 src1_sel:DWORD
	s_and_b64 vcc, exec, s[8:9]
	s_cbranch_vccz .LBB39_925
; %bb.924:
	s_sext_i32_i16 s4, s14
	v_cvt_f64_i32_e32 v[4:5], s4
	global_store_dwordx2 v[2:3], v[4:5], off
	s_mov_b64 s[4:5], 0
.LBB39_925:
	s_andn2_b64 vcc, exec, s[4:5]
	s_cbranch_vccnz .LBB39_927
; %bb.926:
	s_sext_i32_i16 s4, s14
	v_cvt_f32_i32_e32 v1, s4
	global_store_dword v[2:3], v1, off
.LBB39_927:
	s_mov_b64 s[4:5], 0
.LBB39_928:
	s_andn2_b64 vcc, exec, s[4:5]
	s_cbranch_vccnz .LBB39_930
; %bb.929:
	v_cvt_f16_i16_e32 v1, s14
	global_store_short v[2:3], v1, off
.LBB39_930:
	s_mov_b64 s[4:5], 0
.LBB39_931:
	s_andn2_b64 vcc, exec, s[4:5]
	s_cbranch_vccnz .LBB39_947
; %bb.932:
	v_mov_b32_e32 v1, 2
	v_cmp_lt_i16_sdwa s[8:9], s15, v1 src0_sel:BYTE_0 src1_sel:DWORD
	s_mov_b64 s[4:5], -1
	s_and_b64 vcc, exec, s[8:9]
	s_cbranch_vccnz .LBB39_942
; %bb.933:
	v_mov_b32_e32 v1, 3
	v_cmp_lt_i16_sdwa s[8:9], s15, v1 src0_sel:BYTE_0 src1_sel:DWORD
	s_and_b64 vcc, exec, s[8:9]
	s_cbranch_vccnz .LBB39_939
; %bb.934:
	v_cmp_gt_i16_sdwa s[8:9], s15, v1 src0_sel:BYTE_0 src1_sel:DWORD
	s_and_b64 vcc, exec, s[8:9]
	s_cbranch_vccz .LBB39_936
; %bb.935:
	s_sext_i32_i16 s4, s14
	s_ashr_i32 s5, s4, 31
	v_mov_b32_e32 v4, s4
	v_mov_b32_e32 v5, s5
	global_store_dwordx2 v[2:3], v[4:5], off
	s_mov_b64 s[4:5], 0
.LBB39_936:
	s_andn2_b64 vcc, exec, s[4:5]
	s_cbranch_vccnz .LBB39_938
; %bb.937:
	s_sext_i32_i16 s4, s14
	v_mov_b32_e32 v1, s4
	global_store_dword v[2:3], v1, off
.LBB39_938:
	s_mov_b64 s[4:5], 0
.LBB39_939:
	s_andn2_b64 vcc, exec, s[4:5]
	s_cbranch_vccnz .LBB39_941
; %bb.940:
	v_mov_b32_e32 v1, s14
	global_store_short v[2:3], v1, off
.LBB39_941:
	s_mov_b64 s[4:5], 0
.LBB39_942:
	s_andn2_b64 vcc, exec, s[4:5]
	s_cbranch_vccnz .LBB39_947
; %bb.943:
	v_mov_b32_e32 v1, 0
	v_cmp_gt_i16_sdwa s[8:9], s15, v1 src0_sel:BYTE_0 src1_sel:DWORD
	s_mov_b64 s[4:5], -1
	s_and_b64 vcc, exec, s[8:9]
	s_cbranch_vccz .LBB39_945
; %bb.944:
	v_mov_b32_e32 v1, s14
	global_store_byte v[2:3], v1, off
	s_mov_b64 s[4:5], 0
.LBB39_945:
	s_andn2_b64 vcc, exec, s[4:5]
	s_cbranch_vccnz .LBB39_947
; %bb.946:
	v_mov_b32_e32 v1, s14
	global_store_byte v[2:3], v1, off
.LBB39_947:
	s_branch .LBB39_783
.LBB39_948:
	s_mov_b64 s[0:1], 0
	s_mov_b64 s[4:5], 0
                                        ; implicit-def: $vgpr2
                                        ; implicit-def: $vgpr0_vgpr1
.LBB39_949:
	s_and_b64 s[30:31], s[4:5], exec
	s_andn2_b64 s[4:5], s[6:7], exec
	s_and_b64 s[2:3], s[2:3], exec
	s_and_b64 s[0:1], s[0:1], exec
	s_or_b64 s[6:7], s[4:5], s[2:3]
.LBB39_950:
	s_or_b64 exec, exec, s[24:25]
	s_and_saveexec_b64 s[2:3], s[6:7]
	s_cbranch_execz .LBB39_953
; %bb.951:
	; divergent unreachable
	s_or_b64 exec, exec, s[2:3]
	s_and_saveexec_b64 s[2:3], s[30:31]
	s_xor_b64 s[2:3], exec, s[2:3]
	s_cbranch_execnz .LBB39_954
.LBB39_952:
	s_or_b64 exec, exec, s[2:3]
	s_and_saveexec_b64 s[2:3], s[0:1]
	s_cbranch_execnz .LBB39_955
	s_branch .LBB39_992
.LBB39_953:
	s_or_b64 exec, exec, s[2:3]
	s_and_saveexec_b64 s[2:3], s[30:31]
	s_xor_b64 s[2:3], exec, s[2:3]
	s_cbranch_execz .LBB39_952
.LBB39_954:
	v_cmp_ne_u16_e64 s[4:5], s14, 0
	v_cndmask_b32_e64 v3, 0, 1, s[4:5]
	global_store_byte v[0:1], v3, off
	s_or_b64 exec, exec, s[2:3]
	s_and_saveexec_b64 s[2:3], s[0:1]
	s_cbranch_execz .LBB39_992
.LBB39_955:
	v_cmp_gt_i16_e32 vcc, 5, v2
	s_mov_b64 s[0:1], -1
	s_cbranch_vccnz .LBB39_976
; %bb.956:
	v_cmp_gt_i16_e32 vcc, 8, v2
	s_cbranch_vccnz .LBB39_966
; %bb.957:
	v_cmp_gt_i16_e32 vcc, 9, v2
	s_cbranch_vccnz .LBB39_963
; %bb.958:
	v_cmp_lt_i16_e32 vcc, 9, v2
	s_cbranch_vccz .LBB39_960
; %bb.959:
	s_sext_i32_i16 s0, s14
	v_mov_b32_e32 v6, 0
	v_cvt_f64_i32_e32 v[4:5], s0
	v_mov_b32_e32 v7, v6
	global_store_dwordx4 v[0:1], v[4:7], off
	s_mov_b64 s[0:1], 0
.LBB39_960:
	s_andn2_b64 vcc, exec, s[0:1]
	s_cbranch_vccnz .LBB39_962
; %bb.961:
	s_sext_i32_i16 s0, s14
	v_cvt_f32_i32_e32 v4, s0
	v_mov_b32_e32 v5, 0
	global_store_dwordx2 v[0:1], v[4:5], off
.LBB39_962:
	s_mov_b64 s[0:1], 0
.LBB39_963:
	s_andn2_b64 vcc, exec, s[0:1]
	s_cbranch_vccnz .LBB39_965
; %bb.964:
	v_cvt_f16_i16_e32 v3, s14
	global_store_dword v[0:1], v3, off
.LBB39_965:
	s_mov_b64 s[0:1], 0
.LBB39_966:
	s_andn2_b64 vcc, exec, s[0:1]
	s_cbranch_vccnz .LBB39_975
; %bb.967:
	v_cmp_gt_i16_e32 vcc, 6, v2
	s_mov_b64 s[0:1], -1
	s_cbranch_vccnz .LBB39_973
; %bb.968:
	v_cmp_lt_i16_e32 vcc, 6, v2
	s_cbranch_vccz .LBB39_970
; %bb.969:
	s_sext_i32_i16 s0, s14
	v_cvt_f64_i32_e32 v[4:5], s0
	global_store_dwordx2 v[0:1], v[4:5], off
	s_mov_b64 s[0:1], 0
.LBB39_970:
	s_andn2_b64 vcc, exec, s[0:1]
	s_cbranch_vccnz .LBB39_972
; %bb.971:
	s_sext_i32_i16 s0, s14
	v_cvt_f32_i32_e32 v3, s0
	global_store_dword v[0:1], v3, off
.LBB39_972:
	s_mov_b64 s[0:1], 0
.LBB39_973:
	s_andn2_b64 vcc, exec, s[0:1]
	s_cbranch_vccnz .LBB39_975
; %bb.974:
	v_cvt_f16_i16_e32 v3, s14
	global_store_short v[0:1], v3, off
.LBB39_975:
	s_mov_b64 s[0:1], 0
.LBB39_976:
	s_andn2_b64 vcc, exec, s[0:1]
	s_cbranch_vccnz .LBB39_992
; %bb.977:
	v_cmp_gt_i16_e32 vcc, 2, v2
	s_mov_b64 s[0:1], -1
	s_cbranch_vccnz .LBB39_987
; %bb.978:
	v_cmp_gt_i16_e32 vcc, 3, v2
	s_cbranch_vccnz .LBB39_984
; %bb.979:
	v_cmp_lt_i16_e32 vcc, 3, v2
	s_cbranch_vccz .LBB39_981
; %bb.980:
	s_sext_i32_i16 s0, s14
	s_ashr_i32 s1, s0, 31
	v_mov_b32_e32 v4, s0
	v_mov_b32_e32 v5, s1
	global_store_dwordx2 v[0:1], v[4:5], off
	s_mov_b64 s[0:1], 0
.LBB39_981:
	s_andn2_b64 vcc, exec, s[0:1]
	s_cbranch_vccnz .LBB39_983
; %bb.982:
	s_sext_i32_i16 s0, s14
	v_mov_b32_e32 v3, s0
	global_store_dword v[0:1], v3, off
.LBB39_983:
	s_mov_b64 s[0:1], 0
.LBB39_984:
	s_andn2_b64 vcc, exec, s[0:1]
	s_cbranch_vccnz .LBB39_986
; %bb.985:
	v_mov_b32_e32 v3, s14
	global_store_short v[0:1], v3, off
.LBB39_986:
	s_mov_b64 s[0:1], 0
.LBB39_987:
	s_andn2_b64 vcc, exec, s[0:1]
	s_cbranch_vccnz .LBB39_992
; %bb.988:
	v_cmp_lt_i16_e32 vcc, 0, v2
	s_mov_b64 s[0:1], -1
	s_cbranch_vccz .LBB39_990
; %bb.989:
	v_mov_b32_e32 v2, s14
	global_store_byte v[0:1], v2, off
	s_mov_b64 s[0:1], 0
.LBB39_990:
	s_andn2_b64 vcc, exec, s[0:1]
	s_cbranch_vccnz .LBB39_992
; %bb.991:
	v_mov_b32_e32 v2, s14
	global_store_byte v[0:1], v2, off
	s_endpgm
.LBB39_992:
	s_endpgm
.LBB39_993:
	s_trap 2
	s_or_b64 s[2:3], s[2:3], exec
	s_cbranch_execz .LBB39_908
	s_branch .LBB39_909
.LBB39_994:
	s_mov_b64 s[8:9], -1
	s_mov_b64 s[4:5], 0
                                        ; implicit-def: $sgpr11
.LBB39_995:
	s_andn2_b64 vcc, exec, s[8:9]
	v_mov_b32_e32 v3, s11
                                        ; implicit-def: $sgpr8
	s_cbranch_vccnz .LBB39_997
; %bb.996:
	v_mov_b32_e32 v3, 0x42800000
	v_add_f32_e64 v3, |s10|, v3
	v_and_b32_e32 v3, 0xff, v3
	s_mov_b32 s8, 0
	v_cmp_ne_u32_e64 s[4:5], 0, v3
.LBB39_997:
	s_andn2_b64 vcc, exec, s[4:5]
	v_mov_b32_e32 v4, s8
	s_cbranch_vccnz .LBB39_999
; %bb.998:
	s_lshr_b32 s4, s10, 24
	s_and_b32 s4, s4, 0x80
	v_or_b32_e32 v4, s4, v3
.LBB39_999:
	s_mov_b64 s[4:5], 0
	global_store_byte v[0:1], v4, off
.LBB39_1000:
	s_and_b64 vcc, exec, s[4:5]
	s_cbranch_vccz .LBB39_1012
; %bb.1001:
	s_sext_i32_i16 s4, s14
	v_cvt_f32_i32_e32 v3, s4
	v_readfirstlane_b32 s8, v3
	s_and_b32 s9, s8, 0x7fffffff
	s_cmp_lt_u32 s9, 0x43f00000
	s_cbranch_scc0 .LBB39_1004
; %bb.1002:
	s_cmp_gt_u32 s9, 0x3c7fffff
	s_cbranch_scc0 .LBB39_1005
; %bb.1003:
	s_bfe_u32 s4, s8, 0x10014
	s_add_i32 s4, s8, s4
	s_add_i32 s4, s4, 0x407ffff
	s_lshr_b32 s5, s4, 20
	s_and_b32 s4, s4, 0xff00000
	s_cmp_lg_u32 s4, 0x7f00000
	s_cselect_b32 s10, s5, 0x7e
	s_mov_b64 s[4:5], 0
	s_branch .LBB39_1006
.LBB39_1004:
	s_mov_b64 s[4:5], -1
                                        ; implicit-def: $vgpr4
	s_branch .LBB39_1009
.LBB39_1005:
	s_mov_b64 s[4:5], -1
                                        ; implicit-def: $sgpr10
.LBB39_1006:
	s_andn2_b64 vcc, exec, s[4:5]
	v_mov_b32_e32 v4, s10
	s_cbranch_vccnz .LBB39_1008
; %bb.1007:
	s_mov_b32 s4, 0x46800000
	v_add_f32_e64 v4, |v3|, s4
.LBB39_1008:
	s_mov_b64 s[4:5], 0
.LBB39_1009:
	s_andn2_b64 vcc, exec, s[4:5]
	s_cbranch_vccnz .LBB39_1011
; %bb.1010:
	s_cmp_gt_u32 s9, 0x7f800000
	s_movk_i32 s4, 0x7f
	s_cselect_b32 s4, s4, 0x7e
	v_mov_b32_e32 v4, s4
.LBB39_1011:
	s_lshr_b32 s4, s8, 24
	s_and_b32 s4, s4, 0x80
	v_or_b32_e32 v3, s4, v4
	global_store_byte v[0:1], v3, off
.LBB39_1012:
	s_mov_b64 s[4:5], 0
.LBB39_1013:
	s_andn2_b64 vcc, exec, s[4:5]
	s_cbranch_vccnz .LBB39_1025
; %bb.1014:
	s_sext_i32_i16 s4, s14
	v_cvt_f32_i32_e32 v3, s4
	v_readfirstlane_b32 s8, v3
	s_and_b32 s9, s8, 0x7fffffff
	s_cmp_lt_u32 s9, 0x47800000
	s_cbranch_scc0 .LBB39_1017
; %bb.1015:
	s_cmp_gt_u32 s9, 0x387fffff
	s_cbranch_scc0 .LBB39_1018
; %bb.1016:
	s_bfe_u32 s4, s8, 0x10015
	s_add_i32 s4, s8, s4
	s_add_i32 s4, s4, 0x80fffff
	s_lshr_b32 s10, s4, 21
	s_mov_b64 s[4:5], 0
	s_branch .LBB39_1019
.LBB39_1017:
	s_mov_b64 s[4:5], -1
                                        ; implicit-def: $vgpr4
	s_branch .LBB39_1022
.LBB39_1018:
	s_mov_b64 s[4:5], -1
                                        ; implicit-def: $sgpr10
.LBB39_1019:
	s_andn2_b64 vcc, exec, s[4:5]
	v_mov_b32_e32 v4, s10
	s_cbranch_vccnz .LBB39_1021
; %bb.1020:
	s_mov_b32 s4, 0x43000000
	v_add_f32_e64 v4, |v3|, s4
.LBB39_1021:
	s_mov_b64 s[4:5], 0
.LBB39_1022:
	s_andn2_b64 vcc, exec, s[4:5]
	s_cbranch_vccnz .LBB39_1024
; %bb.1023:
	s_cmp_gt_u32 s9, 0x7f800000
	s_movk_i32 s4, 0x7f
	s_cselect_b32 s4, s4, 0x7c
	v_mov_b32_e32 v4, s4
.LBB39_1024:
	s_lshr_b32 s4, s8, 24
	s_and_b32 s4, s4, 0x80
	v_or_b32_e32 v3, s4, v4
	global_store_byte v[0:1], v3, off
.LBB39_1025:
	s_mov_b64 s[4:5], 0
.LBB39_1026:
	s_andn2_b64 vcc, exec, s[4:5]
	s_mov_b64 s[4:5], 0
	s_cbranch_vccnz .LBB39_1033
; %bb.1027:
	v_cmp_lt_i16_e32 vcc, 14, v2
	s_mov_b64 s[8:9], -1
	s_cbranch_vccz .LBB39_1031
; %bb.1028:
	v_cmp_eq_u16_e32 vcc, 15, v2
	s_mov_b64 s[0:1], -1
	s_cbranch_vccz .LBB39_1030
; %bb.1029:
	s_sext_i32_i16 s0, s14
	v_cvt_f32_i32_e32 v3, s0
	s_mov_b64 s[0:1], 0
	v_bfe_u32 v4, v3, 16, 1
	v_add_u32_e32 v3, v3, v4
	v_add_u32_e32 v3, 0x7fff, v3
	global_store_short_d16_hi v[0:1], v3, off
.LBB39_1030:
	s_mov_b64 s[8:9], 0
.LBB39_1031:
	s_and_b64 vcc, exec, s[8:9]
	s_cbranch_vccz .LBB39_1033
; %bb.1032:
	v_cmp_ne_u16_e64 s[0:1], 11, v2
	s_mov_b64 s[4:5], -1
.LBB39_1033:
	s_and_b64 vcc, exec, s[0:1]
	s_cbranch_vccnz .LBB39_1035
.LBB39_1034:
	s_mov_b64 s[0:1], 0
	s_branch .LBB39_949
.LBB39_1035:
	s_mov_b64 s[4:5], 0
	s_or_b64 s[2:3], s[2:3], exec
	s_trap 2
	s_branch .LBB39_1034
	.section	.rodata,"a",@progbits
	.p2align	6, 0x0
	.amdhsa_kernel _ZN2at6native32elementwise_kernel_manual_unrollILi128ELi4EZNS0_15gpu_kernel_implINS0_11FillFunctorIsEEEEvRNS_18TensorIteratorBaseERKT_EUlibE0_EEviT1_
		.amdhsa_group_segment_fixed_size 0
		.amdhsa_private_segment_fixed_size 0
		.amdhsa_kernarg_size 288
		.amdhsa_user_sgpr_count 6
		.amdhsa_user_sgpr_private_segment_buffer 1
		.amdhsa_user_sgpr_dispatch_ptr 0
		.amdhsa_user_sgpr_queue_ptr 0
		.amdhsa_user_sgpr_kernarg_segment_ptr 1
		.amdhsa_user_sgpr_dispatch_id 0
		.amdhsa_user_sgpr_flat_scratch_init 0
		.amdhsa_user_sgpr_kernarg_preload_length 0
		.amdhsa_user_sgpr_kernarg_preload_offset 0
		.amdhsa_user_sgpr_private_segment_size 0
		.amdhsa_uses_dynamic_stack 0
		.amdhsa_system_sgpr_private_segment_wavefront_offset 0
		.amdhsa_system_sgpr_workgroup_id_x 1
		.amdhsa_system_sgpr_workgroup_id_y 0
		.amdhsa_system_sgpr_workgroup_id_z 0
		.amdhsa_system_sgpr_workgroup_info 0
		.amdhsa_system_vgpr_workitem_id 0
		.amdhsa_next_free_vgpr 17
		.amdhsa_next_free_sgpr 96
		.amdhsa_accum_offset 20
		.amdhsa_reserve_vcc 1
		.amdhsa_reserve_flat_scratch 0
		.amdhsa_float_round_mode_32 0
		.amdhsa_float_round_mode_16_64 0
		.amdhsa_float_denorm_mode_32 3
		.amdhsa_float_denorm_mode_16_64 3
		.amdhsa_dx10_clamp 1
		.amdhsa_ieee_mode 1
		.amdhsa_fp16_overflow 0
		.amdhsa_tg_split 0
		.amdhsa_exception_fp_ieee_invalid_op 0
		.amdhsa_exception_fp_denorm_src 0
		.amdhsa_exception_fp_ieee_div_zero 0
		.amdhsa_exception_fp_ieee_overflow 0
		.amdhsa_exception_fp_ieee_underflow 0
		.amdhsa_exception_fp_ieee_inexact 0
		.amdhsa_exception_int_div_zero 0
	.end_amdhsa_kernel
	.section	.text._ZN2at6native32elementwise_kernel_manual_unrollILi128ELi4EZNS0_15gpu_kernel_implINS0_11FillFunctorIsEEEEvRNS_18TensorIteratorBaseERKT_EUlibE0_EEviT1_,"axG",@progbits,_ZN2at6native32elementwise_kernel_manual_unrollILi128ELi4EZNS0_15gpu_kernel_implINS0_11FillFunctorIsEEEEvRNS_18TensorIteratorBaseERKT_EUlibE0_EEviT1_,comdat
.Lfunc_end39:
	.size	_ZN2at6native32elementwise_kernel_manual_unrollILi128ELi4EZNS0_15gpu_kernel_implINS0_11FillFunctorIsEEEEvRNS_18TensorIteratorBaseERKT_EUlibE0_EEviT1_, .Lfunc_end39-_ZN2at6native32elementwise_kernel_manual_unrollILi128ELi4EZNS0_15gpu_kernel_implINS0_11FillFunctorIsEEEEvRNS_18TensorIteratorBaseERKT_EUlibE0_EEviT1_
                                        ; -- End function
	.section	.AMDGPU.csdata,"",@progbits
; Kernel info:
; codeLenInByte = 18836
; NumSgprs: 100
; NumVgprs: 17
; NumAgprs: 0
; TotalNumVgprs: 17
; ScratchSize: 0
; MemoryBound: 0
; FloatMode: 240
; IeeeMode: 1
; LDSByteSize: 0 bytes/workgroup (compile time only)
; SGPRBlocks: 12
; VGPRBlocks: 2
; NumSGPRsForWavesPerEU: 100
; NumVGPRsForWavesPerEU: 17
; AccumOffset: 20
; Occupancy: 8
; WaveLimiterHint : 1
; COMPUTE_PGM_RSRC2:SCRATCH_EN: 0
; COMPUTE_PGM_RSRC2:USER_SGPR: 6
; COMPUTE_PGM_RSRC2:TRAP_HANDLER: 0
; COMPUTE_PGM_RSRC2:TGID_X_EN: 1
; COMPUTE_PGM_RSRC2:TGID_Y_EN: 0
; COMPUTE_PGM_RSRC2:TGID_Z_EN: 0
; COMPUTE_PGM_RSRC2:TIDIG_COMP_CNT: 0
; COMPUTE_PGM_RSRC3_GFX90A:ACCUM_OFFSET: 4
; COMPUTE_PGM_RSRC3_GFX90A:TG_SPLIT: 0
	.section	.text._ZN2at6native29vectorized_elementwise_kernelILi16ENS0_11FillFunctorIdEESt5arrayIPcLm1EEEEviT0_T1_,"axG",@progbits,_ZN2at6native29vectorized_elementwise_kernelILi16ENS0_11FillFunctorIdEESt5arrayIPcLm1EEEEviT0_T1_,comdat
	.protected	_ZN2at6native29vectorized_elementwise_kernelILi16ENS0_11FillFunctorIdEESt5arrayIPcLm1EEEEviT0_T1_ ; -- Begin function _ZN2at6native29vectorized_elementwise_kernelILi16ENS0_11FillFunctorIdEESt5arrayIPcLm1EEEEviT0_T1_
	.globl	_ZN2at6native29vectorized_elementwise_kernelILi16ENS0_11FillFunctorIdEESt5arrayIPcLm1EEEEviT0_T1_
	.p2align	8
	.type	_ZN2at6native29vectorized_elementwise_kernelILi16ENS0_11FillFunctorIdEESt5arrayIPcLm1EEEEviT0_T1_,@function
_ZN2at6native29vectorized_elementwise_kernelILi16ENS0_11FillFunctorIdEESt5arrayIPcLm1EEEEviT0_T1_: ; @_ZN2at6native29vectorized_elementwise_kernelILi16ENS0_11FillFunctorIdEESt5arrayIPcLm1EEEEviT0_T1_
; %bb.0:
	s_load_dword s7, s[4:5], 0x0
	s_load_dwordx4 s[0:3], s[4:5], 0x8
	s_lshl_b32 s4, s6, 10
	s_waitcnt lgkmcnt(0)
	s_sub_i32 s8, s7, s4
	s_cmpk_gt_i32 s8, 0x3ff
	s_mov_b64 s[6:7], -1
	s_cbranch_scc0 .LBB40_2
; %bb.1:
	s_ashr_i32 s5, s4, 31
	s_lshl_b64 s[6:7], s[4:5], 3
	s_mov_b32 s12, s0
	s_mov_b32 s13, s1
	s_add_u32 s6, s2, s6
	s_mov_b32 s14, s0
	s_mov_b32 s15, s1
	v_pk_mov_b32 v[2:3], s[12:13], s[12:13] op_sel:[0,1]
	s_addc_u32 s7, s3, s7
	v_lshlrev_b32_e32 v1, 5, v0
	v_pk_mov_b32 v[4:5], s[14:15], s[14:15] op_sel:[0,1]
	global_store_dwordx4 v1, v[2:5], s[6:7]
	global_store_dwordx4 v1, v[2:5], s[6:7] offset:16
	s_mov_b64 s[6:7], 0
.LBB40_2:
	s_andn2_b64 vcc, exec, s[6:7]
	s_cbranch_vccnz .LBB40_8
; %bb.3:
	v_cmp_gt_i32_e32 vcc, s8, v0
	s_and_saveexec_b64 s[6:7], vcc
	s_cbranch_execnz .LBB40_9
; %bb.4:
	s_or_b64 exec, exec, s[6:7]
	v_cmp_gt_i32_e32 vcc, s8, v0
	s_and_saveexec_b64 s[6:7], vcc
	s_cbranch_execnz .LBB40_10
.LBB40_5:
	s_or_b64 exec, exec, s[6:7]
	v_cmp_gt_i32_e32 vcc, s8, v0
	s_and_saveexec_b64 s[6:7], vcc
	s_cbranch_execnz .LBB40_11
.LBB40_6:
	s_or_b64 exec, exec, s[6:7]
	v_cmp_gt_i32_e32 vcc, s8, v0
	s_and_saveexec_b64 s[6:7], vcc
	s_cbranch_execz .LBB40_8
.LBB40_7:
	v_add_u32_e32 v0, s4, v0
	v_mov_b32_e32 v1, 0
	v_lshlrev_b64 v[0:1], 3, v[0:1]
	v_mov_b32_e32 v4, s3
	v_add_co_u32_e32 v0, vcc, s2, v0
	v_mov_b32_e32 v3, s1
	v_mov_b32_e32 v2, s0
	v_addc_co_u32_e32 v1, vcc, v4, v1, vcc
	global_store_dwordx2 v[0:1], v[2:3], off
.LBB40_8:
	s_endpgm
.LBB40_9:
	v_or_b32_e32 v4, 0x100, v0
	v_or_b32_e32 v0, s4, v0
	v_mov_b32_e32 v1, 0
	v_lshlrev_b64 v[0:1], 3, v[0:1]
	v_mov_b32_e32 v5, s3
	v_add_co_u32_e32 v0, vcc, s2, v0
	v_mov_b32_e32 v3, s1
	v_mov_b32_e32 v2, s0
	v_addc_co_u32_e32 v1, vcc, v5, v1, vcc
	global_store_dwordx2 v[0:1], v[2:3], off
	v_mov_b32_e32 v0, v4
	s_or_b64 exec, exec, s[6:7]
	v_cmp_gt_i32_e32 vcc, s8, v0
	s_and_saveexec_b64 s[6:7], vcc
	s_cbranch_execz .LBB40_5
.LBB40_10:
	v_add_u32_e32 v4, s4, v0
	v_mov_b32_e32 v5, 0
	v_lshlrev_b64 v[4:5], 3, v[4:5]
	v_mov_b32_e32 v1, s3
	v_add_co_u32_e32 v4, vcc, s2, v4
	v_mov_b32_e32 v3, s1
	v_mov_b32_e32 v2, s0
	v_addc_co_u32_e32 v5, vcc, v1, v5, vcc
	v_add_u32_e32 v0, 0x100, v0
	global_store_dwordx2 v[4:5], v[2:3], off
	s_or_b64 exec, exec, s[6:7]
	v_cmp_gt_i32_e32 vcc, s8, v0
	s_and_saveexec_b64 s[6:7], vcc
	s_cbranch_execz .LBB40_6
.LBB40_11:
	v_add_u32_e32 v4, s4, v0
	v_mov_b32_e32 v5, 0
	v_lshlrev_b64 v[4:5], 3, v[4:5]
	v_mov_b32_e32 v1, s3
	v_add_co_u32_e32 v4, vcc, s2, v4
	v_mov_b32_e32 v3, s1
	v_mov_b32_e32 v2, s0
	v_addc_co_u32_e32 v5, vcc, v1, v5, vcc
	v_add_u32_e32 v0, 0x100, v0
	global_store_dwordx2 v[4:5], v[2:3], off
	s_or_b64 exec, exec, s[6:7]
	v_cmp_gt_i32_e32 vcc, s8, v0
	s_and_saveexec_b64 s[6:7], vcc
	s_cbranch_execnz .LBB40_7
	s_branch .LBB40_8
	.section	.rodata,"a",@progbits
	.p2align	6, 0x0
	.amdhsa_kernel _ZN2at6native29vectorized_elementwise_kernelILi16ENS0_11FillFunctorIdEESt5arrayIPcLm1EEEEviT0_T1_
		.amdhsa_group_segment_fixed_size 0
		.amdhsa_private_segment_fixed_size 0
		.amdhsa_kernarg_size 24
		.amdhsa_user_sgpr_count 6
		.amdhsa_user_sgpr_private_segment_buffer 1
		.amdhsa_user_sgpr_dispatch_ptr 0
		.amdhsa_user_sgpr_queue_ptr 0
		.amdhsa_user_sgpr_kernarg_segment_ptr 1
		.amdhsa_user_sgpr_dispatch_id 0
		.amdhsa_user_sgpr_flat_scratch_init 0
		.amdhsa_user_sgpr_kernarg_preload_length 0
		.amdhsa_user_sgpr_kernarg_preload_offset 0
		.amdhsa_user_sgpr_private_segment_size 0
		.amdhsa_uses_dynamic_stack 0
		.amdhsa_system_sgpr_private_segment_wavefront_offset 0
		.amdhsa_system_sgpr_workgroup_id_x 1
		.amdhsa_system_sgpr_workgroup_id_y 0
		.amdhsa_system_sgpr_workgroup_id_z 0
		.amdhsa_system_sgpr_workgroup_info 0
		.amdhsa_system_vgpr_workitem_id 0
		.amdhsa_next_free_vgpr 6
		.amdhsa_next_free_sgpr 16
		.amdhsa_accum_offset 8
		.amdhsa_reserve_vcc 1
		.amdhsa_reserve_flat_scratch 0
		.amdhsa_float_round_mode_32 0
		.amdhsa_float_round_mode_16_64 0
		.amdhsa_float_denorm_mode_32 3
		.amdhsa_float_denorm_mode_16_64 3
		.amdhsa_dx10_clamp 1
		.amdhsa_ieee_mode 1
		.amdhsa_fp16_overflow 0
		.amdhsa_tg_split 0
		.amdhsa_exception_fp_ieee_invalid_op 0
		.amdhsa_exception_fp_denorm_src 0
		.amdhsa_exception_fp_ieee_div_zero 0
		.amdhsa_exception_fp_ieee_overflow 0
		.amdhsa_exception_fp_ieee_underflow 0
		.amdhsa_exception_fp_ieee_inexact 0
		.amdhsa_exception_int_div_zero 0
	.end_amdhsa_kernel
	.section	.text._ZN2at6native29vectorized_elementwise_kernelILi16ENS0_11FillFunctorIdEESt5arrayIPcLm1EEEEviT0_T1_,"axG",@progbits,_ZN2at6native29vectorized_elementwise_kernelILi16ENS0_11FillFunctorIdEESt5arrayIPcLm1EEEEviT0_T1_,comdat
.Lfunc_end40:
	.size	_ZN2at6native29vectorized_elementwise_kernelILi16ENS0_11FillFunctorIdEESt5arrayIPcLm1EEEEviT0_T1_, .Lfunc_end40-_ZN2at6native29vectorized_elementwise_kernelILi16ENS0_11FillFunctorIdEESt5arrayIPcLm1EEEEviT0_T1_
                                        ; -- End function
	.section	.AMDGPU.csdata,"",@progbits
; Kernel info:
; codeLenInByte = 440
; NumSgprs: 20
; NumVgprs: 6
; NumAgprs: 0
; TotalNumVgprs: 6
; ScratchSize: 0
; MemoryBound: 0
; FloatMode: 240
; IeeeMode: 1
; LDSByteSize: 0 bytes/workgroup (compile time only)
; SGPRBlocks: 2
; VGPRBlocks: 0
; NumSGPRsForWavesPerEU: 20
; NumVGPRsForWavesPerEU: 6
; AccumOffset: 8
; Occupancy: 8
; WaveLimiterHint : 0
; COMPUTE_PGM_RSRC2:SCRATCH_EN: 0
; COMPUTE_PGM_RSRC2:USER_SGPR: 6
; COMPUTE_PGM_RSRC2:TRAP_HANDLER: 0
; COMPUTE_PGM_RSRC2:TGID_X_EN: 1
; COMPUTE_PGM_RSRC2:TGID_Y_EN: 0
; COMPUTE_PGM_RSRC2:TGID_Z_EN: 0
; COMPUTE_PGM_RSRC2:TIDIG_COMP_CNT: 0
; COMPUTE_PGM_RSRC3_GFX90A:ACCUM_OFFSET: 1
; COMPUTE_PGM_RSRC3_GFX90A:TG_SPLIT: 0
	.section	.text._ZN2at6native29vectorized_elementwise_kernelILi8ENS0_11FillFunctorIdEESt5arrayIPcLm1EEEEviT0_T1_,"axG",@progbits,_ZN2at6native29vectorized_elementwise_kernelILi8ENS0_11FillFunctorIdEESt5arrayIPcLm1EEEEviT0_T1_,comdat
	.protected	_ZN2at6native29vectorized_elementwise_kernelILi8ENS0_11FillFunctorIdEESt5arrayIPcLm1EEEEviT0_T1_ ; -- Begin function _ZN2at6native29vectorized_elementwise_kernelILi8ENS0_11FillFunctorIdEESt5arrayIPcLm1EEEEviT0_T1_
	.globl	_ZN2at6native29vectorized_elementwise_kernelILi8ENS0_11FillFunctorIdEESt5arrayIPcLm1EEEEviT0_T1_
	.p2align	8
	.type	_ZN2at6native29vectorized_elementwise_kernelILi8ENS0_11FillFunctorIdEESt5arrayIPcLm1EEEEviT0_T1_,@function
_ZN2at6native29vectorized_elementwise_kernelILi8ENS0_11FillFunctorIdEESt5arrayIPcLm1EEEEviT0_T1_: ; @_ZN2at6native29vectorized_elementwise_kernelILi8ENS0_11FillFunctorIdEESt5arrayIPcLm1EEEEviT0_T1_
; %bb.0:
	s_load_dword s7, s[4:5], 0x0
	s_load_dwordx4 s[0:3], s[4:5], 0x8
	s_lshl_b32 s4, s6, 10
	s_waitcnt lgkmcnt(0)
	s_sub_i32 s8, s7, s4
	s_cmpk_gt_i32 s8, 0x3ff
	s_mov_b64 s[6:7], -1
	s_cbranch_scc0 .LBB41_2
; %bb.1:
	s_ashr_i32 s5, s4, 31
	s_lshl_b64 s[6:7], s[4:5], 3
	s_mov_b32 s12, s0
	s_mov_b32 s13, s1
	s_add_u32 s6, s2, s6
	s_mov_b32 s14, s0
	s_mov_b32 s15, s1
	v_pk_mov_b32 v[2:3], s[12:13], s[12:13] op_sel:[0,1]
	s_addc_u32 s7, s3, s7
	v_lshlrev_b32_e32 v1, 5, v0
	v_pk_mov_b32 v[4:5], s[14:15], s[14:15] op_sel:[0,1]
	global_store_dwordx4 v1, v[2:5], s[6:7]
	global_store_dwordx4 v1, v[2:5], s[6:7] offset:16
	s_mov_b64 s[6:7], 0
.LBB41_2:
	s_andn2_b64 vcc, exec, s[6:7]
	s_cbranch_vccnz .LBB41_8
; %bb.3:
	v_cmp_gt_i32_e32 vcc, s8, v0
	s_and_saveexec_b64 s[6:7], vcc
	s_cbranch_execnz .LBB41_9
; %bb.4:
	s_or_b64 exec, exec, s[6:7]
	v_cmp_gt_i32_e32 vcc, s8, v0
	s_and_saveexec_b64 s[6:7], vcc
	s_cbranch_execnz .LBB41_10
.LBB41_5:
	s_or_b64 exec, exec, s[6:7]
	v_cmp_gt_i32_e32 vcc, s8, v0
	s_and_saveexec_b64 s[6:7], vcc
	s_cbranch_execnz .LBB41_11
.LBB41_6:
	s_or_b64 exec, exec, s[6:7]
	v_cmp_gt_i32_e32 vcc, s8, v0
	s_and_saveexec_b64 s[6:7], vcc
	s_cbranch_execz .LBB41_8
.LBB41_7:
	v_add_u32_e32 v0, s4, v0
	v_mov_b32_e32 v1, 0
	v_lshlrev_b64 v[0:1], 3, v[0:1]
	v_mov_b32_e32 v4, s3
	v_add_co_u32_e32 v0, vcc, s2, v0
	v_mov_b32_e32 v3, s1
	v_mov_b32_e32 v2, s0
	v_addc_co_u32_e32 v1, vcc, v4, v1, vcc
	global_store_dwordx2 v[0:1], v[2:3], off
.LBB41_8:
	s_endpgm
.LBB41_9:
	v_or_b32_e32 v4, 0x100, v0
	v_or_b32_e32 v0, s4, v0
	v_mov_b32_e32 v1, 0
	v_lshlrev_b64 v[0:1], 3, v[0:1]
	v_mov_b32_e32 v5, s3
	v_add_co_u32_e32 v0, vcc, s2, v0
	v_mov_b32_e32 v3, s1
	v_mov_b32_e32 v2, s0
	v_addc_co_u32_e32 v1, vcc, v5, v1, vcc
	global_store_dwordx2 v[0:1], v[2:3], off
	v_mov_b32_e32 v0, v4
	s_or_b64 exec, exec, s[6:7]
	v_cmp_gt_i32_e32 vcc, s8, v0
	s_and_saveexec_b64 s[6:7], vcc
	s_cbranch_execz .LBB41_5
.LBB41_10:
	v_add_u32_e32 v4, s4, v0
	v_mov_b32_e32 v5, 0
	v_lshlrev_b64 v[4:5], 3, v[4:5]
	v_mov_b32_e32 v1, s3
	v_add_co_u32_e32 v4, vcc, s2, v4
	v_mov_b32_e32 v3, s1
	v_mov_b32_e32 v2, s0
	v_addc_co_u32_e32 v5, vcc, v1, v5, vcc
	v_add_u32_e32 v0, 0x100, v0
	global_store_dwordx2 v[4:5], v[2:3], off
	s_or_b64 exec, exec, s[6:7]
	v_cmp_gt_i32_e32 vcc, s8, v0
	s_and_saveexec_b64 s[6:7], vcc
	s_cbranch_execz .LBB41_6
.LBB41_11:
	v_add_u32_e32 v4, s4, v0
	v_mov_b32_e32 v5, 0
	v_lshlrev_b64 v[4:5], 3, v[4:5]
	v_mov_b32_e32 v1, s3
	v_add_co_u32_e32 v4, vcc, s2, v4
	v_mov_b32_e32 v3, s1
	v_mov_b32_e32 v2, s0
	v_addc_co_u32_e32 v5, vcc, v1, v5, vcc
	v_add_u32_e32 v0, 0x100, v0
	global_store_dwordx2 v[4:5], v[2:3], off
	s_or_b64 exec, exec, s[6:7]
	v_cmp_gt_i32_e32 vcc, s8, v0
	s_and_saveexec_b64 s[6:7], vcc
	s_cbranch_execnz .LBB41_7
	s_branch .LBB41_8
	.section	.rodata,"a",@progbits
	.p2align	6, 0x0
	.amdhsa_kernel _ZN2at6native29vectorized_elementwise_kernelILi8ENS0_11FillFunctorIdEESt5arrayIPcLm1EEEEviT0_T1_
		.amdhsa_group_segment_fixed_size 0
		.amdhsa_private_segment_fixed_size 0
		.amdhsa_kernarg_size 24
		.amdhsa_user_sgpr_count 6
		.amdhsa_user_sgpr_private_segment_buffer 1
		.amdhsa_user_sgpr_dispatch_ptr 0
		.amdhsa_user_sgpr_queue_ptr 0
		.amdhsa_user_sgpr_kernarg_segment_ptr 1
		.amdhsa_user_sgpr_dispatch_id 0
		.amdhsa_user_sgpr_flat_scratch_init 0
		.amdhsa_user_sgpr_kernarg_preload_length 0
		.amdhsa_user_sgpr_kernarg_preload_offset 0
		.amdhsa_user_sgpr_private_segment_size 0
		.amdhsa_uses_dynamic_stack 0
		.amdhsa_system_sgpr_private_segment_wavefront_offset 0
		.amdhsa_system_sgpr_workgroup_id_x 1
		.amdhsa_system_sgpr_workgroup_id_y 0
		.amdhsa_system_sgpr_workgroup_id_z 0
		.amdhsa_system_sgpr_workgroup_info 0
		.amdhsa_system_vgpr_workitem_id 0
		.amdhsa_next_free_vgpr 6
		.amdhsa_next_free_sgpr 16
		.amdhsa_accum_offset 8
		.amdhsa_reserve_vcc 1
		.amdhsa_reserve_flat_scratch 0
		.amdhsa_float_round_mode_32 0
		.amdhsa_float_round_mode_16_64 0
		.amdhsa_float_denorm_mode_32 3
		.amdhsa_float_denorm_mode_16_64 3
		.amdhsa_dx10_clamp 1
		.amdhsa_ieee_mode 1
		.amdhsa_fp16_overflow 0
		.amdhsa_tg_split 0
		.amdhsa_exception_fp_ieee_invalid_op 0
		.amdhsa_exception_fp_denorm_src 0
		.amdhsa_exception_fp_ieee_div_zero 0
		.amdhsa_exception_fp_ieee_overflow 0
		.amdhsa_exception_fp_ieee_underflow 0
		.amdhsa_exception_fp_ieee_inexact 0
		.amdhsa_exception_int_div_zero 0
	.end_amdhsa_kernel
	.section	.text._ZN2at6native29vectorized_elementwise_kernelILi8ENS0_11FillFunctorIdEESt5arrayIPcLm1EEEEviT0_T1_,"axG",@progbits,_ZN2at6native29vectorized_elementwise_kernelILi8ENS0_11FillFunctorIdEESt5arrayIPcLm1EEEEviT0_T1_,comdat
.Lfunc_end41:
	.size	_ZN2at6native29vectorized_elementwise_kernelILi8ENS0_11FillFunctorIdEESt5arrayIPcLm1EEEEviT0_T1_, .Lfunc_end41-_ZN2at6native29vectorized_elementwise_kernelILi8ENS0_11FillFunctorIdEESt5arrayIPcLm1EEEEviT0_T1_
                                        ; -- End function
	.section	.AMDGPU.csdata,"",@progbits
; Kernel info:
; codeLenInByte = 440
; NumSgprs: 20
; NumVgprs: 6
; NumAgprs: 0
; TotalNumVgprs: 6
; ScratchSize: 0
; MemoryBound: 0
; FloatMode: 240
; IeeeMode: 1
; LDSByteSize: 0 bytes/workgroup (compile time only)
; SGPRBlocks: 2
; VGPRBlocks: 0
; NumSGPRsForWavesPerEU: 20
; NumVGPRsForWavesPerEU: 6
; AccumOffset: 8
; Occupancy: 8
; WaveLimiterHint : 0
; COMPUTE_PGM_RSRC2:SCRATCH_EN: 0
; COMPUTE_PGM_RSRC2:USER_SGPR: 6
; COMPUTE_PGM_RSRC2:TRAP_HANDLER: 0
; COMPUTE_PGM_RSRC2:TGID_X_EN: 1
; COMPUTE_PGM_RSRC2:TGID_Y_EN: 0
; COMPUTE_PGM_RSRC2:TGID_Z_EN: 0
; COMPUTE_PGM_RSRC2:TIDIG_COMP_CNT: 0
; COMPUTE_PGM_RSRC3_GFX90A:ACCUM_OFFSET: 1
; COMPUTE_PGM_RSRC3_GFX90A:TG_SPLIT: 0
	.section	.text._ZN2at6native29vectorized_elementwise_kernelILi4ENS0_11FillFunctorIdEESt5arrayIPcLm1EEEEviT0_T1_,"axG",@progbits,_ZN2at6native29vectorized_elementwise_kernelILi4ENS0_11FillFunctorIdEESt5arrayIPcLm1EEEEviT0_T1_,comdat
	.protected	_ZN2at6native29vectorized_elementwise_kernelILi4ENS0_11FillFunctorIdEESt5arrayIPcLm1EEEEviT0_T1_ ; -- Begin function _ZN2at6native29vectorized_elementwise_kernelILi4ENS0_11FillFunctorIdEESt5arrayIPcLm1EEEEviT0_T1_
	.globl	_ZN2at6native29vectorized_elementwise_kernelILi4ENS0_11FillFunctorIdEESt5arrayIPcLm1EEEEviT0_T1_
	.p2align	8
	.type	_ZN2at6native29vectorized_elementwise_kernelILi4ENS0_11FillFunctorIdEESt5arrayIPcLm1EEEEviT0_T1_,@function
_ZN2at6native29vectorized_elementwise_kernelILi4ENS0_11FillFunctorIdEESt5arrayIPcLm1EEEEviT0_T1_: ; @_ZN2at6native29vectorized_elementwise_kernelILi4ENS0_11FillFunctorIdEESt5arrayIPcLm1EEEEviT0_T1_
; %bb.0:
	s_load_dword s7, s[4:5], 0x0
	s_load_dwordx4 s[0:3], s[4:5], 0x8
	s_lshl_b32 s4, s6, 10
	s_waitcnt lgkmcnt(0)
	s_sub_i32 s8, s7, s4
	s_cmpk_gt_i32 s8, 0x3ff
	s_mov_b64 s[6:7], -1
	s_cbranch_scc0 .LBB42_2
; %bb.1:
	s_ashr_i32 s5, s4, 31
	s_lshl_b64 s[6:7], s[4:5], 3
	s_mov_b32 s12, s0
	s_mov_b32 s13, s1
	s_add_u32 s6, s2, s6
	s_mov_b32 s14, s0
	s_mov_b32 s15, s1
	v_pk_mov_b32 v[2:3], s[12:13], s[12:13] op_sel:[0,1]
	s_addc_u32 s7, s3, s7
	v_lshlrev_b32_e32 v1, 5, v0
	v_pk_mov_b32 v[4:5], s[14:15], s[14:15] op_sel:[0,1]
	global_store_dwordx4 v1, v[2:5], s[6:7]
	global_store_dwordx4 v1, v[2:5], s[6:7] offset:16
	s_mov_b64 s[6:7], 0
.LBB42_2:
	s_andn2_b64 vcc, exec, s[6:7]
	s_cbranch_vccnz .LBB42_8
; %bb.3:
	v_cmp_gt_i32_e32 vcc, s8, v0
	s_and_saveexec_b64 s[6:7], vcc
	s_cbranch_execnz .LBB42_9
; %bb.4:
	s_or_b64 exec, exec, s[6:7]
	v_cmp_gt_i32_e32 vcc, s8, v0
	s_and_saveexec_b64 s[6:7], vcc
	s_cbranch_execnz .LBB42_10
.LBB42_5:
	s_or_b64 exec, exec, s[6:7]
	v_cmp_gt_i32_e32 vcc, s8, v0
	s_and_saveexec_b64 s[6:7], vcc
	s_cbranch_execnz .LBB42_11
.LBB42_6:
	s_or_b64 exec, exec, s[6:7]
	v_cmp_gt_i32_e32 vcc, s8, v0
	s_and_saveexec_b64 s[6:7], vcc
	s_cbranch_execz .LBB42_8
.LBB42_7:
	v_add_u32_e32 v0, s4, v0
	v_mov_b32_e32 v1, 0
	v_lshlrev_b64 v[0:1], 3, v[0:1]
	v_mov_b32_e32 v4, s3
	v_add_co_u32_e32 v0, vcc, s2, v0
	v_mov_b32_e32 v3, s1
	v_mov_b32_e32 v2, s0
	v_addc_co_u32_e32 v1, vcc, v4, v1, vcc
	global_store_dwordx2 v[0:1], v[2:3], off
.LBB42_8:
	s_endpgm
.LBB42_9:
	v_or_b32_e32 v4, 0x100, v0
	v_or_b32_e32 v0, s4, v0
	v_mov_b32_e32 v1, 0
	v_lshlrev_b64 v[0:1], 3, v[0:1]
	v_mov_b32_e32 v5, s3
	v_add_co_u32_e32 v0, vcc, s2, v0
	v_mov_b32_e32 v3, s1
	v_mov_b32_e32 v2, s0
	v_addc_co_u32_e32 v1, vcc, v5, v1, vcc
	global_store_dwordx2 v[0:1], v[2:3], off
	v_mov_b32_e32 v0, v4
	s_or_b64 exec, exec, s[6:7]
	v_cmp_gt_i32_e32 vcc, s8, v0
	s_and_saveexec_b64 s[6:7], vcc
	s_cbranch_execz .LBB42_5
.LBB42_10:
	v_add_u32_e32 v4, s4, v0
	v_mov_b32_e32 v5, 0
	v_lshlrev_b64 v[4:5], 3, v[4:5]
	v_mov_b32_e32 v1, s3
	v_add_co_u32_e32 v4, vcc, s2, v4
	v_mov_b32_e32 v3, s1
	v_mov_b32_e32 v2, s0
	v_addc_co_u32_e32 v5, vcc, v1, v5, vcc
	v_add_u32_e32 v0, 0x100, v0
	global_store_dwordx2 v[4:5], v[2:3], off
	s_or_b64 exec, exec, s[6:7]
	v_cmp_gt_i32_e32 vcc, s8, v0
	s_and_saveexec_b64 s[6:7], vcc
	s_cbranch_execz .LBB42_6
.LBB42_11:
	v_add_u32_e32 v4, s4, v0
	v_mov_b32_e32 v5, 0
	v_lshlrev_b64 v[4:5], 3, v[4:5]
	v_mov_b32_e32 v1, s3
	v_add_co_u32_e32 v4, vcc, s2, v4
	v_mov_b32_e32 v3, s1
	v_mov_b32_e32 v2, s0
	v_addc_co_u32_e32 v5, vcc, v1, v5, vcc
	v_add_u32_e32 v0, 0x100, v0
	global_store_dwordx2 v[4:5], v[2:3], off
	s_or_b64 exec, exec, s[6:7]
	v_cmp_gt_i32_e32 vcc, s8, v0
	s_and_saveexec_b64 s[6:7], vcc
	s_cbranch_execnz .LBB42_7
	s_branch .LBB42_8
	.section	.rodata,"a",@progbits
	.p2align	6, 0x0
	.amdhsa_kernel _ZN2at6native29vectorized_elementwise_kernelILi4ENS0_11FillFunctorIdEESt5arrayIPcLm1EEEEviT0_T1_
		.amdhsa_group_segment_fixed_size 0
		.amdhsa_private_segment_fixed_size 0
		.amdhsa_kernarg_size 24
		.amdhsa_user_sgpr_count 6
		.amdhsa_user_sgpr_private_segment_buffer 1
		.amdhsa_user_sgpr_dispatch_ptr 0
		.amdhsa_user_sgpr_queue_ptr 0
		.amdhsa_user_sgpr_kernarg_segment_ptr 1
		.amdhsa_user_sgpr_dispatch_id 0
		.amdhsa_user_sgpr_flat_scratch_init 0
		.amdhsa_user_sgpr_kernarg_preload_length 0
		.amdhsa_user_sgpr_kernarg_preload_offset 0
		.amdhsa_user_sgpr_private_segment_size 0
		.amdhsa_uses_dynamic_stack 0
		.amdhsa_system_sgpr_private_segment_wavefront_offset 0
		.amdhsa_system_sgpr_workgroup_id_x 1
		.amdhsa_system_sgpr_workgroup_id_y 0
		.amdhsa_system_sgpr_workgroup_id_z 0
		.amdhsa_system_sgpr_workgroup_info 0
		.amdhsa_system_vgpr_workitem_id 0
		.amdhsa_next_free_vgpr 6
		.amdhsa_next_free_sgpr 16
		.amdhsa_accum_offset 8
		.amdhsa_reserve_vcc 1
		.amdhsa_reserve_flat_scratch 0
		.amdhsa_float_round_mode_32 0
		.amdhsa_float_round_mode_16_64 0
		.amdhsa_float_denorm_mode_32 3
		.amdhsa_float_denorm_mode_16_64 3
		.amdhsa_dx10_clamp 1
		.amdhsa_ieee_mode 1
		.amdhsa_fp16_overflow 0
		.amdhsa_tg_split 0
		.amdhsa_exception_fp_ieee_invalid_op 0
		.amdhsa_exception_fp_denorm_src 0
		.amdhsa_exception_fp_ieee_div_zero 0
		.amdhsa_exception_fp_ieee_overflow 0
		.amdhsa_exception_fp_ieee_underflow 0
		.amdhsa_exception_fp_ieee_inexact 0
		.amdhsa_exception_int_div_zero 0
	.end_amdhsa_kernel
	.section	.text._ZN2at6native29vectorized_elementwise_kernelILi4ENS0_11FillFunctorIdEESt5arrayIPcLm1EEEEviT0_T1_,"axG",@progbits,_ZN2at6native29vectorized_elementwise_kernelILi4ENS0_11FillFunctorIdEESt5arrayIPcLm1EEEEviT0_T1_,comdat
.Lfunc_end42:
	.size	_ZN2at6native29vectorized_elementwise_kernelILi4ENS0_11FillFunctorIdEESt5arrayIPcLm1EEEEviT0_T1_, .Lfunc_end42-_ZN2at6native29vectorized_elementwise_kernelILi4ENS0_11FillFunctorIdEESt5arrayIPcLm1EEEEviT0_T1_
                                        ; -- End function
	.section	.AMDGPU.csdata,"",@progbits
; Kernel info:
; codeLenInByte = 440
; NumSgprs: 20
; NumVgprs: 6
; NumAgprs: 0
; TotalNumVgprs: 6
; ScratchSize: 0
; MemoryBound: 0
; FloatMode: 240
; IeeeMode: 1
; LDSByteSize: 0 bytes/workgroup (compile time only)
; SGPRBlocks: 2
; VGPRBlocks: 0
; NumSGPRsForWavesPerEU: 20
; NumVGPRsForWavesPerEU: 6
; AccumOffset: 8
; Occupancy: 8
; WaveLimiterHint : 0
; COMPUTE_PGM_RSRC2:SCRATCH_EN: 0
; COMPUTE_PGM_RSRC2:USER_SGPR: 6
; COMPUTE_PGM_RSRC2:TRAP_HANDLER: 0
; COMPUTE_PGM_RSRC2:TGID_X_EN: 1
; COMPUTE_PGM_RSRC2:TGID_Y_EN: 0
; COMPUTE_PGM_RSRC2:TGID_Z_EN: 0
; COMPUTE_PGM_RSRC2:TIDIG_COMP_CNT: 0
; COMPUTE_PGM_RSRC3_GFX90A:ACCUM_OFFSET: 1
; COMPUTE_PGM_RSRC3_GFX90A:TG_SPLIT: 0
	.section	.text._ZN2at6native29vectorized_elementwise_kernelILi2ENS0_11FillFunctorIdEESt5arrayIPcLm1EEEEviT0_T1_,"axG",@progbits,_ZN2at6native29vectorized_elementwise_kernelILi2ENS0_11FillFunctorIdEESt5arrayIPcLm1EEEEviT0_T1_,comdat
	.protected	_ZN2at6native29vectorized_elementwise_kernelILi2ENS0_11FillFunctorIdEESt5arrayIPcLm1EEEEviT0_T1_ ; -- Begin function _ZN2at6native29vectorized_elementwise_kernelILi2ENS0_11FillFunctorIdEESt5arrayIPcLm1EEEEviT0_T1_
	.globl	_ZN2at6native29vectorized_elementwise_kernelILi2ENS0_11FillFunctorIdEESt5arrayIPcLm1EEEEviT0_T1_
	.p2align	8
	.type	_ZN2at6native29vectorized_elementwise_kernelILi2ENS0_11FillFunctorIdEESt5arrayIPcLm1EEEEviT0_T1_,@function
_ZN2at6native29vectorized_elementwise_kernelILi2ENS0_11FillFunctorIdEESt5arrayIPcLm1EEEEviT0_T1_: ; @_ZN2at6native29vectorized_elementwise_kernelILi2ENS0_11FillFunctorIdEESt5arrayIPcLm1EEEEviT0_T1_
; %bb.0:
	s_load_dword s7, s[4:5], 0x0
	s_load_dwordx4 s[0:3], s[4:5], 0x8
	s_lshl_b32 s4, s6, 10
	s_waitcnt lgkmcnt(0)
	s_sub_i32 s8, s7, s4
	s_cmpk_gt_i32 s8, 0x3ff
	s_mov_b64 s[6:7], -1
	s_cbranch_scc0 .LBB43_2
; %bb.1:
	s_ashr_i32 s5, s4, 31
	s_lshl_b64 s[6:7], s[4:5], 3
	s_add_u32 s6, s2, s6
	s_addc_u32 s7, s3, s7
	v_lshlrev_b32_e32 v1, 4, v0
	v_mov_b32_e32 v2, s7
	v_add_co_u32_e32 v6, vcc, s6, v1
	v_addc_co_u32_e32 v7, vcc, 0, v2, vcc
	s_mov_b32 s12, s0
	s_mov_b32 s13, s1
	;; [unrolled: 1-line block ×4, first 2 shown]
	v_pk_mov_b32 v[2:3], s[12:13], s[12:13] op_sel:[0,1]
	v_add_co_u32_e32 v6, vcc, 0x1000, v6
	v_pk_mov_b32 v[4:5], s[14:15], s[14:15] op_sel:[0,1]
	v_addc_co_u32_e32 v7, vcc, 0, v7, vcc
	global_store_dwordx4 v1, v[2:5], s[6:7]
	global_store_dwordx4 v[6:7], v[2:5], off
	s_mov_b64 s[6:7], 0
.LBB43_2:
	s_andn2_b64 vcc, exec, s[6:7]
	s_cbranch_vccnz .LBB43_8
; %bb.3:
	v_cmp_gt_i32_e32 vcc, s8, v0
	s_and_saveexec_b64 s[6:7], vcc
	s_cbranch_execnz .LBB43_9
; %bb.4:
	s_or_b64 exec, exec, s[6:7]
	v_cmp_gt_i32_e32 vcc, s8, v0
	s_and_saveexec_b64 s[6:7], vcc
	s_cbranch_execnz .LBB43_10
.LBB43_5:
	s_or_b64 exec, exec, s[6:7]
	v_cmp_gt_i32_e32 vcc, s8, v0
	s_and_saveexec_b64 s[6:7], vcc
	s_cbranch_execnz .LBB43_11
.LBB43_6:
	s_or_b64 exec, exec, s[6:7]
	v_cmp_gt_i32_e32 vcc, s8, v0
	s_and_saveexec_b64 s[6:7], vcc
	s_cbranch_execz .LBB43_8
.LBB43_7:
	v_add_u32_e32 v0, s4, v0
	v_mov_b32_e32 v1, 0
	v_lshlrev_b64 v[0:1], 3, v[0:1]
	v_mov_b32_e32 v4, s3
	v_add_co_u32_e32 v0, vcc, s2, v0
	v_mov_b32_e32 v3, s1
	v_mov_b32_e32 v2, s0
	v_addc_co_u32_e32 v1, vcc, v4, v1, vcc
	global_store_dwordx2 v[0:1], v[2:3], off
.LBB43_8:
	s_endpgm
.LBB43_9:
	v_or_b32_e32 v4, 0x100, v0
	v_or_b32_e32 v0, s4, v0
	v_mov_b32_e32 v1, 0
	v_lshlrev_b64 v[0:1], 3, v[0:1]
	v_mov_b32_e32 v5, s3
	v_add_co_u32_e32 v0, vcc, s2, v0
	v_mov_b32_e32 v3, s1
	v_mov_b32_e32 v2, s0
	v_addc_co_u32_e32 v1, vcc, v5, v1, vcc
	global_store_dwordx2 v[0:1], v[2:3], off
	v_mov_b32_e32 v0, v4
	s_or_b64 exec, exec, s[6:7]
	v_cmp_gt_i32_e32 vcc, s8, v0
	s_and_saveexec_b64 s[6:7], vcc
	s_cbranch_execz .LBB43_5
.LBB43_10:
	v_add_u32_e32 v4, s4, v0
	v_mov_b32_e32 v5, 0
	v_lshlrev_b64 v[4:5], 3, v[4:5]
	v_mov_b32_e32 v1, s3
	v_add_co_u32_e32 v4, vcc, s2, v4
	v_mov_b32_e32 v3, s1
	v_mov_b32_e32 v2, s0
	v_addc_co_u32_e32 v5, vcc, v1, v5, vcc
	v_add_u32_e32 v0, 0x100, v0
	global_store_dwordx2 v[4:5], v[2:3], off
	s_or_b64 exec, exec, s[6:7]
	v_cmp_gt_i32_e32 vcc, s8, v0
	s_and_saveexec_b64 s[6:7], vcc
	s_cbranch_execz .LBB43_6
.LBB43_11:
	v_add_u32_e32 v4, s4, v0
	v_mov_b32_e32 v5, 0
	v_lshlrev_b64 v[4:5], 3, v[4:5]
	v_mov_b32_e32 v1, s3
	v_add_co_u32_e32 v4, vcc, s2, v4
	v_mov_b32_e32 v3, s1
	v_mov_b32_e32 v2, s0
	v_addc_co_u32_e32 v5, vcc, v1, v5, vcc
	v_add_u32_e32 v0, 0x100, v0
	global_store_dwordx2 v[4:5], v[2:3], off
	s_or_b64 exec, exec, s[6:7]
	v_cmp_gt_i32_e32 vcc, s8, v0
	s_and_saveexec_b64 s[6:7], vcc
	s_cbranch_execnz .LBB43_7
	s_branch .LBB43_8
	.section	.rodata,"a",@progbits
	.p2align	6, 0x0
	.amdhsa_kernel _ZN2at6native29vectorized_elementwise_kernelILi2ENS0_11FillFunctorIdEESt5arrayIPcLm1EEEEviT0_T1_
		.amdhsa_group_segment_fixed_size 0
		.amdhsa_private_segment_fixed_size 0
		.amdhsa_kernarg_size 24
		.amdhsa_user_sgpr_count 6
		.amdhsa_user_sgpr_private_segment_buffer 1
		.amdhsa_user_sgpr_dispatch_ptr 0
		.amdhsa_user_sgpr_queue_ptr 0
		.amdhsa_user_sgpr_kernarg_segment_ptr 1
		.amdhsa_user_sgpr_dispatch_id 0
		.amdhsa_user_sgpr_flat_scratch_init 0
		.amdhsa_user_sgpr_kernarg_preload_length 0
		.amdhsa_user_sgpr_kernarg_preload_offset 0
		.amdhsa_user_sgpr_private_segment_size 0
		.amdhsa_uses_dynamic_stack 0
		.amdhsa_system_sgpr_private_segment_wavefront_offset 0
		.amdhsa_system_sgpr_workgroup_id_x 1
		.amdhsa_system_sgpr_workgroup_id_y 0
		.amdhsa_system_sgpr_workgroup_id_z 0
		.amdhsa_system_sgpr_workgroup_info 0
		.amdhsa_system_vgpr_workitem_id 0
		.amdhsa_next_free_vgpr 8
		.amdhsa_next_free_sgpr 16
		.amdhsa_accum_offset 8
		.amdhsa_reserve_vcc 1
		.amdhsa_reserve_flat_scratch 0
		.amdhsa_float_round_mode_32 0
		.amdhsa_float_round_mode_16_64 0
		.amdhsa_float_denorm_mode_32 3
		.amdhsa_float_denorm_mode_16_64 3
		.amdhsa_dx10_clamp 1
		.amdhsa_ieee_mode 1
		.amdhsa_fp16_overflow 0
		.amdhsa_tg_split 0
		.amdhsa_exception_fp_ieee_invalid_op 0
		.amdhsa_exception_fp_denorm_src 0
		.amdhsa_exception_fp_ieee_div_zero 0
		.amdhsa_exception_fp_ieee_overflow 0
		.amdhsa_exception_fp_ieee_underflow 0
		.amdhsa_exception_fp_ieee_inexact 0
		.amdhsa_exception_int_div_zero 0
	.end_amdhsa_kernel
	.section	.text._ZN2at6native29vectorized_elementwise_kernelILi2ENS0_11FillFunctorIdEESt5arrayIPcLm1EEEEviT0_T1_,"axG",@progbits,_ZN2at6native29vectorized_elementwise_kernelILi2ENS0_11FillFunctorIdEESt5arrayIPcLm1EEEEviT0_T1_,comdat
.Lfunc_end43:
	.size	_ZN2at6native29vectorized_elementwise_kernelILi2ENS0_11FillFunctorIdEESt5arrayIPcLm1EEEEviT0_T1_, .Lfunc_end43-_ZN2at6native29vectorized_elementwise_kernelILi2ENS0_11FillFunctorIdEESt5arrayIPcLm1EEEEviT0_T1_
                                        ; -- End function
	.section	.AMDGPU.csdata,"",@progbits
; Kernel info:
; codeLenInByte = 464
; NumSgprs: 20
; NumVgprs: 8
; NumAgprs: 0
; TotalNumVgprs: 8
; ScratchSize: 0
; MemoryBound: 0
; FloatMode: 240
; IeeeMode: 1
; LDSByteSize: 0 bytes/workgroup (compile time only)
; SGPRBlocks: 2
; VGPRBlocks: 0
; NumSGPRsForWavesPerEU: 20
; NumVGPRsForWavesPerEU: 8
; AccumOffset: 8
; Occupancy: 8
; WaveLimiterHint : 1
; COMPUTE_PGM_RSRC2:SCRATCH_EN: 0
; COMPUTE_PGM_RSRC2:USER_SGPR: 6
; COMPUTE_PGM_RSRC2:TRAP_HANDLER: 0
; COMPUTE_PGM_RSRC2:TGID_X_EN: 1
; COMPUTE_PGM_RSRC2:TGID_Y_EN: 0
; COMPUTE_PGM_RSRC2:TGID_Z_EN: 0
; COMPUTE_PGM_RSRC2:TIDIG_COMP_CNT: 0
; COMPUTE_PGM_RSRC3_GFX90A:ACCUM_OFFSET: 1
; COMPUTE_PGM_RSRC3_GFX90A:TG_SPLIT: 0
	.section	.text._ZN2at6native27unrolled_elementwise_kernelINS0_11FillFunctorIdEESt5arrayIPcLm1EELi4E23TrivialOffsetCalculatorILi0EjES7_ILi1EjENS0_6memory15LoadWithoutCastENSA_16StoreWithoutCastEEEviT_T0_T2_T3_T4_T5_,"axG",@progbits,_ZN2at6native27unrolled_elementwise_kernelINS0_11FillFunctorIdEESt5arrayIPcLm1EELi4E23TrivialOffsetCalculatorILi0EjES7_ILi1EjENS0_6memory15LoadWithoutCastENSA_16StoreWithoutCastEEEviT_T0_T2_T3_T4_T5_,comdat
	.protected	_ZN2at6native27unrolled_elementwise_kernelINS0_11FillFunctorIdEESt5arrayIPcLm1EELi4E23TrivialOffsetCalculatorILi0EjES7_ILi1EjENS0_6memory15LoadWithoutCastENSA_16StoreWithoutCastEEEviT_T0_T2_T3_T4_T5_ ; -- Begin function _ZN2at6native27unrolled_elementwise_kernelINS0_11FillFunctorIdEESt5arrayIPcLm1EELi4E23TrivialOffsetCalculatorILi0EjES7_ILi1EjENS0_6memory15LoadWithoutCastENSA_16StoreWithoutCastEEEviT_T0_T2_T3_T4_T5_
	.globl	_ZN2at6native27unrolled_elementwise_kernelINS0_11FillFunctorIdEESt5arrayIPcLm1EELi4E23TrivialOffsetCalculatorILi0EjES7_ILi1EjENS0_6memory15LoadWithoutCastENSA_16StoreWithoutCastEEEviT_T0_T2_T3_T4_T5_
	.p2align	8
	.type	_ZN2at6native27unrolled_elementwise_kernelINS0_11FillFunctorIdEESt5arrayIPcLm1EELi4E23TrivialOffsetCalculatorILi0EjES7_ILi1EjENS0_6memory15LoadWithoutCastENSA_16StoreWithoutCastEEEviT_T0_T2_T3_T4_T5_,@function
_ZN2at6native27unrolled_elementwise_kernelINS0_11FillFunctorIdEESt5arrayIPcLm1EELi4E23TrivialOffsetCalculatorILi0EjES7_ILi1EjENS0_6memory15LoadWithoutCastENSA_16StoreWithoutCastEEEviT_T0_T2_T3_T4_T5_: ; @_ZN2at6native27unrolled_elementwise_kernelINS0_11FillFunctorIdEESt5arrayIPcLm1EELi4E23TrivialOffsetCalculatorILi0EjES7_ILi1EjENS0_6memory15LoadWithoutCastENSA_16StoreWithoutCastEEEviT_T0_T2_T3_T4_T5_
; %bb.0:
	s_load_dword s7, s[4:5], 0x0
	s_load_dwordx4 s[0:3], s[4:5], 0x8
	s_lshl_b32 s6, s6, 10
	s_waitcnt lgkmcnt(0)
	s_sub_i32 s7, s7, s6
	v_cmp_gt_i32_e32 vcc, s7, v0
	s_and_saveexec_b64 s[4:5], vcc
	s_cbranch_execnz .LBB44_5
; %bb.1:
	s_or_b64 exec, exec, s[4:5]
	v_cmp_gt_i32_e32 vcc, s7, v0
	s_and_saveexec_b64 s[4:5], vcc
	s_cbranch_execnz .LBB44_6
.LBB44_2:
	s_or_b64 exec, exec, s[4:5]
	v_cmp_gt_i32_e32 vcc, s7, v0
	s_and_saveexec_b64 s[4:5], vcc
	s_cbranch_execnz .LBB44_7
.LBB44_3:
	s_or_b64 exec, exec, s[4:5]
	v_cmp_gt_i32_e32 vcc, s7, v0
	s_and_saveexec_b64 s[4:5], vcc
	s_cbranch_execnz .LBB44_8
.LBB44_4:
	s_endpgm
.LBB44_5:
	v_or_b32_e32 v4, 0x100, v0
	v_or_b32_e32 v0, s6, v0
	v_mov_b32_e32 v1, 0
	v_lshlrev_b64 v[0:1], 3, v[0:1]
	v_mov_b32_e32 v2, s3
	v_add_co_u32_e32 v0, vcc, s2, v0
	v_addc_co_u32_e32 v1, vcc, v2, v1, vcc
	v_mov_b32_e32 v3, s1
	v_mov_b32_e32 v2, s0
	global_store_dwordx2 v[0:1], v[2:3], off
	v_mov_b32_e32 v0, v4
	s_or_b64 exec, exec, s[4:5]
	v_cmp_gt_i32_e32 vcc, s7, v0
	s_and_saveexec_b64 s[4:5], vcc
	s_cbranch_execz .LBB44_2
.LBB44_6:
	v_add_u32_e32 v4, 0x100, v0
	v_add_u32_e32 v0, s6, v0
	v_mov_b32_e32 v1, 0
	v_lshlrev_b64 v[0:1], 3, v[0:1]
	v_mov_b32_e32 v2, s3
	v_add_co_u32_e32 v0, vcc, s2, v0
	v_addc_co_u32_e32 v1, vcc, v2, v1, vcc
	v_mov_b32_e32 v3, s1
	v_mov_b32_e32 v2, s0
	global_store_dwordx2 v[0:1], v[2:3], off
	v_mov_b32_e32 v0, v4
	s_or_b64 exec, exec, s[4:5]
	v_cmp_gt_i32_e32 vcc, s7, v0
	s_and_saveexec_b64 s[4:5], vcc
	s_cbranch_execz .LBB44_3
.LBB44_7:
	v_add_u32_e32 v4, 0x100, v0
	v_add_u32_e32 v0, s6, v0
	v_mov_b32_e32 v1, 0
	v_lshlrev_b64 v[0:1], 3, v[0:1]
	v_mov_b32_e32 v2, s3
	v_add_co_u32_e32 v0, vcc, s2, v0
	v_addc_co_u32_e32 v1, vcc, v2, v1, vcc
	v_mov_b32_e32 v3, s1
	v_mov_b32_e32 v2, s0
	global_store_dwordx2 v[0:1], v[2:3], off
	v_mov_b32_e32 v0, v4
	s_or_b64 exec, exec, s[4:5]
	v_cmp_gt_i32_e32 vcc, s7, v0
	s_and_saveexec_b64 s[4:5], vcc
	s_cbranch_execz .LBB44_4
.LBB44_8:
	v_add_u32_e32 v0, s6, v0
	v_mov_b32_e32 v1, 0
	v_lshlrev_b64 v[0:1], 3, v[0:1]
	v_mov_b32_e32 v2, s3
	v_add_co_u32_e32 v0, vcc, s2, v0
	v_addc_co_u32_e32 v1, vcc, v2, v1, vcc
	v_mov_b32_e32 v3, s1
	v_mov_b32_e32 v2, s0
	global_store_dwordx2 v[0:1], v[2:3], off
	s_endpgm
	.section	.rodata,"a",@progbits
	.p2align	6, 0x0
	.amdhsa_kernel _ZN2at6native27unrolled_elementwise_kernelINS0_11FillFunctorIdEESt5arrayIPcLm1EELi4E23TrivialOffsetCalculatorILi0EjES7_ILi1EjENS0_6memory15LoadWithoutCastENSA_16StoreWithoutCastEEEviT_T0_T2_T3_T4_T5_
		.amdhsa_group_segment_fixed_size 0
		.amdhsa_private_segment_fixed_size 0
		.amdhsa_kernarg_size 28
		.amdhsa_user_sgpr_count 6
		.amdhsa_user_sgpr_private_segment_buffer 1
		.amdhsa_user_sgpr_dispatch_ptr 0
		.amdhsa_user_sgpr_queue_ptr 0
		.amdhsa_user_sgpr_kernarg_segment_ptr 1
		.amdhsa_user_sgpr_dispatch_id 0
		.amdhsa_user_sgpr_flat_scratch_init 0
		.amdhsa_user_sgpr_kernarg_preload_length 0
		.amdhsa_user_sgpr_kernarg_preload_offset 0
		.amdhsa_user_sgpr_private_segment_size 0
		.amdhsa_uses_dynamic_stack 0
		.amdhsa_system_sgpr_private_segment_wavefront_offset 0
		.amdhsa_system_sgpr_workgroup_id_x 1
		.amdhsa_system_sgpr_workgroup_id_y 0
		.amdhsa_system_sgpr_workgroup_id_z 0
		.amdhsa_system_sgpr_workgroup_info 0
		.amdhsa_system_vgpr_workitem_id 0
		.amdhsa_next_free_vgpr 5
		.amdhsa_next_free_sgpr 8
		.amdhsa_accum_offset 8
		.amdhsa_reserve_vcc 1
		.amdhsa_reserve_flat_scratch 0
		.amdhsa_float_round_mode_32 0
		.amdhsa_float_round_mode_16_64 0
		.amdhsa_float_denorm_mode_32 3
		.amdhsa_float_denorm_mode_16_64 3
		.amdhsa_dx10_clamp 1
		.amdhsa_ieee_mode 1
		.amdhsa_fp16_overflow 0
		.amdhsa_tg_split 0
		.amdhsa_exception_fp_ieee_invalid_op 0
		.amdhsa_exception_fp_denorm_src 0
		.amdhsa_exception_fp_ieee_div_zero 0
		.amdhsa_exception_fp_ieee_overflow 0
		.amdhsa_exception_fp_ieee_underflow 0
		.amdhsa_exception_fp_ieee_inexact 0
		.amdhsa_exception_int_div_zero 0
	.end_amdhsa_kernel
	.section	.text._ZN2at6native27unrolled_elementwise_kernelINS0_11FillFunctorIdEESt5arrayIPcLm1EELi4E23TrivialOffsetCalculatorILi0EjES7_ILi1EjENS0_6memory15LoadWithoutCastENSA_16StoreWithoutCastEEEviT_T0_T2_T3_T4_T5_,"axG",@progbits,_ZN2at6native27unrolled_elementwise_kernelINS0_11FillFunctorIdEESt5arrayIPcLm1EELi4E23TrivialOffsetCalculatorILi0EjES7_ILi1EjENS0_6memory15LoadWithoutCastENSA_16StoreWithoutCastEEEviT_T0_T2_T3_T4_T5_,comdat
.Lfunc_end44:
	.size	_ZN2at6native27unrolled_elementwise_kernelINS0_11FillFunctorIdEESt5arrayIPcLm1EELi4E23TrivialOffsetCalculatorILi0EjES7_ILi1EjENS0_6memory15LoadWithoutCastENSA_16StoreWithoutCastEEEviT_T0_T2_T3_T4_T5_, .Lfunc_end44-_ZN2at6native27unrolled_elementwise_kernelINS0_11FillFunctorIdEESt5arrayIPcLm1EELi4E23TrivialOffsetCalculatorILi0EjES7_ILi1EjENS0_6memory15LoadWithoutCastENSA_16StoreWithoutCastEEEviT_T0_T2_T3_T4_T5_
                                        ; -- End function
	.section	.AMDGPU.csdata,"",@progbits
; Kernel info:
; codeLenInByte = 356
; NumSgprs: 12
; NumVgprs: 5
; NumAgprs: 0
; TotalNumVgprs: 5
; ScratchSize: 0
; MemoryBound: 0
; FloatMode: 240
; IeeeMode: 1
; LDSByteSize: 0 bytes/workgroup (compile time only)
; SGPRBlocks: 1
; VGPRBlocks: 0
; NumSGPRsForWavesPerEU: 12
; NumVGPRsForWavesPerEU: 5
; AccumOffset: 8
; Occupancy: 8
; WaveLimiterHint : 0
; COMPUTE_PGM_RSRC2:SCRATCH_EN: 0
; COMPUTE_PGM_RSRC2:USER_SGPR: 6
; COMPUTE_PGM_RSRC2:TRAP_HANDLER: 0
; COMPUTE_PGM_RSRC2:TGID_X_EN: 1
; COMPUTE_PGM_RSRC2:TGID_Y_EN: 0
; COMPUTE_PGM_RSRC2:TGID_Z_EN: 0
; COMPUTE_PGM_RSRC2:TIDIG_COMP_CNT: 0
; COMPUTE_PGM_RSRC3_GFX90A:ACCUM_OFFSET: 1
; COMPUTE_PGM_RSRC3_GFX90A:TG_SPLIT: 0
	.section	.text._ZN2at6native32elementwise_kernel_manual_unrollILi128ELi4EZNS0_22gpu_kernel_impl_nocastINS0_11FillFunctorIdEEEEvRNS_18TensorIteratorBaseERKT_EUlibE_EEviT1_,"axG",@progbits,_ZN2at6native32elementwise_kernel_manual_unrollILi128ELi4EZNS0_22gpu_kernel_impl_nocastINS0_11FillFunctorIdEEEEvRNS_18TensorIteratorBaseERKT_EUlibE_EEviT1_,comdat
	.protected	_ZN2at6native32elementwise_kernel_manual_unrollILi128ELi4EZNS0_22gpu_kernel_impl_nocastINS0_11FillFunctorIdEEEEvRNS_18TensorIteratorBaseERKT_EUlibE_EEviT1_ ; -- Begin function _ZN2at6native32elementwise_kernel_manual_unrollILi128ELi4EZNS0_22gpu_kernel_impl_nocastINS0_11FillFunctorIdEEEEvRNS_18TensorIteratorBaseERKT_EUlibE_EEviT1_
	.globl	_ZN2at6native32elementwise_kernel_manual_unrollILi128ELi4EZNS0_22gpu_kernel_impl_nocastINS0_11FillFunctorIdEEEEvRNS_18TensorIteratorBaseERKT_EUlibE_EEviT1_
	.p2align	8
	.type	_ZN2at6native32elementwise_kernel_manual_unrollILi128ELi4EZNS0_22gpu_kernel_impl_nocastINS0_11FillFunctorIdEEEEvRNS_18TensorIteratorBaseERKT_EUlibE_EEviT1_,@function
_ZN2at6native32elementwise_kernel_manual_unrollILi128ELi4EZNS0_22gpu_kernel_impl_nocastINS0_11FillFunctorIdEEEEvRNS_18TensorIteratorBaseERKT_EUlibE_EEviT1_: ; @_ZN2at6native32elementwise_kernel_manual_unrollILi128ELi4EZNS0_22gpu_kernel_impl_nocastINS0_11FillFunctorIdEEEEvRNS_18TensorIteratorBaseERKT_EUlibE_EEviT1_
; %bb.0:
	s_load_dword s49, s[4:5], 0x0
	s_load_dword s33, s[4:5], 0x8
	s_or_b32 s4, s4, 8
	v_lshl_or_b32 v4, s6, 9, v0
	v_or_b32_e32 v8, 0x180, v4
	s_waitcnt lgkmcnt(0)
	v_cmp_le_i32_e32 vcc, s49, v8
	s_add_i32 s48, s33, -1
	s_cmp_gt_u32 s48, 1
	s_cselect_b64 s[6:7], -1, 0
	s_and_saveexec_b64 s[0:1], vcc
	s_xor_b64 s[28:29], exec, s[0:1]
	s_cbranch_execz .LBB45_7
; %bb.1:
	s_load_dwordx4 s[16:19], s[4:5], 0x4
	s_load_dwordx2 s[34:35], s[4:5], 0x14
	s_load_dwordx2 s[30:31], s[4:5], 0xc4
	s_load_dwordx4 s[0:3], s[4:5], 0x108
	s_cmp_lg_u32 s33, 0
	s_cselect_b64 s[40:41], -1, 0
	s_add_u32 s38, s4, 0xc4
	s_addc_u32 s39, s5, 0
	s_min_u32 s50, s48, 15
	s_cmp_gt_u32 s33, 1
	s_cselect_b64 s[36:37], -1, 0
	v_cmp_gt_i32_e32 vcc, s49, v4
	s_and_saveexec_b64 s[42:43], vcc
	s_cbranch_execz .LBB45_14
; %bb.2:
	s_andn2_b64 vcc, exec, s[6:7]
	s_cbranch_vccnz .LBB45_21
; %bb.3:
	s_andn2_b64 vcc, exec, s[40:41]
	s_cbranch_vccnz .LBB45_69
; %bb.4:
	s_add_i32 s52, s50, 1
	s_mov_b32 s51, 0
	s_cmp_eq_u32 s48, 2
	v_mov_b32_e32 v0, 0
	s_cbranch_scc1 .LBB45_71
; %bb.5:
	s_and_b32 s51, s52, 28
	s_mov_b32 s53, 0
	v_mov_b32_e32 v0, 0
	s_mov_b64 s[44:45], s[4:5]
	s_mov_b64 s[46:47], s[38:39]
	v_mov_b32_e32 v2, v4
.LBB45_6:                               ; =>This Inner Loop Header: Depth=1
	s_load_dwordx8 s[8:15], s[44:45], 0x4
	s_load_dwordx4 s[20:23], s[44:45], 0x24
	s_load_dwordx4 s[24:27], s[46:47], 0x0
	s_add_u32 s44, s44, 48
	s_addc_u32 s45, s45, 0
	s_waitcnt lgkmcnt(0)
	v_mul_hi_u32 v1, s9, v2
	v_add_u32_e32 v1, v2, v1
	v_lshrrev_b32_e32 v1, s10, v1
	v_mul_lo_u32 v3, v1, s8
	v_mul_hi_u32 v5, s12, v1
	v_sub_u32_e32 v2, v2, v3
	v_add_u32_e32 v3, v1, v5
	v_lshrrev_b32_e32 v3, s13, v3
	v_mul_lo_u32 v5, v3, s11
	v_mul_hi_u32 v6, s15, v3
	v_sub_u32_e32 v1, v1, v5
	v_add_u32_e32 v5, v3, v6
	v_mul_lo_u32 v2, v2, s24
	v_mul_lo_u32 v1, v1, s25
	v_lshrrev_b32_e32 v5, s20, v5
	v_add3_u32 v0, v2, v0, v1
	v_mul_hi_u32 v2, s22, v5
	v_add_u32_e32 v2, v5, v2
	v_mul_lo_u32 v1, v5, s14
	v_lshrrev_b32_e32 v2, s23, v2
	s_add_i32 s53, s53, 4
	v_sub_u32_e32 v1, v3, v1
	v_mul_lo_u32 v3, v2, s21
	s_add_u32 s46, s46, 16
	v_sub_u32_e32 v3, v5, v3
	s_addc_u32 s47, s47, 0
	v_mul_lo_u32 v1, v1, s26
	v_mul_lo_u32 v3, v3, s27
	s_cmp_lg_u32 s51, s53
	v_add3_u32 v0, v1, v0, v3
	s_cbranch_scc1 .LBB45_6
	s_branch .LBB45_72
.LBB45_7:
	s_andn2_saveexec_b64 s[0:1], s[28:29]
	s_cbranch_execz .LBB45_97
.LBB45_8:
	v_cndmask_b32_e64 v0, 0, 1, s[6:7]
	v_cmp_ne_u32_e64 s[0:1], 1, v0
	s_andn2_b64 vcc, exec, s[6:7]
	s_cbranch_vccnz .LBB45_20
; %bb.9:
	s_mov_b32 s24, 0
	s_cmp_eq_u32 s33, 0
	v_mov_b32_e32 v0, 0
	s_cbranch_scc1 .LBB45_26
; %bb.10:
	s_min_u32 s25, s48, 15
	s_add_i32 s25, s25, 1
	s_cmp_eq_u32 s48, 2
	v_mov_b32_e32 v0, 0
	s_cbranch_scc1 .LBB45_23
; %bb.11:
	s_add_u32 s2, s4, 0xc4
	s_addc_u32 s3, s5, 0
	s_and_b32 s24, s25, 28
	s_mov_b32 s26, 0
	v_mov_b32_e32 v0, 0
	s_mov_b64 s[6:7], s[4:5]
	v_mov_b32_e32 v2, v4
.LBB45_12:                              ; =>This Inner Loop Header: Depth=1
	s_load_dwordx8 s[8:15], s[6:7], 0x4
	s_load_dwordx4 s[16:19], s[6:7], 0x24
	s_load_dwordx4 s[20:23], s[2:3], 0x0
	s_add_u32 s6, s6, 48
	s_addc_u32 s7, s7, 0
	s_waitcnt lgkmcnt(0)
	v_mul_hi_u32 v1, s9, v2
	v_add_u32_e32 v1, v2, v1
	v_lshrrev_b32_e32 v1, s10, v1
	v_mul_lo_u32 v3, v1, s8
	v_mul_hi_u32 v5, s12, v1
	v_sub_u32_e32 v2, v2, v3
	v_add_u32_e32 v3, v1, v5
	v_lshrrev_b32_e32 v3, s13, v3
	v_mul_lo_u32 v5, v3, s11
	v_mul_hi_u32 v6, s15, v3
	v_sub_u32_e32 v1, v1, v5
	v_add_u32_e32 v5, v3, v6
	v_mul_lo_u32 v2, v2, s20
	v_mul_lo_u32 v1, v1, s21
	v_lshrrev_b32_e32 v5, s16, v5
	v_add3_u32 v0, v2, v0, v1
	v_mul_hi_u32 v2, s18, v5
	v_add_u32_e32 v2, v5, v2
	v_mul_lo_u32 v1, v5, s14
	v_lshrrev_b32_e32 v2, s19, v2
	s_add_i32 s26, s26, 4
	v_sub_u32_e32 v1, v3, v1
	v_mul_lo_u32 v3, v2, s17
	s_add_u32 s2, s2, 16
	v_sub_u32_e32 v3, v5, v3
	s_addc_u32 s3, s3, 0
	v_mul_lo_u32 v1, v1, s22
	v_mul_lo_u32 v3, v3, s23
	s_cmp_lg_u32 s24, s26
	v_add3_u32 v0, v1, v0, v3
	s_cbranch_scc1 .LBB45_12
; %bb.13:
	s_and_b32 s8, s25, 3
	s_cmp_eq_u32 s8, 0
	s_cbranch_scc0 .LBB45_24
	s_branch .LBB45_26
.LBB45_14:
	s_or_b64 exec, exec, s[42:43]
	v_cmp_gt_i32_e32 vcc, s49, v4
	s_and_saveexec_b64 s[42:43], vcc
	s_cbranch_execz .LBB45_79
.LBB45_15:
	s_andn2_b64 vcc, exec, s[6:7]
	s_cbranch_vccnz .LBB45_22
; %bb.16:
	s_andn2_b64 vcc, exec, s[40:41]
	s_cbranch_vccnz .LBB45_70
; %bb.17:
	s_add_i32 s52, s50, 1
	s_mov_b32 s51, 0
	s_cmp_eq_u32 s48, 2
	v_mov_b32_e32 v0, 0
	s_cbranch_scc1 .LBB45_87
; %bb.18:
	s_and_b32 s51, s52, 28
	s_mov_b32 s53, 0
	v_mov_b32_e32 v0, 0
	s_mov_b64 s[44:45], s[4:5]
	s_mov_b64 s[46:47], s[38:39]
	v_mov_b32_e32 v2, v4
.LBB45_19:                              ; =>This Inner Loop Header: Depth=1
	s_load_dwordx8 s[8:15], s[44:45], 0x4
	s_load_dwordx4 s[20:23], s[44:45], 0x24
	s_load_dwordx4 s[24:27], s[46:47], 0x0
	s_add_u32 s44, s44, 48
	s_addc_u32 s45, s45, 0
	s_waitcnt lgkmcnt(0)
	v_mul_hi_u32 v1, s9, v2
	v_add_u32_e32 v1, v2, v1
	v_lshrrev_b32_e32 v1, s10, v1
	v_mul_lo_u32 v3, v1, s8
	v_mul_hi_u32 v5, s12, v1
	v_sub_u32_e32 v2, v2, v3
	v_add_u32_e32 v3, v1, v5
	v_lshrrev_b32_e32 v3, s13, v3
	v_mul_lo_u32 v5, v3, s11
	v_mul_hi_u32 v6, s15, v3
	v_sub_u32_e32 v1, v1, v5
	v_add_u32_e32 v5, v3, v6
	v_mul_lo_u32 v2, v2, s24
	v_mul_lo_u32 v1, v1, s25
	v_lshrrev_b32_e32 v5, s20, v5
	v_add3_u32 v0, v2, v0, v1
	v_mul_hi_u32 v2, s22, v5
	v_add_u32_e32 v2, v5, v2
	v_mul_lo_u32 v1, v5, s14
	v_lshrrev_b32_e32 v2, s23, v2
	s_add_i32 s53, s53, 4
	v_sub_u32_e32 v1, v3, v1
	v_mul_lo_u32 v3, v2, s21
	s_add_u32 s46, s46, 16
	v_sub_u32_e32 v3, v5, v3
	s_addc_u32 s47, s47, 0
	v_mul_lo_u32 v1, v1, s26
	v_mul_lo_u32 v3, v3, s27
	s_cmp_eq_u32 s51, s53
	v_add3_u32 v0, v1, v0, v3
	s_cbranch_scc0 .LBB45_19
	s_branch .LBB45_88
.LBB45_20:
                                        ; implicit-def: $vgpr0
	s_branch .LBB45_27
.LBB45_21:
                                        ; implicit-def: $vgpr0
	s_branch .LBB45_76
.LBB45_22:
                                        ; implicit-def: $vgpr0
	s_branch .LBB45_92
.LBB45_23:
	v_mov_b32_e32 v2, v4
	s_and_b32 s8, s25, 3
	s_cmp_eq_u32 s8, 0
	s_cbranch_scc1 .LBB45_26
.LBB45_24:
	s_lshl_b32 s2, s24, 2
	s_add_u32 s2, s2, s4
	s_addc_u32 s3, 0, s5
	s_add_u32 s2, s2, 0xc4
	s_addc_u32 s3, s3, 0
	s_mul_i32 s6, s24, 12
	s_add_u32 s6, s4, s6
	s_addc_u32 s7, 0, s5
.LBB45_25:                              ; =>This Inner Loop Header: Depth=1
	s_load_dwordx2 s[10:11], s[6:7], 0x4
	s_load_dword s9, s[6:7], 0xc
	s_load_dword s12, s[2:3], 0x0
	s_add_u32 s6, s6, 12
	s_addc_u32 s7, s7, 0
	s_waitcnt lgkmcnt(0)
	v_mul_hi_u32 v1, s11, v2
	v_add_u32_e32 v1, v2, v1
	v_lshrrev_b32_e32 v1, s9, v1
	s_add_u32 s2, s2, 4
	v_mul_lo_u32 v3, v1, s10
	s_addc_u32 s3, s3, 0
	s_add_i32 s8, s8, -1
	v_sub_u32_e32 v3, v2, v3
	s_cmp_lg_u32 s8, 0
	v_mov_b32_e32 v2, v1
	v_mad_u64_u32 v[0:1], s[10:11], v3, s12, v[0:1]
	s_cbranch_scc1 .LBB45_25
.LBB45_26:
	s_cbranch_execnz .LBB45_29
.LBB45_27:
	s_load_dwordx4 s[8:11], s[4:5], 0x4
	s_load_dword s2, s[4:5], 0xc4
	s_cmp_lt_u32 s33, 2
	s_waitcnt lgkmcnt(0)
	v_mul_hi_u32 v0, s9, v4
	v_add_u32_e32 v0, v4, v0
	v_lshrrev_b32_e32 v1, s10, v0
	v_mul_lo_u32 v0, v1, s8
	v_sub_u32_e32 v0, v4, v0
	v_mul_lo_u32 v0, v0, s2
	s_cbranch_scc1 .LBB45_29
; %bb.28:
	s_load_dwordx4 s[8:11], s[4:5], 0x10
	s_load_dword s2, s[4:5], 0xc8
	s_waitcnt lgkmcnt(0)
	v_mul_hi_u32 v2, s9, v1
	v_add_u32_e32 v2, v1, v2
	v_lshrrev_b32_e32 v2, s10, v2
	v_mul_lo_u32 v2, v2, s8
	v_sub_u32_e32 v1, v1, v2
	v_mad_u64_u32 v[0:1], s[2:3], v1, s2, v[0:1]
.LBB45_29:
	s_and_b64 vcc, exec, s[0:1]
	v_add_u32_e32 v1, 0x80, v4
	s_cbranch_vccnz .LBB45_35
; %bb.30:
	s_mov_b32 s24, 0
	s_cmp_eq_u32 s33, 0
	v_mov_b32_e32 v2, 0
	s_cbranch_scc1 .LBB45_39
; %bb.31:
	s_min_u32 s25, s48, 15
	s_add_i32 s25, s25, 1
	s_cmp_eq_u32 s48, 2
	v_mov_b32_e32 v2, 0
	s_cbranch_scc1 .LBB45_36
; %bb.32:
	s_add_u32 s2, s4, 0xc4
	s_addc_u32 s3, s5, 0
	s_and_b32 s24, s25, 28
	s_mov_b32 s26, 0
	v_mov_b32_e32 v2, 0
	s_mov_b64 s[6:7], s[4:5]
	v_mov_b32_e32 v5, v1
.LBB45_33:                              ; =>This Inner Loop Header: Depth=1
	s_load_dwordx8 s[8:15], s[6:7], 0x4
	s_load_dwordx4 s[16:19], s[6:7], 0x24
	s_load_dwordx4 s[20:23], s[2:3], 0x0
	s_add_u32 s6, s6, 48
	s_addc_u32 s7, s7, 0
	s_waitcnt lgkmcnt(0)
	v_mul_hi_u32 v3, s9, v5
	v_add_u32_e32 v3, v5, v3
	v_lshrrev_b32_e32 v3, s10, v3
	v_mul_lo_u32 v6, v3, s8
	v_mul_hi_u32 v7, s12, v3
	v_sub_u32_e32 v5, v5, v6
	v_add_u32_e32 v6, v3, v7
	v_lshrrev_b32_e32 v6, s13, v6
	v_mul_lo_u32 v7, v6, s11
	v_mul_hi_u32 v9, s15, v6
	v_sub_u32_e32 v3, v3, v7
	v_add_u32_e32 v7, v6, v9
	v_mul_lo_u32 v5, v5, s20
	v_mul_lo_u32 v3, v3, s21
	v_lshrrev_b32_e32 v7, s16, v7
	v_add3_u32 v2, v5, v2, v3
	v_mul_hi_u32 v5, s18, v7
	v_add_u32_e32 v5, v7, v5
	v_mul_lo_u32 v3, v7, s14
	v_lshrrev_b32_e32 v5, s19, v5
	s_add_i32 s26, s26, 4
	v_sub_u32_e32 v3, v6, v3
	v_mul_lo_u32 v6, v5, s17
	s_add_u32 s2, s2, 16
	v_sub_u32_e32 v6, v7, v6
	s_addc_u32 s3, s3, 0
	v_mul_lo_u32 v3, v3, s22
	v_mul_lo_u32 v6, v6, s23
	s_cmp_lg_u32 s24, s26
	v_add3_u32 v2, v3, v2, v6
	s_cbranch_scc1 .LBB45_33
; %bb.34:
	s_and_b32 s8, s25, 3
	s_cmp_eq_u32 s8, 0
	s_cbranch_scc0 .LBB45_37
	s_branch .LBB45_39
.LBB45_35:
                                        ; implicit-def: $vgpr2
	s_branch .LBB45_40
.LBB45_36:
	v_mov_b32_e32 v5, v1
	s_and_b32 s8, s25, 3
	s_cmp_eq_u32 s8, 0
	s_cbranch_scc1 .LBB45_39
.LBB45_37:
	s_lshl_b32 s2, s24, 2
	s_add_u32 s2, s2, s4
	s_addc_u32 s3, 0, s5
	s_add_u32 s2, s2, 0xc4
	s_addc_u32 s3, s3, 0
	s_mul_i32 s6, s24, 12
	s_add_u32 s6, s4, s6
	s_addc_u32 s7, 0, s5
.LBB45_38:                              ; =>This Inner Loop Header: Depth=1
	s_load_dwordx2 s[10:11], s[6:7], 0x4
	s_load_dword s9, s[6:7], 0xc
	s_load_dword s12, s[2:3], 0x0
	s_add_u32 s6, s6, 12
	s_addc_u32 s7, s7, 0
	s_waitcnt lgkmcnt(0)
	v_mul_hi_u32 v3, s11, v5
	v_add_u32_e32 v3, v5, v3
	v_lshrrev_b32_e32 v3, s9, v3
	s_add_u32 s2, s2, 4
	v_mul_lo_u32 v6, v3, s10
	s_addc_u32 s3, s3, 0
	s_add_i32 s8, s8, -1
	v_sub_u32_e32 v6, v5, v6
	s_cmp_lg_u32 s8, 0
	v_mov_b32_e32 v5, v3
	v_mad_u64_u32 v[2:3], s[10:11], v6, s12, v[2:3]
	s_cbranch_scc1 .LBB45_38
.LBB45_39:
	s_cbranch_execnz .LBB45_42
.LBB45_40:
	s_load_dwordx4 s[8:11], s[4:5], 0x4
	s_load_dword s2, s[4:5], 0xc4
	s_cmp_lt_u32 s33, 2
	s_waitcnt lgkmcnt(0)
	v_mul_hi_u32 v2, s9, v1
	v_add_u32_e32 v2, v1, v2
	v_lshrrev_b32_e32 v3, s10, v2
	v_mul_lo_u32 v2, v3, s8
	v_sub_u32_e32 v1, v1, v2
	v_mul_lo_u32 v2, v1, s2
	s_cbranch_scc1 .LBB45_42
; %bb.41:
	s_load_dwordx4 s[8:11], s[4:5], 0x10
	s_load_dword s2, s[4:5], 0xc8
	s_waitcnt lgkmcnt(0)
	v_mul_hi_u32 v1, s9, v3
	v_add_u32_e32 v1, v3, v1
	v_lshrrev_b32_e32 v1, s10, v1
	v_mul_lo_u32 v1, v1, s8
	v_sub_u32_e32 v1, v3, v1
	v_mad_u64_u32 v[2:3], s[2:3], v1, s2, v[2:3]
.LBB45_42:
	s_and_b64 vcc, exec, s[0:1]
	v_add_u32_e32 v1, 0x100, v4
	s_cbranch_vccnz .LBB45_48
; %bb.43:
	s_mov_b32 s24, 0
	s_cmp_eq_u32 s33, 0
	v_mov_b32_e32 v4, 0
	s_cbranch_scc1 .LBB45_52
; %bb.44:
	s_min_u32 s25, s48, 15
	s_add_i32 s25, s25, 1
	s_cmp_eq_u32 s48, 2
	v_mov_b32_e32 v4, 0
	s_cbranch_scc1 .LBB45_49
; %bb.45:
	s_add_u32 s2, s4, 0xc4
	s_addc_u32 s3, s5, 0
	s_and_b32 s24, s25, 28
	s_mov_b32 s26, 0
	v_mov_b32_e32 v4, 0
	s_mov_b64 s[6:7], s[4:5]
	v_mov_b32_e32 v3, v1
.LBB45_46:                              ; =>This Inner Loop Header: Depth=1
	s_load_dwordx8 s[8:15], s[6:7], 0x4
	s_load_dwordx4 s[16:19], s[6:7], 0x24
	s_load_dwordx4 s[20:23], s[2:3], 0x0
	s_add_u32 s6, s6, 48
	s_addc_u32 s7, s7, 0
	s_waitcnt lgkmcnt(0)
	v_mul_hi_u32 v5, s9, v3
	v_add_u32_e32 v5, v3, v5
	v_lshrrev_b32_e32 v5, s10, v5
	v_mul_lo_u32 v6, v5, s8
	v_mul_hi_u32 v7, s12, v5
	v_sub_u32_e32 v3, v3, v6
	v_add_u32_e32 v6, v5, v7
	v_lshrrev_b32_e32 v6, s13, v6
	v_mul_lo_u32 v7, v6, s11
	v_mul_hi_u32 v9, s15, v6
	v_sub_u32_e32 v5, v5, v7
	v_add_u32_e32 v7, v6, v9
	v_mul_lo_u32 v3, v3, s20
	v_mul_lo_u32 v5, v5, s21
	v_lshrrev_b32_e32 v7, s16, v7
	v_add3_u32 v4, v3, v4, v5
	v_mul_lo_u32 v3, v7, s14
	v_mul_hi_u32 v5, s18, v7
	v_sub_u32_e32 v3, v6, v3
	v_add_u32_e32 v5, v7, v5
	v_mul_lo_u32 v6, v3, s22
	v_lshrrev_b32_e32 v3, s19, v5
	s_add_i32 s26, s26, 4
	v_mul_lo_u32 v5, v3, s17
	s_add_u32 s2, s2, 16
	v_sub_u32_e32 v5, v7, v5
	s_addc_u32 s3, s3, 0
	v_mul_lo_u32 v5, v5, s23
	s_cmp_lg_u32 s24, s26
	v_add3_u32 v4, v6, v4, v5
	s_cbranch_scc1 .LBB45_46
; %bb.47:
	s_and_b32 s8, s25, 3
	s_cmp_eq_u32 s8, 0
	s_cbranch_scc0 .LBB45_50
	s_branch .LBB45_52
.LBB45_48:
                                        ; implicit-def: $vgpr4
	s_branch .LBB45_53
.LBB45_49:
	v_mov_b32_e32 v3, v1
	s_and_b32 s8, s25, 3
	s_cmp_eq_u32 s8, 0
	s_cbranch_scc1 .LBB45_52
.LBB45_50:
	s_lshl_b32 s2, s24, 2
	s_add_u32 s2, s2, s4
	s_addc_u32 s3, 0, s5
	s_add_u32 s2, s2, 0xc4
	s_addc_u32 s3, s3, 0
	s_mul_i32 s6, s24, 12
	s_add_u32 s6, s4, s6
	s_addc_u32 s7, 0, s5
.LBB45_51:                              ; =>This Inner Loop Header: Depth=1
	s_load_dwordx2 s[10:11], s[6:7], 0x4
	s_load_dword s9, s[6:7], 0xc
	s_load_dword s12, s[2:3], 0x0
	s_add_u32 s6, s6, 12
	s_addc_u32 s7, s7, 0
	s_waitcnt lgkmcnt(0)
	v_mul_hi_u32 v5, s11, v3
	v_add_u32_e32 v5, v3, v5
	v_lshrrev_b32_e32 v5, s9, v5
	s_add_u32 s2, s2, 4
	v_mul_lo_u32 v6, v5, s10
	s_addc_u32 s3, s3, 0
	s_add_i32 s8, s8, -1
	v_sub_u32_e32 v6, v3, v6
	s_cmp_lg_u32 s8, 0
	v_mov_b32_e32 v3, v5
	v_mad_u64_u32 v[4:5], s[10:11], v6, s12, v[4:5]
	s_cbranch_scc1 .LBB45_51
.LBB45_52:
	s_cbranch_execnz .LBB45_55
.LBB45_53:
	s_load_dwordx4 s[8:11], s[4:5], 0x4
	s_load_dword s2, s[4:5], 0xc4
	s_cmp_lt_u32 s33, 2
	s_waitcnt lgkmcnt(0)
	v_mul_hi_u32 v3, s9, v1
	v_add_u32_e32 v3, v1, v3
	v_lshrrev_b32_e32 v3, s10, v3
	v_mul_lo_u32 v4, v3, s8
	v_sub_u32_e32 v1, v1, v4
	v_mul_lo_u32 v4, v1, s2
	s_cbranch_scc1 .LBB45_55
; %bb.54:
	s_load_dwordx4 s[8:11], s[4:5], 0x10
	s_load_dword s2, s[4:5], 0xc8
	s_waitcnt lgkmcnt(0)
	v_mul_hi_u32 v1, s9, v3
	v_add_u32_e32 v1, v3, v1
	v_lshrrev_b32_e32 v1, s10, v1
	v_mul_lo_u32 v1, v1, s8
	v_sub_u32_e32 v1, v3, v1
	v_mad_u64_u32 v[4:5], s[2:3], v1, s2, v[4:5]
.LBB45_55:
	s_and_b64 vcc, exec, s[0:1]
	s_cbranch_vccnz .LBB45_61
; %bb.56:
	s_mov_b32 s22, 0
	s_cmp_eq_u32 s33, 0
	v_mov_b32_e32 v6, 0
	s_cbranch_scc1 .LBB45_65
; %bb.57:
	s_min_u32 s23, s48, 15
	s_add_i32 s23, s23, 1
	s_cmp_eq_u32 s48, 2
	v_mov_b32_e32 v6, 0
	s_cbranch_scc1 .LBB45_62
; %bb.58:
	s_add_u32 s6, s4, 0xc4
	s_addc_u32 s7, s5, 0
	s_and_b32 s22, s23, 28
	s_mov_b32 s24, 0
	v_mov_b32_e32 v6, 0
	s_mov_b64 s[20:21], s[4:5]
	v_mov_b32_e32 v1, v8
.LBB45_59:                              ; =>This Inner Loop Header: Depth=1
	s_load_dwordx8 s[8:15], s[20:21], 0x4
	s_load_dwordx4 s[0:3], s[20:21], 0x24
	s_load_dwordx4 s[16:19], s[6:7], 0x0
	s_add_u32 s20, s20, 48
	s_addc_u32 s21, s21, 0
	s_waitcnt lgkmcnt(0)
	v_mul_hi_u32 v3, s9, v1
	v_add_u32_e32 v3, v1, v3
	v_lshrrev_b32_e32 v3, s10, v3
	v_mul_lo_u32 v5, v3, s8
	v_mul_hi_u32 v7, s12, v3
	v_sub_u32_e32 v1, v1, v5
	v_add_u32_e32 v5, v3, v7
	v_lshrrev_b32_e32 v5, s13, v5
	v_mul_lo_u32 v7, v5, s11
	v_mul_hi_u32 v9, s15, v5
	v_sub_u32_e32 v3, v3, v7
	v_add_u32_e32 v7, v5, v9
	v_mul_lo_u32 v1, v1, s16
	v_mul_lo_u32 v3, v3, s17
	v_lshrrev_b32_e32 v7, s0, v7
	v_add3_u32 v3, v1, v6, v3
	v_mul_lo_u32 v1, v7, s14
	v_mul_hi_u32 v6, s2, v7
	v_sub_u32_e32 v1, v5, v1
	v_add_u32_e32 v5, v7, v6
	v_mul_lo_u32 v6, v1, s18
	v_lshrrev_b32_e32 v1, s3, v5
	s_add_i32 s24, s24, 4
	v_mul_lo_u32 v5, v1, s1
	s_add_u32 s6, s6, 16
	v_sub_u32_e32 v5, v7, v5
	s_addc_u32 s7, s7, 0
	v_mul_lo_u32 v5, v5, s19
	s_cmp_lg_u32 s22, s24
	v_add3_u32 v6, v6, v3, v5
	s_cbranch_scc1 .LBB45_59
; %bb.60:
	s_and_b32 s6, s23, 3
	s_cmp_eq_u32 s6, 0
	s_cbranch_scc0 .LBB45_63
	s_branch .LBB45_65
.LBB45_61:
                                        ; implicit-def: $vgpr6
	s_branch .LBB45_66
.LBB45_62:
	v_mov_b32_e32 v1, v8
	s_and_b32 s6, s23, 3
	s_cmp_eq_u32 s6, 0
	s_cbranch_scc1 .LBB45_65
.LBB45_63:
	s_lshl_b32 s0, s22, 2
	s_add_u32 s0, s0, s4
	s_addc_u32 s1, 0, s5
	s_add_u32 s0, s0, 0xc4
	s_addc_u32 s1, s1, 0
	s_mul_i32 s2, s22, 12
	s_add_u32 s2, s4, s2
	s_addc_u32 s3, 0, s5
.LBB45_64:                              ; =>This Inner Loop Header: Depth=1
	s_load_dwordx2 s[8:9], s[2:3], 0x4
	s_load_dword s7, s[2:3], 0xc
	s_load_dword s10, s[0:1], 0x0
	s_add_u32 s2, s2, 12
	s_addc_u32 s3, s3, 0
	s_waitcnt lgkmcnt(0)
	v_mul_hi_u32 v3, s9, v1
	v_add_u32_e32 v3, v1, v3
	v_lshrrev_b32_e32 v3, s7, v3
	s_add_u32 s0, s0, 4
	v_mul_lo_u32 v5, v3, s8
	s_addc_u32 s1, s1, 0
	s_add_i32 s6, s6, -1
	v_sub_u32_e32 v5, v1, v5
	s_cmp_lg_u32 s6, 0
	v_mov_b32_e32 v1, v3
	v_mad_u64_u32 v[6:7], s[8:9], v5, s10, v[6:7]
	s_cbranch_scc1 .LBB45_64
.LBB45_65:
	s_cbranch_execnz .LBB45_68
.LBB45_66:
	s_load_dwordx4 s[0:3], s[4:5], 0x4
	s_waitcnt lgkmcnt(0)
	s_load_dword s3, s[4:5], 0xc4
	s_cmp_lt_u32 s33, 2
	v_mul_hi_u32 v1, s1, v8
	v_add_u32_e32 v1, v8, v1
	v_lshrrev_b32_e32 v1, s2, v1
	v_mul_lo_u32 v3, v1, s0
	v_sub_u32_e32 v3, v8, v3
	s_waitcnt lgkmcnt(0)
	v_mul_lo_u32 v6, v3, s3
	s_cbranch_scc1 .LBB45_68
; %bb.67:
	s_load_dwordx4 s[0:3], s[4:5], 0x10
	s_waitcnt lgkmcnt(0)
	s_load_dword s3, s[4:5], 0xc8
	v_mul_hi_u32 v3, s1, v1
	v_add_u32_e32 v3, v1, v3
	v_lshrrev_b32_e32 v3, s2, v3
	v_mul_lo_u32 v3, v3, s0
	v_sub_u32_e32 v1, v1, v3
	s_waitcnt lgkmcnt(0)
	v_mad_u64_u32 v[6:7], s[0:1], v1, s3, v[6:7]
.LBB45_68:
	s_load_dwordx4 s[0:3], s[4:5], 0x108
	s_waitcnt lgkmcnt(0)
	v_pk_mov_b32 v[8:9], s[2:3], s[2:3] op_sel:[0,1]
	s_nop 1
	global_store_dwordx2 v0, v[8:9], s[0:1]
	global_store_dwordx2 v2, v[8:9], s[0:1]
	;; [unrolled: 1-line block ×4, first 2 shown]
	s_endpgm
.LBB45_69:
	v_mov_b32_e32 v0, 0
	s_branch .LBB45_75
.LBB45_70:
	v_mov_b32_e32 v0, 0
	s_branch .LBB45_91
.LBB45_71:
	v_mov_b32_e32 v2, v4
.LBB45_72:
	s_and_b32 s12, s52, 3
	s_cmp_eq_u32 s12, 0
	s_cbranch_scc1 .LBB45_75
; %bb.73:
	s_lshl_b32 s8, s51, 2
	s_add_u32 s8, s8, s4
	s_addc_u32 s9, s5, 0
	s_add_u32 s8, s8, 0xc4
	s_addc_u32 s9, s9, 0
	s_mul_i32 s10, s51, 12
	s_add_u32 s10, s4, s10
	s_addc_u32 s11, s5, 0
.LBB45_74:                              ; =>This Inner Loop Header: Depth=1
	s_load_dwordx2 s[14:15], s[10:11], 0x4
	s_load_dword s13, s[10:11], 0xc
	s_load_dword s20, s[8:9], 0x0
	s_add_u32 s10, s10, 12
	s_addc_u32 s11, s11, 0
	s_waitcnt lgkmcnt(0)
	v_mul_hi_u32 v1, s15, v2
	v_add_u32_e32 v1, v2, v1
	v_lshrrev_b32_e32 v1, s13, v1
	s_add_u32 s8, s8, 4
	v_mul_lo_u32 v3, v1, s14
	s_addc_u32 s9, s9, 0
	s_add_i32 s12, s12, -1
	v_sub_u32_e32 v3, v2, v3
	s_cmp_lg_u32 s12, 0
	v_mov_b32_e32 v2, v1
	v_mad_u64_u32 v[0:1], s[14:15], v3, s20, v[0:1]
	s_cbranch_scc1 .LBB45_74
.LBB45_75:
	s_cbranch_execnz .LBB45_78
.LBB45_76:
	s_waitcnt lgkmcnt(0)
	v_mul_hi_u32 v0, s17, v4
	v_add_u32_e32 v0, v4, v0
	v_lshrrev_b32_e32 v1, s18, v0
	v_mul_lo_u32 v0, v1, s16
	v_sub_u32_e32 v0, v4, v0
	s_andn2_b64 vcc, exec, s[36:37]
	v_mul_lo_u32 v0, v0, s30
	s_cbranch_vccnz .LBB45_78
; %bb.77:
	v_mul_hi_u32 v2, s34, v1
	v_add_u32_e32 v2, v1, v2
	v_lshrrev_b32_e32 v2, s35, v2
	v_mul_lo_u32 v2, v2, s19
	v_sub_u32_e32 v1, v1, v2
	v_mad_u64_u32 v[0:1], s[8:9], v1, s31, v[0:1]
.LBB45_78:
	s_waitcnt lgkmcnt(0)
	v_pk_mov_b32 v[2:3], s[2:3], s[2:3] op_sel:[0,1]
	v_add_u32_e32 v4, 0x80, v4
	global_store_dwordx2 v0, v[2:3], s[0:1]
	s_or_b64 exec, exec, s[42:43]
	v_cmp_gt_i32_e32 vcc, s49, v4
	s_and_saveexec_b64 s[42:43], vcc
	s_cbranch_execnz .LBB45_15
.LBB45_79:
	s_or_b64 exec, exec, s[42:43]
	v_cmp_gt_i32_e32 vcc, s49, v4
	s_and_saveexec_b64 s[42:43], vcc
	s_cbranch_execz .LBB45_95
.LBB45_80:
	s_andn2_b64 vcc, exec, s[6:7]
	s_cbranch_vccnz .LBB45_85
; %bb.81:
	s_andn2_b64 vcc, exec, s[40:41]
	s_cbranch_vccnz .LBB45_86
; %bb.82:
	s_add_i32 s52, s50, 1
	s_mov_b32 s51, 0
	s_cmp_eq_u32 s48, 2
	v_mov_b32_e32 v0, 0
	s_cbranch_scc1 .LBB45_98
; %bb.83:
	s_and_b32 s51, s52, 28
	s_mov_b32 s53, 0
	v_mov_b32_e32 v0, 0
	s_mov_b64 s[44:45], s[4:5]
	s_mov_b64 s[46:47], s[38:39]
	v_mov_b32_e32 v2, v4
.LBB45_84:                              ; =>This Inner Loop Header: Depth=1
	s_load_dwordx8 s[8:15], s[44:45], 0x4
	s_load_dwordx4 s[20:23], s[44:45], 0x24
	s_load_dwordx4 s[24:27], s[46:47], 0x0
	s_add_u32 s44, s44, 48
	s_addc_u32 s45, s45, 0
	s_waitcnt lgkmcnt(0)
	v_mul_hi_u32 v1, s9, v2
	v_add_u32_e32 v1, v2, v1
	v_lshrrev_b32_e32 v1, s10, v1
	v_mul_lo_u32 v3, v1, s8
	v_mul_hi_u32 v5, s12, v1
	v_sub_u32_e32 v2, v2, v3
	v_add_u32_e32 v3, v1, v5
	v_lshrrev_b32_e32 v3, s13, v3
	v_mul_lo_u32 v5, v3, s11
	v_mul_hi_u32 v6, s15, v3
	v_sub_u32_e32 v1, v1, v5
	v_add_u32_e32 v5, v3, v6
	v_mul_lo_u32 v2, v2, s24
	v_mul_lo_u32 v1, v1, s25
	v_lshrrev_b32_e32 v5, s20, v5
	v_add3_u32 v0, v2, v0, v1
	v_mul_hi_u32 v2, s22, v5
	v_add_u32_e32 v2, v5, v2
	v_mul_lo_u32 v1, v5, s14
	v_lshrrev_b32_e32 v2, s23, v2
	s_add_i32 s53, s53, 4
	v_sub_u32_e32 v1, v3, v1
	v_mul_lo_u32 v3, v2, s21
	s_add_u32 s46, s46, 16
	v_sub_u32_e32 v3, v5, v3
	s_addc_u32 s47, s47, 0
	v_mul_lo_u32 v1, v1, s26
	v_mul_lo_u32 v3, v3, s27
	s_cmp_eq_u32 s51, s53
	v_add3_u32 v0, v1, v0, v3
	s_cbranch_scc0 .LBB45_84
	s_branch .LBB45_99
.LBB45_85:
                                        ; implicit-def: $vgpr0
	s_branch .LBB45_103
.LBB45_86:
	v_mov_b32_e32 v0, 0
	s_branch .LBB45_102
.LBB45_87:
	v_mov_b32_e32 v2, v4
.LBB45_88:
	s_and_b32 s12, s52, 3
	s_cmp_eq_u32 s12, 0
	s_cbranch_scc1 .LBB45_91
; %bb.89:
	s_lshl_b32 s8, s51, 2
	s_add_u32 s8, s8, s4
	s_addc_u32 s9, s5, 0
	s_add_u32 s8, s8, 0xc4
	s_addc_u32 s9, s9, 0
	s_mul_i32 s10, s51, 12
	s_add_u32 s10, s4, s10
	s_addc_u32 s11, s5, 0
.LBB45_90:                              ; =>This Inner Loop Header: Depth=1
	s_load_dwordx2 s[14:15], s[10:11], 0x4
	s_load_dword s13, s[10:11], 0xc
	s_load_dword s20, s[8:9], 0x0
	s_add_u32 s10, s10, 12
	s_addc_u32 s11, s11, 0
	s_waitcnt lgkmcnt(0)
	v_mul_hi_u32 v1, s15, v2
	v_add_u32_e32 v1, v2, v1
	v_lshrrev_b32_e32 v1, s13, v1
	s_add_u32 s8, s8, 4
	v_mul_lo_u32 v3, v1, s14
	s_addc_u32 s9, s9, 0
	s_add_i32 s12, s12, -1
	v_sub_u32_e32 v3, v2, v3
	s_cmp_lg_u32 s12, 0
	v_mov_b32_e32 v2, v1
	v_mad_u64_u32 v[0:1], s[14:15], v3, s20, v[0:1]
	s_cbranch_scc1 .LBB45_90
.LBB45_91:
	s_cbranch_execnz .LBB45_94
.LBB45_92:
	s_waitcnt lgkmcnt(0)
	v_mul_hi_u32 v0, s17, v4
	v_add_u32_e32 v0, v4, v0
	v_lshrrev_b32_e32 v1, s18, v0
	v_mul_lo_u32 v0, v1, s16
	v_sub_u32_e32 v0, v4, v0
	s_andn2_b64 vcc, exec, s[36:37]
	v_mul_lo_u32 v0, v0, s30
	s_cbranch_vccnz .LBB45_94
; %bb.93:
	v_mul_hi_u32 v2, s34, v1
	v_add_u32_e32 v2, v1, v2
	v_lshrrev_b32_e32 v2, s35, v2
	v_mul_lo_u32 v2, v2, s19
	v_sub_u32_e32 v1, v1, v2
	v_mad_u64_u32 v[0:1], s[8:9], v1, s31, v[0:1]
.LBB45_94:
	s_waitcnt lgkmcnt(0)
	v_pk_mov_b32 v[2:3], s[2:3], s[2:3] op_sel:[0,1]
	v_add_u32_e32 v4, 0x80, v4
	global_store_dwordx2 v0, v[2:3], s[0:1]
	s_or_b64 exec, exec, s[42:43]
	v_cmp_gt_i32_e32 vcc, s49, v4
	s_and_saveexec_b64 s[42:43], vcc
	s_cbranch_execnz .LBB45_80
.LBB45_95:
	s_or_b64 exec, exec, s[42:43]
	v_cmp_gt_i32_e32 vcc, s49, v4
	s_and_saveexec_b64 s[42:43], vcc
	s_cbranch_execnz .LBB45_106
.LBB45_96:
	s_or_b64 exec, exec, s[42:43]
                                        ; implicit-def: $vgpr8
                                        ; implicit-def: $vgpr4
	s_waitcnt lgkmcnt(0)
	s_andn2_saveexec_b64 s[0:1], s[28:29]
	s_cbranch_execnz .LBB45_8
.LBB45_97:
	s_endpgm
.LBB45_98:
	v_mov_b32_e32 v2, v4
.LBB45_99:
	s_and_b32 s12, s52, 3
	s_cmp_eq_u32 s12, 0
	s_cbranch_scc1 .LBB45_102
; %bb.100:
	s_lshl_b32 s8, s51, 2
	s_add_u32 s8, s8, s4
	s_addc_u32 s9, s5, 0
	s_add_u32 s8, s8, 0xc4
	s_addc_u32 s9, s9, 0
	s_mul_i32 s10, s51, 12
	s_add_u32 s10, s4, s10
	s_addc_u32 s11, s5, 0
.LBB45_101:                             ; =>This Inner Loop Header: Depth=1
	s_load_dwordx2 s[14:15], s[10:11], 0x4
	s_load_dword s13, s[10:11], 0xc
	s_load_dword s20, s[8:9], 0x0
	s_add_u32 s10, s10, 12
	s_addc_u32 s11, s11, 0
	s_waitcnt lgkmcnt(0)
	v_mul_hi_u32 v1, s15, v2
	v_add_u32_e32 v1, v2, v1
	v_lshrrev_b32_e32 v1, s13, v1
	s_add_u32 s8, s8, 4
	v_mul_lo_u32 v3, v1, s14
	s_addc_u32 s9, s9, 0
	s_add_i32 s12, s12, -1
	v_sub_u32_e32 v3, v2, v3
	s_cmp_lg_u32 s12, 0
	v_mov_b32_e32 v2, v1
	v_mad_u64_u32 v[0:1], s[14:15], v3, s20, v[0:1]
	s_cbranch_scc1 .LBB45_101
.LBB45_102:
	s_cbranch_execnz .LBB45_105
.LBB45_103:
	s_waitcnt lgkmcnt(0)
	v_mul_hi_u32 v0, s17, v4
	v_add_u32_e32 v0, v4, v0
	v_lshrrev_b32_e32 v1, s18, v0
	v_mul_lo_u32 v0, v1, s16
	v_sub_u32_e32 v0, v4, v0
	s_andn2_b64 vcc, exec, s[36:37]
	v_mul_lo_u32 v0, v0, s30
	s_cbranch_vccnz .LBB45_105
; %bb.104:
	v_mul_hi_u32 v2, s34, v1
	v_add_u32_e32 v2, v1, v2
	v_lshrrev_b32_e32 v2, s35, v2
	v_mul_lo_u32 v2, v2, s19
	v_sub_u32_e32 v1, v1, v2
	v_mad_u64_u32 v[0:1], s[8:9], v1, s31, v[0:1]
.LBB45_105:
	s_waitcnt lgkmcnt(0)
	v_pk_mov_b32 v[2:3], s[2:3], s[2:3] op_sel:[0,1]
	v_add_u32_e32 v4, 0x80, v4
	global_store_dwordx2 v0, v[2:3], s[0:1]
	s_or_b64 exec, exec, s[42:43]
	v_cmp_gt_i32_e32 vcc, s49, v4
	s_and_saveexec_b64 s[42:43], vcc
	s_cbranch_execz .LBB45_96
.LBB45_106:
	s_andn2_b64 vcc, exec, s[6:7]
	s_cbranch_vccnz .LBB45_111
; %bb.107:
	s_andn2_b64 vcc, exec, s[40:41]
	s_cbranch_vccnz .LBB45_112
; %bb.108:
	s_add_i32 s50, s50, 1
	s_mov_b32 s44, 0
	s_cmp_eq_u32 s48, 2
	v_mov_b32_e32 v0, 0
	s_cbranch_scc1 .LBB45_113
; %bb.109:
	s_and_b32 s44, s50, 28
	s_mov_b32 s45, 0
	v_mov_b32_e32 v0, 0
	s_mov_b64 s[40:41], s[4:5]
	v_mov_b32_e32 v2, v4
.LBB45_110:                             ; =>This Inner Loop Header: Depth=1
	s_load_dwordx8 s[8:15], s[40:41], 0x4
	s_load_dwordx4 s[20:23], s[40:41], 0x24
	s_load_dwordx4 s[24:27], s[38:39], 0x0
	s_add_u32 s40, s40, 48
	s_addc_u32 s41, s41, 0
	s_waitcnt lgkmcnt(0)
	v_mul_hi_u32 v1, s9, v2
	v_add_u32_e32 v1, v2, v1
	v_lshrrev_b32_e32 v1, s10, v1
	v_mul_lo_u32 v3, v1, s8
	v_mul_hi_u32 v5, s12, v1
	v_sub_u32_e32 v2, v2, v3
	v_add_u32_e32 v3, v1, v5
	v_lshrrev_b32_e32 v3, s13, v3
	v_mul_lo_u32 v5, v3, s11
	v_mul_hi_u32 v6, s15, v3
	v_sub_u32_e32 v1, v1, v5
	v_add_u32_e32 v5, v3, v6
	v_mul_lo_u32 v2, v2, s24
	v_mul_lo_u32 v1, v1, s25
	v_lshrrev_b32_e32 v5, s20, v5
	v_add3_u32 v0, v2, v0, v1
	v_mul_hi_u32 v2, s22, v5
	v_add_u32_e32 v2, v5, v2
	v_mul_lo_u32 v1, v5, s14
	v_lshrrev_b32_e32 v2, s23, v2
	s_add_i32 s45, s45, 4
	v_sub_u32_e32 v1, v3, v1
	v_mul_lo_u32 v3, v2, s21
	s_add_u32 s38, s38, 16
	v_sub_u32_e32 v3, v5, v3
	s_addc_u32 s39, s39, 0
	v_mul_lo_u32 v1, v1, s26
	v_mul_lo_u32 v3, v3, s27
	s_cmp_eq_u32 s44, s45
	v_add3_u32 v0, v1, v0, v3
	s_cbranch_scc0 .LBB45_110
	s_branch .LBB45_114
.LBB45_111:
                                        ; implicit-def: $vgpr0
	s_branch .LBB45_118
.LBB45_112:
	v_mov_b32_e32 v0, 0
	s_branch .LBB45_117
.LBB45_113:
	v_mov_b32_e32 v2, v4
.LBB45_114:
	s_and_b32 s12, s50, 3
	s_cmp_eq_u32 s12, 0
	s_cbranch_scc1 .LBB45_117
; %bb.115:
	s_lshl_b32 s8, s44, 2
	s_add_u32 s8, s8, s4
	s_addc_u32 s9, s5, 0
	s_add_u32 s8, s8, 0xc4
	s_addc_u32 s9, s9, 0
	s_mul_i32 s10, s44, 12
	s_add_u32 s10, s4, s10
	s_addc_u32 s11, s5, 0
.LBB45_116:                             ; =>This Inner Loop Header: Depth=1
	s_load_dwordx2 s[14:15], s[10:11], 0x4
	s_load_dword s13, s[10:11], 0xc
	s_load_dword s20, s[8:9], 0x0
	s_add_u32 s10, s10, 12
	s_addc_u32 s11, s11, 0
	s_waitcnt lgkmcnt(0)
	v_mul_hi_u32 v1, s15, v2
	v_add_u32_e32 v1, v2, v1
	v_lshrrev_b32_e32 v1, s13, v1
	s_add_u32 s8, s8, 4
	v_mul_lo_u32 v3, v1, s14
	s_addc_u32 s9, s9, 0
	s_add_i32 s12, s12, -1
	v_sub_u32_e32 v3, v2, v3
	s_cmp_lg_u32 s12, 0
	v_mov_b32_e32 v2, v1
	v_mad_u64_u32 v[0:1], s[14:15], v3, s20, v[0:1]
	s_cbranch_scc1 .LBB45_116
.LBB45_117:
	s_cbranch_execnz .LBB45_120
.LBB45_118:
	s_waitcnt lgkmcnt(0)
	v_mul_hi_u32 v0, s17, v4
	v_add_u32_e32 v0, v4, v0
	v_lshrrev_b32_e32 v1, s18, v0
	v_mul_lo_u32 v0, v1, s16
	v_sub_u32_e32 v0, v4, v0
	s_andn2_b64 vcc, exec, s[36:37]
	v_mul_lo_u32 v0, v0, s30
	s_cbranch_vccnz .LBB45_120
; %bb.119:
	v_mul_hi_u32 v2, s34, v1
	v_add_u32_e32 v2, v1, v2
	v_lshrrev_b32_e32 v2, s35, v2
	v_mul_lo_u32 v2, v2, s19
	v_sub_u32_e32 v1, v1, v2
	v_mad_u64_u32 v[0:1], s[8:9], v1, s31, v[0:1]
.LBB45_120:
	s_waitcnt lgkmcnt(0)
	v_pk_mov_b32 v[2:3], s[2:3], s[2:3] op_sel:[0,1]
	global_store_dwordx2 v0, v[2:3], s[0:1]
	s_or_b64 exec, exec, s[42:43]
                                        ; implicit-def: $vgpr8
                                        ; implicit-def: $vgpr4
	s_andn2_saveexec_b64 s[0:1], s[28:29]
	s_cbranch_execz .LBB45_97
	s_branch .LBB45_8
	.section	.rodata,"a",@progbits
	.p2align	6, 0x0
	.amdhsa_kernel _ZN2at6native32elementwise_kernel_manual_unrollILi128ELi4EZNS0_22gpu_kernel_impl_nocastINS0_11FillFunctorIdEEEEvRNS_18TensorIteratorBaseERKT_EUlibE_EEviT1_
		.amdhsa_group_segment_fixed_size 0
		.amdhsa_private_segment_fixed_size 0
		.amdhsa_kernarg_size 288
		.amdhsa_user_sgpr_count 6
		.amdhsa_user_sgpr_private_segment_buffer 1
		.amdhsa_user_sgpr_dispatch_ptr 0
		.amdhsa_user_sgpr_queue_ptr 0
		.amdhsa_user_sgpr_kernarg_segment_ptr 1
		.amdhsa_user_sgpr_dispatch_id 0
		.amdhsa_user_sgpr_flat_scratch_init 0
		.amdhsa_user_sgpr_kernarg_preload_length 0
		.amdhsa_user_sgpr_kernarg_preload_offset 0
		.amdhsa_user_sgpr_private_segment_size 0
		.amdhsa_uses_dynamic_stack 0
		.amdhsa_system_sgpr_private_segment_wavefront_offset 0
		.amdhsa_system_sgpr_workgroup_id_x 1
		.amdhsa_system_sgpr_workgroup_id_y 0
		.amdhsa_system_sgpr_workgroup_id_z 0
		.amdhsa_system_sgpr_workgroup_info 0
		.amdhsa_system_vgpr_workitem_id 0
		.amdhsa_next_free_vgpr 10
		.amdhsa_next_free_sgpr 54
		.amdhsa_accum_offset 12
		.amdhsa_reserve_vcc 1
		.amdhsa_reserve_flat_scratch 0
		.amdhsa_float_round_mode_32 0
		.amdhsa_float_round_mode_16_64 0
		.amdhsa_float_denorm_mode_32 3
		.amdhsa_float_denorm_mode_16_64 3
		.amdhsa_dx10_clamp 1
		.amdhsa_ieee_mode 1
		.amdhsa_fp16_overflow 0
		.amdhsa_tg_split 0
		.amdhsa_exception_fp_ieee_invalid_op 0
		.amdhsa_exception_fp_denorm_src 0
		.amdhsa_exception_fp_ieee_div_zero 0
		.amdhsa_exception_fp_ieee_overflow 0
		.amdhsa_exception_fp_ieee_underflow 0
		.amdhsa_exception_fp_ieee_inexact 0
		.amdhsa_exception_int_div_zero 0
	.end_amdhsa_kernel
	.section	.text._ZN2at6native32elementwise_kernel_manual_unrollILi128ELi4EZNS0_22gpu_kernel_impl_nocastINS0_11FillFunctorIdEEEEvRNS_18TensorIteratorBaseERKT_EUlibE_EEviT1_,"axG",@progbits,_ZN2at6native32elementwise_kernel_manual_unrollILi128ELi4EZNS0_22gpu_kernel_impl_nocastINS0_11FillFunctorIdEEEEvRNS_18TensorIteratorBaseERKT_EUlibE_EEviT1_,comdat
.Lfunc_end45:
	.size	_ZN2at6native32elementwise_kernel_manual_unrollILi128ELi4EZNS0_22gpu_kernel_impl_nocastINS0_11FillFunctorIdEEEEvRNS_18TensorIteratorBaseERKT_EUlibE_EEviT1_, .Lfunc_end45-_ZN2at6native32elementwise_kernel_manual_unrollILi128ELi4EZNS0_22gpu_kernel_impl_nocastINS0_11FillFunctorIdEEEEvRNS_18TensorIteratorBaseERKT_EUlibE_EEviT1_
                                        ; -- End function
	.section	.AMDGPU.csdata,"",@progbits
; Kernel info:
; codeLenInByte = 4932
; NumSgprs: 58
; NumVgprs: 10
; NumAgprs: 0
; TotalNumVgprs: 10
; ScratchSize: 0
; MemoryBound: 0
; FloatMode: 240
; IeeeMode: 1
; LDSByteSize: 0 bytes/workgroup (compile time only)
; SGPRBlocks: 7
; VGPRBlocks: 1
; NumSGPRsForWavesPerEU: 58
; NumVGPRsForWavesPerEU: 10
; AccumOffset: 12
; Occupancy: 8
; WaveLimiterHint : 1
; COMPUTE_PGM_RSRC2:SCRATCH_EN: 0
; COMPUTE_PGM_RSRC2:USER_SGPR: 6
; COMPUTE_PGM_RSRC2:TRAP_HANDLER: 0
; COMPUTE_PGM_RSRC2:TGID_X_EN: 1
; COMPUTE_PGM_RSRC2:TGID_Y_EN: 0
; COMPUTE_PGM_RSRC2:TGID_Z_EN: 0
; COMPUTE_PGM_RSRC2:TIDIG_COMP_CNT: 0
; COMPUTE_PGM_RSRC3_GFX90A:ACCUM_OFFSET: 2
; COMPUTE_PGM_RSRC3_GFX90A:TG_SPLIT: 0
	.section	.text._ZN2at6native32elementwise_kernel_manual_unrollILi128ELi4EZNS0_15gpu_kernel_implINS0_11FillFunctorIdEEEEvRNS_18TensorIteratorBaseERKT_EUlibE_EEviT1_,"axG",@progbits,_ZN2at6native32elementwise_kernel_manual_unrollILi128ELi4EZNS0_15gpu_kernel_implINS0_11FillFunctorIdEEEEvRNS_18TensorIteratorBaseERKT_EUlibE_EEviT1_,comdat
	.protected	_ZN2at6native32elementwise_kernel_manual_unrollILi128ELi4EZNS0_15gpu_kernel_implINS0_11FillFunctorIdEEEEvRNS_18TensorIteratorBaseERKT_EUlibE_EEviT1_ ; -- Begin function _ZN2at6native32elementwise_kernel_manual_unrollILi128ELi4EZNS0_15gpu_kernel_implINS0_11FillFunctorIdEEEEvRNS_18TensorIteratorBaseERKT_EUlibE_EEviT1_
	.globl	_ZN2at6native32elementwise_kernel_manual_unrollILi128ELi4EZNS0_15gpu_kernel_implINS0_11FillFunctorIdEEEEvRNS_18TensorIteratorBaseERKT_EUlibE_EEviT1_
	.p2align	8
	.type	_ZN2at6native32elementwise_kernel_manual_unrollILi128ELi4EZNS0_15gpu_kernel_implINS0_11FillFunctorIdEEEEvRNS_18TensorIteratorBaseERKT_EUlibE_EEviT1_,@function
_ZN2at6native32elementwise_kernel_manual_unrollILi128ELi4EZNS0_15gpu_kernel_implINS0_11FillFunctorIdEEEEvRNS_18TensorIteratorBaseERKT_EUlibE_EEviT1_: ; @_ZN2at6native32elementwise_kernel_manual_unrollILi128ELi4EZNS0_15gpu_kernel_implINS0_11FillFunctorIdEEEEvRNS_18TensorIteratorBaseERKT_EUlibE_EEviT1_
; %bb.0:
	v_lshl_or_b32 v17, s6, 9, v0
	s_load_dword s48, s[4:5], 0x0
	s_load_dwordx2 s[10:11], s[4:5], 0x8
	s_load_dword s52, s[4:5], 0x10
	s_load_dwordx2 s[8:9], s[4:5], 0x18
	s_load_dword s33, s[4:5], 0x20
	v_or_b32_e32 v0, 0x180, v17
	s_waitcnt lgkmcnt(0)
	v_cmp_le_i32_e32 vcc, s48, v0
	s_mov_b64 s[6:7], 0
	s_mov_b64 s[0:1], 0
	s_and_saveexec_b64 s[2:3], vcc
	s_xor_b64 s[12:13], exec, s[2:3]
	s_cbranch_execz .LBB46_404
; %bb.1:
	v_trunc_f64_e32 v[2:3], s[8:9]
	s_movk_i32 s0, 0xffe0
	v_ldexp_f64 v[0:1], v[2:3], s0
	v_floor_f64_e32 v[4:5], v[0:1]
	v_fmac_f64_e32 v[2:3], 0xc1f00000, v[4:5]
	v_cvt_u32_f64_e32 v0, v[2:3]
	v_cvt_f32_f64_e32 v2, s[8:9]
	v_and_b32_e32 v7, 0x400000, v2
	v_bfe_u32 v6, v2, 23, 8
	s_movk_i32 s0, 0xff
	v_cmp_ne_u32_e32 vcc, 0, v7
	v_and_b32_e32 v7, 0x3fffff, v2
	v_cmp_eq_u32_e64 s[4:5], s0, v6
	v_or_b32_e32 v6, v6, v7
	v_cmp_ne_u32_e64 s[0:1], 0, v6
	v_readfirstlane_b32 s16, v2
	s_and_b64 s[0:1], vcc, s[0:1]
	s_and_b32 s30, s16, 0x7fffffff
	s_cmp_lt_u32 s30, 0x43800000
	s_cselect_b64 s[26:27], -1, 0
	s_cmp_gt_u32 s30, 0x3bffffff
	v_cndmask_b32_e64 v6, 0, 1, s[0:1]
	s_cselect_b64 s[2:3], -1, 0
	s_bfe_u32 s0, s16, 0x10014
	s_add_i32 s17, s16, s0
	s_add_i32 s0, s17, 0x487ffff
	s_lshr_b32 s60, s0, 20
	s_mov_b32 s0, 0x46000000
	v_add_f32_e64 v14, |v2|, s0
	v_readfirstlane_b32 s0, v14
	s_and_b32 s0, s0, 0xff
	s_cmp_lg_u32 s0, 0
	s_cselect_b64 s[28:29], -1, 0
	s_cmp_gt_u32 s30, 0x477fffff
	s_cselect_b64 s[14:15], -1, 0
	s_cmp_lt_u32 s30, 0x47800000
	s_movk_i32 s0, 0x80
	s_cselect_b64 s[22:23], -1, 0
	s_cmp_gt_u32 s30, 0x37ffffff
	v_and_b32_sdwa v11, v2, s0 dst_sel:DWORD dst_unused:UNUSED_PAD src0_sel:BYTE_3 src1_sel:DWORD
	s_cselect_b64 s[0:1], -1, 0
	s_bfe_u32 s18, s16, 0x10015
	s_add_i32 s31, s16, s18
	s_add_i32 s16, s31, 0x88fffff
	s_lshr_b32 s58, s16, 21
	s_mov_b32 s16, 0x42800000
	v_add_f32_e64 v13, |v2|, s16
	v_readfirstlane_b32 s16, v13
	s_and_b32 s16, s16, 0xff
	s_cmp_lg_u32 s16, 0
	s_cselect_b64 s[24:25], -1, 0
	s_cmp_gt_u32 s30, 0x43efffff
	s_cselect_b64 s[18:19], -1, 0
	s_cmp_lt_u32 s30, 0x3c800000
	s_cselect_b64 s[20:21], -1, 0
	s_add_i32 s17, s17, 0x407ffff
	s_lshr_b32 s16, s17, 20
	s_and_b32 s17, s17, 0xff00000
	s_cmp_lg_u32 s17, 0x7f00000
	v_lshrrev_b32_e32 v3, 23, v2
	s_cselect_b32 s56, s16, 0x7e
	s_mov_b32 s16, 0x46800000
	s_cmp_lt_u32 s30, 0x38800000
	v_add_u32_e32 v16, v3, v6
	v_add_f32_e64 v3, |v2|, s16
	s_cselect_b64 s[16:17], -1, 0
	s_add_i32 s31, s31, 0x80fffff
	s_lshr_b32 s53, s31, 21
	s_cmp_gt_u32 s30, 0x7f800000
	s_movk_i32 s30, 0x7f
	s_cselect_b32 s59, s30, 0x7e
	s_mov_b32 s30, 0x43000000
	v_readfirstlane_b32 s57, v3
	v_add_f32_e64 v3, |v2|, s30
	v_readfirstlane_b32 s54, v3
	v_bfe_u32 v3, v2, 16, 1
	v_add_u32_e32 v3, v2, v3
	v_cvt_f16_f32_e32 v9, v2
	s_movk_i32 s30, 0x7c
	v_add_u32_e32 v3, 0x7fff, v3
	s_cselect_b32 s55, 0x7f, s30
	v_lshrrev_b32_e32 v3, 16, v3
	v_mov_b32_e32 v6, 0x7fc0
	v_cmp_o_f32_e32 vcc, v2, v2
	v_cmp_neq_f64_e64 s[30:31], s[8:9], 0
	v_cvt_u32_f64_e32 v1, v[4:5]
	v_cvt_u32_f64_e32 v15, s[8:9]
	v_cndmask_b32_e32 v12, v6, v3, vcc
	s_mov_b64 s[38:39], 0
	v_cndmask_b32_e64 v10, 0, 1, s[30:31]
	v_cvt_i32_f64_e32 v5, v[4:5]
	v_mov_b32_e32 v4, v0
	v_cvt_i32_f64_e32 v8, s[8:9]
	v_cmp_gt_i32_e32 vcc, s48, v17
	s_mov_b64 s[36:37], -1
	s_mov_b64 s[30:31], 0
	s_and_saveexec_b64 s[34:35], vcc
	s_cbranch_execz .LBB46_100
; %bb.2:
	v_mul_lo_u32 v3, v17, s52
	v_ashrrev_i32_e32 v7, 31, v3
	v_mov_b32_e32 v18, s11
	v_add_co_u32_e32 v6, vcc, s10, v3
	v_mov_b32_e32 v3, 11
	v_addc_co_u32_e32 v7, vcc, v18, v7, vcc
	v_cmp_lt_i16_sdwa s[30:31], s33, v3 src0_sel:BYTE_0 src1_sel:DWORD
	s_and_b64 vcc, exec, s[30:31]
	s_cbranch_vccnz .LBB46_9
; %bb.3:
	v_mov_b32_e32 v3, 25
	v_cmp_gt_i16_sdwa s[30:31], s33, v3 src0_sel:BYTE_0 src1_sel:DWORD
	s_and_b64 vcc, exec, s[30:31]
	s_cbranch_vccz .LBB46_12
; %bb.4:
	v_mov_b32_e32 v3, 28
	v_cmp_gt_i16_sdwa s[30:31], s33, v3 src0_sel:BYTE_0 src1_sel:DWORD
	s_and_b64 vcc, exec, s[30:31]
	s_cbranch_vccz .LBB46_13
	;; [unrolled: 5-line block ×4, first 2 shown]
; %bb.7:
	v_mov_b32_e32 v3, 46
	v_cmp_eq_u16_sdwa s[36:37], s33, v3 src0_sel:BYTE_0 src1_sel:DWORD
	s_mov_b64 s[40:41], 0
	s_mov_b64 s[30:31], -1
	s_and_b64 vcc, exec, s[36:37]
	s_mov_b64 s[36:37], 0
	s_cbranch_vccz .LBB46_16
; %bb.8:
	global_store_dword v[6:7], v12, off
	s_mov_b64 s[36:37], -1
	s_mov_b64 s[30:31], 0
	s_branch .LBB46_16
.LBB46_9:
	s_mov_b64 s[30:31], 0
	s_mov_b64 s[36:37], 0
	s_cbranch_execnz .LBB46_60
.LBB46_10:
	s_andn2_b64 vcc, exec, s[36:37]
	s_cbranch_vccnz .LBB46_98
.LBB46_11:
	v_add_u32_e32 v17, 0x80, v17
	s_mov_b64 s[36:37], -1
	s_branch .LBB46_99
.LBB46_12:
	s_mov_b64 s[30:31], 0
	s_mov_b64 s[36:37], 0
	s_cbranch_execnz .LBB46_38
	s_branch .LBB46_59
.LBB46_13:
	s_mov_b64 s[40:41], -1
	s_mov_b64 s[30:31], 0
	s_mov_b64 s[36:37], 0
	s_branch .LBB46_24
.LBB46_14:
	s_mov_b64 s[40:41], -1
	s_mov_b64 s[30:31], 0
	s_mov_b64 s[36:37], 0
	s_branch .LBB46_20
.LBB46_15:
	s_mov_b64 s[40:41], -1
	s_mov_b64 s[30:31], 0
	s_mov_b64 s[36:37], 0
.LBB46_16:
	s_and_b64 vcc, exec, s[40:41]
	s_cbranch_vccz .LBB46_19
; %bb.17:
	v_mov_b32_e32 v3, 44
	v_cmp_eq_u16_sdwa s[40:41], s33, v3 src0_sel:BYTE_0 src1_sel:DWORD
	s_mov_b64 s[30:31], -1
	s_and_b64 vcc, exec, s[40:41]
	s_cbranch_vccz .LBB46_19
; %bb.18:
	v_mov_b32_e32 v3, 0xff
	v_cndmask_b32_e64 v3, v16, v3, s[4:5]
	global_store_byte v[6:7], v3, off
	s_mov_b64 s[36:37], -1
	s_mov_b64 s[30:31], 0
.LBB46_19:
	s_mov_b64 s[40:41], 0
.LBB46_20:
	s_and_b64 vcc, exec, s[40:41]
	s_cbranch_vccz .LBB46_23
; %bb.21:
	v_mov_b32_e32 v3, 29
	v_cmp_eq_u16_sdwa s[40:41], s33, v3 src0_sel:BYTE_0 src1_sel:DWORD
	s_mov_b64 s[30:31], -1
	s_and_b64 vcc, exec, s[40:41]
	s_cbranch_vccz .LBB46_23
; %bb.22:
	global_store_dwordx2 v[6:7], v[0:1], off
	s_mov_b64 s[36:37], -1
	s_mov_b64 s[30:31], 0
.LBB46_23:
	s_mov_b64 s[40:41], 0
.LBB46_24:
	s_and_b64 vcc, exec, s[40:41]
	s_cbranch_vccz .LBB46_37
; %bb.25:
	v_mov_b32_e32 v3, 27
	v_cmp_lt_i16_sdwa s[40:41], s33, v3 src0_sel:BYTE_0 src1_sel:DWORD
	s_mov_b64 s[36:37], -1
	s_and_b64 vcc, exec, s[40:41]
	s_cbranch_vccnz .LBB46_31
; %bb.26:
	v_cmp_gt_i16_sdwa s[40:41], s33, v3 src0_sel:BYTE_0 src1_sel:DWORD
	s_and_b64 vcc, exec, s[40:41]
	s_cbranch_vccz .LBB46_28
; %bb.27:
	s_mov_b64 s[36:37], 0
	global_store_dword v[6:7], v15, off
.LBB46_28:
	s_andn2_b64 vcc, exec, s[36:37]
	s_cbranch_vccnz .LBB46_30
; %bb.29:
	global_store_short v[6:7], v15, off
.LBB46_30:
	s_mov_b64 s[36:37], 0
.LBB46_31:
	s_andn2_b64 vcc, exec, s[36:37]
	s_cbranch_vccnz .LBB46_36
; %bb.32:
	s_andn2_b64 vcc, exec, s[26:27]
	v_mov_b32_e32 v3, 0x80
	s_cbranch_vccnz .LBB46_35
; %bb.33:
	s_or_b64 s[36:37], s[2:3], s[28:29]
	s_andn2_b64 vcc, exec, s[36:37]
	v_mov_b32_e32 v3, 0
	s_cbranch_vccnz .LBB46_35
; %bb.34:
	v_mov_b32_e32 v3, s60
	v_cndmask_b32_e64 v3, v14, v3, s[2:3]
	v_or_b32_e32 v3, v3, v11
.LBB46_35:
	global_store_byte v[6:7], v3, off
.LBB46_36:
	s_mov_b64 s[36:37], -1
.LBB46_37:
	s_branch .LBB46_59
.LBB46_38:
	v_mov_b32_e32 v3, 22
	v_cmp_gt_i16_sdwa s[42:43], s33, v3 src0_sel:BYTE_0 src1_sel:DWORD
	s_mov_b64 s[40:41], -1
	s_and_b64 vcc, exec, s[42:43]
	s_cbranch_vccz .LBB46_51
; %bb.39:
	v_mov_b32_e32 v3, 24
	v_cmp_lt_i16_sdwa s[40:41], s33, v3 src0_sel:BYTE_0 src1_sel:DWORD
	s_mov_b64 s[36:37], -1
	s_and_b64 vcc, exec, s[40:41]
	s_cbranch_vccnz .LBB46_48
; %bb.40:
	v_cmp_gt_i16_sdwa s[40:41], s33, v3 src0_sel:BYTE_0 src1_sel:DWORD
	s_and_b64 vcc, exec, s[40:41]
	s_cbranch_vccz .LBB46_45
; %bb.41:
	s_andn2_b64 vcc, exec, s[22:23]
	v_mov_b32_e32 v3, 0x80
	s_cbranch_vccnz .LBB46_44
; %bb.42:
	s_or_b64 s[36:37], s[0:1], s[24:25]
	s_andn2_b64 vcc, exec, s[36:37]
	v_mov_b32_e32 v3, 0
	s_cbranch_vccnz .LBB46_44
; %bb.43:
	v_mov_b32_e32 v3, s58
	v_cndmask_b32_e64 v3, v13, v3, s[0:1]
	v_or_b32_e32 v3, v3, v11
.LBB46_44:
	s_mov_b64 s[36:37], 0
	global_store_byte v[6:7], v3, off
.LBB46_45:
	s_and_b64 vcc, exec, s[36:37]
	s_cbranch_vccz .LBB46_47
; %bb.46:
	s_and_b64 s[36:37], s[20:21], exec
	s_cselect_b32 s40, s57, s56
	s_and_b64 s[36:37], s[18:19], exec
	s_cselect_b32 s36, s59, s40
	v_or_b32_e32 v3, s36, v11
	global_store_byte v[6:7], v3, off
.LBB46_47:
	s_mov_b64 s[36:37], 0
.LBB46_48:
	s_andn2_b64 vcc, exec, s[36:37]
	s_cbranch_vccnz .LBB46_50
; %bb.49:
	s_and_b64 s[36:37], s[16:17], exec
	s_cselect_b32 s40, s54, s53
	s_and_b64 s[36:37], s[14:15], exec
	s_cselect_b32 s36, s55, s40
	v_or_b32_e32 v3, s36, v11
	global_store_byte v[6:7], v3, off
.LBB46_50:
	s_mov_b64 s[40:41], 0
	s_mov_b64 s[36:37], -1
.LBB46_51:
	s_andn2_b64 vcc, exec, s[40:41]
	s_cbranch_vccnz .LBB46_59
; %bb.52:
	v_mov_b32_e32 v3, 14
	v_cmp_gt_i16_sdwa s[42:43], s33, v3 src0_sel:BYTE_0 src1_sel:DWORD
	s_mov_b64 s[40:41], -1
	s_and_b64 vcc, exec, s[42:43]
	s_cbranch_vccz .LBB46_56
; %bb.53:
	v_mov_b32_e32 v3, 15
	v_cmp_eq_u16_sdwa s[40:41], s33, v3 src0_sel:BYTE_0 src1_sel:DWORD
	s_mov_b64 s[30:31], -1
	s_and_b64 vcc, exec, s[40:41]
	s_cbranch_vccz .LBB46_55
; %bb.54:
	global_store_short v[6:7], v12, off
	s_mov_b64 s[36:37], -1
	s_mov_b64 s[30:31], 0
.LBB46_55:
	s_mov_b64 s[40:41], 0
.LBB46_56:
	s_and_b64 vcc, exec, s[40:41]
	s_cbranch_vccz .LBB46_59
; %bb.57:
	v_mov_b32_e32 v3, 11
	v_cmp_eq_u16_sdwa s[40:41], s33, v3 src0_sel:BYTE_0 src1_sel:DWORD
	s_mov_b64 s[30:31], -1
	s_and_b64 vcc, exec, s[40:41]
	s_cbranch_vccz .LBB46_59
; %bb.58:
	s_mov_b64 s[36:37], -1
	s_mov_b64 s[30:31], 0
	global_store_byte v[6:7], v10, off
.LBB46_59:
	s_branch .LBB46_10
.LBB46_60:
	v_mov_b32_e32 v3, 5
	v_cmp_lt_i16_sdwa s[40:41], s33, v3 src0_sel:BYTE_0 src1_sel:DWORD
	s_mov_b64 s[36:37], -1
	s_and_b64 vcc, exec, s[40:41]
	s_cbranch_vccnz .LBB46_81
; %bb.61:
	v_mov_b32_e32 v3, 8
	v_cmp_lt_i16_sdwa s[40:41], s33, v3 src0_sel:BYTE_0 src1_sel:DWORD
	s_and_b64 vcc, exec, s[40:41]
	s_cbranch_vccnz .LBB46_71
; %bb.62:
	v_mov_b32_e32 v3, 9
	v_cmp_lt_i16_sdwa s[40:41], s33, v3 src0_sel:BYTE_0 src1_sel:DWORD
	s_and_b64 vcc, exec, s[40:41]
	s_cbranch_vccnz .LBB46_68
; %bb.63:
	v_cmp_gt_i16_sdwa s[40:41], s33, v3 src0_sel:BYTE_0 src1_sel:DWORD
	s_and_b64 vcc, exec, s[40:41]
	s_cbranch_vccz .LBB46_65
; %bb.64:
	v_mov_b32_e32 v20, 0
	v_mov_b32_e32 v18, s8
	;; [unrolled: 1-line block ×4, first 2 shown]
	global_store_dwordx4 v[6:7], v[18:21], off
	s_mov_b64 s[36:37], 0
.LBB46_65:
	s_andn2_b64 vcc, exec, s[36:37]
	s_cbranch_vccnz .LBB46_67
; %bb.66:
	v_mov_b32_e32 v3, 0
	global_store_dwordx2 v[6:7], v[2:3], off
.LBB46_67:
	s_mov_b64 s[36:37], 0
.LBB46_68:
	s_andn2_b64 vcc, exec, s[36:37]
	s_cbranch_vccnz .LBB46_70
; %bb.69:
	global_store_dword v[6:7], v9, off
.LBB46_70:
	s_mov_b64 s[36:37], 0
.LBB46_71:
	s_andn2_b64 vcc, exec, s[36:37]
	s_cbranch_vccnz .LBB46_80
; %bb.72:
	v_mov_b32_e32 v3, 6
	v_cmp_lt_i16_sdwa s[40:41], s33, v3 src0_sel:BYTE_0 src1_sel:DWORD
	s_mov_b64 s[36:37], -1
	s_and_b64 vcc, exec, s[40:41]
	s_cbranch_vccnz .LBB46_78
; %bb.73:
	v_cmp_gt_i16_sdwa s[40:41], s33, v3 src0_sel:BYTE_0 src1_sel:DWORD
	s_and_b64 vcc, exec, s[40:41]
	s_cbranch_vccz .LBB46_75
; %bb.74:
	v_pk_mov_b32 v[18:19], s[8:9], s[8:9] op_sel:[0,1]
	global_store_dwordx2 v[6:7], v[18:19], off
	s_mov_b64 s[36:37], 0
.LBB46_75:
	s_andn2_b64 vcc, exec, s[36:37]
	s_cbranch_vccnz .LBB46_77
; %bb.76:
	global_store_dword v[6:7], v2, off
.LBB46_77:
	s_mov_b64 s[36:37], 0
.LBB46_78:
	s_andn2_b64 vcc, exec, s[36:37]
	s_cbranch_vccnz .LBB46_80
; %bb.79:
	global_store_short v[6:7], v9, off
.LBB46_80:
	s_mov_b64 s[36:37], 0
.LBB46_81:
	s_andn2_b64 vcc, exec, s[36:37]
	s_cbranch_vccnz .LBB46_97
; %bb.82:
	v_mov_b32_e32 v3, 2
	v_cmp_lt_i16_sdwa s[40:41], s33, v3 src0_sel:BYTE_0 src1_sel:DWORD
	s_mov_b64 s[36:37], -1
	s_and_b64 vcc, exec, s[40:41]
	s_cbranch_vccnz .LBB46_92
; %bb.83:
	v_mov_b32_e32 v3, 3
	v_cmp_lt_i16_sdwa s[40:41], s33, v3 src0_sel:BYTE_0 src1_sel:DWORD
	s_and_b64 vcc, exec, s[40:41]
	s_cbranch_vccnz .LBB46_89
; %bb.84:
	v_cmp_gt_i16_sdwa s[40:41], s33, v3 src0_sel:BYTE_0 src1_sel:DWORD
	s_and_b64 vcc, exec, s[40:41]
	s_cbranch_vccz .LBB46_86
; %bb.85:
	global_store_dwordx2 v[6:7], v[4:5], off
	s_mov_b64 s[36:37], 0
.LBB46_86:
	s_andn2_b64 vcc, exec, s[36:37]
	s_cbranch_vccnz .LBB46_88
; %bb.87:
	global_store_dword v[6:7], v8, off
.LBB46_88:
	s_mov_b64 s[36:37], 0
.LBB46_89:
	s_andn2_b64 vcc, exec, s[36:37]
	s_cbranch_vccnz .LBB46_91
; %bb.90:
	global_store_short v[6:7], v8, off
.LBB46_91:
	s_mov_b64 s[36:37], 0
.LBB46_92:
	s_andn2_b64 vcc, exec, s[36:37]
	s_cbranch_vccnz .LBB46_97
; %bb.93:
	v_mov_b32_e32 v3, 0
	v_cmp_gt_i16_sdwa s[40:41], s33, v3 src0_sel:BYTE_0 src1_sel:DWORD
	s_mov_b64 s[36:37], -1
	s_and_b64 vcc, exec, s[40:41]
	s_cbranch_vccz .LBB46_95
; %bb.94:
	global_store_byte v[6:7], v8, off
	s_mov_b64 s[36:37], 0
.LBB46_95:
	s_andn2_b64 vcc, exec, s[36:37]
	s_cbranch_vccnz .LBB46_97
; %bb.96:
	global_store_byte v[6:7], v0, off
.LBB46_97:
	s_branch .LBB46_11
.LBB46_98:
	s_mov_b64 s[36:37], 0
                                        ; implicit-def: $vgpr17
.LBB46_99:
	s_and_b64 s[30:31], s[30:31], exec
	s_orn2_b64 s[36:37], s[36:37], exec
.LBB46_100:
	s_or_b64 exec, exec, s[34:35]
	s_mov_b64 s[40:41], 0
                                        ; implicit-def: $vgpr18
                                        ; implicit-def: $vgpr6_vgpr7
	s_and_saveexec_b64 s[34:35], s[36:37]
	s_cbranch_execz .LBB46_109
; %bb.101:
	v_cmp_gt_i32_e32 vcc, s48, v17
	s_mov_b64 s[42:43], -1
	s_mov_b64 s[36:37], s[30:31]
	s_and_saveexec_b64 s[38:39], vcc
	s_cbranch_execz .LBB46_204
; %bb.102:
	v_mul_lo_u32 v3, v17, s52
	v_ashrrev_i32_e32 v7, 31, v3
	v_mov_b32_e32 v18, s11
	v_add_co_u32_e32 v6, vcc, s10, v3
	v_mov_b32_e32 v3, 11
	v_addc_co_u32_e32 v7, vcc, v18, v7, vcc
	v_cmp_lt_i16_sdwa s[36:37], s33, v3 src0_sel:BYTE_0 src1_sel:DWORD
	s_and_b64 vcc, exec, s[36:37]
	s_cbranch_vccnz .LBB46_112
; %bb.103:
	v_mov_b32_e32 v3, 25
	v_cmp_gt_i16_sdwa s[36:37], s33, v3 src0_sel:BYTE_0 src1_sel:DWORD
	s_and_b64 vcc, exec, s[36:37]
	s_cbranch_vccz .LBB46_115
; %bb.104:
	v_mov_b32_e32 v3, 28
	v_cmp_gt_i16_sdwa s[36:37], s33, v3 src0_sel:BYTE_0 src1_sel:DWORD
	s_and_b64 vcc, exec, s[36:37]
	s_cbranch_vccz .LBB46_116
	;; [unrolled: 5-line block ×4, first 2 shown]
; %bb.107:
	v_mov_b32_e32 v3, 46
	v_cmp_eq_u16_sdwa s[40:41], s33, v3 src0_sel:BYTE_0 src1_sel:DWORD
	s_mov_b64 s[42:43], 0
	s_mov_b64 s[36:37], -1
	s_and_b64 vcc, exec, s[40:41]
	s_mov_b64 s[40:41], 0
	s_cbranch_vccz .LBB46_119
; %bb.108:
	global_store_dword v[6:7], v12, off
	s_mov_b64 s[40:41], -1
	s_mov_b64 s[36:37], 0
	s_branch .LBB46_119
.LBB46_109:
	s_or_b64 exec, exec, s[34:35]
	s_mov_b64 s[0:1], 0
	s_and_saveexec_b64 s[2:3], s[30:31]
	s_cbranch_execnz .LBB46_364
.LBB46_110:
	s_or_b64 exec, exec, s[2:3]
	s_and_saveexec_b64 s[2:3], s[38:39]
	s_xor_b64 s[2:3], exec, s[2:3]
	s_cbranch_execz .LBB46_365
.LBB46_111:
	global_store_byte v[6:7], v10, off
	s_or_b64 exec, exec, s[2:3]
	s_and_saveexec_b64 s[2:3], s[40:41]
	s_xor_b64 s[2:3], exec, s[2:3]
	s_cbranch_execz .LBB46_403
	s_branch .LBB46_366
.LBB46_112:
	s_mov_b64 s[36:37], s[30:31]
	s_and_b64 vcc, exec, s[42:43]
	s_cbranch_vccnz .LBB46_164
.LBB46_113:
	s_andn2_b64 vcc, exec, s[40:41]
	s_cbranch_vccnz .LBB46_202
.LBB46_114:
	v_add_u32_e32 v17, 0x80, v17
	s_mov_b64 s[40:41], -1
	s_branch .LBB46_203
.LBB46_115:
	s_mov_b64 s[36:37], s[30:31]
	s_branch .LBB46_141
.LBB46_116:
	s_mov_b64 s[36:37], s[30:31]
	s_branch .LBB46_127
.LBB46_117:
	s_mov_b64 s[36:37], s[30:31]
	s_branch .LBB46_123
.LBB46_118:
	s_mov_b64 s[36:37], s[30:31]
.LBB46_119:
	s_and_b64 vcc, exec, s[42:43]
	s_cbranch_vccz .LBB46_122
; %bb.120:
	v_mov_b32_e32 v3, 44
	v_cmp_eq_u16_sdwa s[42:43], s33, v3 src0_sel:BYTE_0 src1_sel:DWORD
	s_mov_b64 s[36:37], -1
	s_and_b64 vcc, exec, s[42:43]
	s_cbranch_vccz .LBB46_122
; %bb.121:
	v_mov_b32_e32 v3, 0xff
	v_cndmask_b32_e64 v3, v16, v3, s[4:5]
	s_mov_b64 s[40:41], -1
	s_mov_b64 s[36:37], 0
	global_store_byte v[6:7], v3, off
.LBB46_122:
	s_mov_b64 s[42:43], 0
.LBB46_123:
	s_and_b64 vcc, exec, s[42:43]
	s_cbranch_vccz .LBB46_126
; %bb.124:
	v_mov_b32_e32 v3, 29
	v_cmp_eq_u16_sdwa s[42:43], s33, v3 src0_sel:BYTE_0 src1_sel:DWORD
	s_mov_b64 s[36:37], -1
	s_and_b64 vcc, exec, s[42:43]
	s_cbranch_vccz .LBB46_126
; %bb.125:
	global_store_dwordx2 v[6:7], v[0:1], off
	s_mov_b64 s[40:41], -1
	s_mov_b64 s[36:37], 0
.LBB46_126:
	s_mov_b64 s[42:43], 0
.LBB46_127:
	s_and_b64 vcc, exec, s[42:43]
	s_cbranch_vccz .LBB46_140
; %bb.128:
	v_mov_b32_e32 v3, 27
	v_cmp_lt_i16_sdwa s[42:43], s33, v3 src0_sel:BYTE_0 src1_sel:DWORD
	s_mov_b64 s[40:41], -1
	s_and_b64 vcc, exec, s[42:43]
	s_cbranch_vccnz .LBB46_134
; %bb.129:
	v_cmp_gt_i16_sdwa s[42:43], s33, v3 src0_sel:BYTE_0 src1_sel:DWORD
	s_and_b64 vcc, exec, s[42:43]
	s_cbranch_vccz .LBB46_131
; %bb.130:
	s_mov_b64 s[40:41], 0
	global_store_dword v[6:7], v15, off
.LBB46_131:
	s_andn2_b64 vcc, exec, s[40:41]
	s_cbranch_vccnz .LBB46_133
; %bb.132:
	global_store_short v[6:7], v15, off
.LBB46_133:
	s_mov_b64 s[40:41], 0
.LBB46_134:
	s_andn2_b64 vcc, exec, s[40:41]
	s_cbranch_vccnz .LBB46_139
; %bb.135:
	s_andn2_b64 vcc, exec, s[26:27]
	v_mov_b32_e32 v3, 0x80
	s_cbranch_vccnz .LBB46_138
; %bb.136:
	s_or_b64 s[40:41], s[2:3], s[28:29]
	s_andn2_b64 vcc, exec, s[40:41]
	v_mov_b32_e32 v3, 0
	s_cbranch_vccnz .LBB46_138
; %bb.137:
	v_mov_b32_e32 v3, s60
	v_cndmask_b32_e64 v3, v14, v3, s[2:3]
	v_or_b32_e32 v3, v3, v11
.LBB46_138:
	global_store_byte v[6:7], v3, off
.LBB46_139:
	s_mov_b64 s[40:41], -1
.LBB46_140:
	s_mov_b64 s[42:43], 0
.LBB46_141:
	s_and_b64 vcc, exec, s[42:43]
	s_cbranch_vccz .LBB46_163
; %bb.142:
	v_mov_b32_e32 v3, 22
	v_cmp_gt_i16_sdwa s[44:45], s33, v3 src0_sel:BYTE_0 src1_sel:DWORD
	s_mov_b64 s[42:43], -1
	s_and_b64 vcc, exec, s[44:45]
	s_cbranch_vccz .LBB46_155
; %bb.143:
	v_mov_b32_e32 v3, 24
	v_cmp_lt_i16_sdwa s[42:43], s33, v3 src0_sel:BYTE_0 src1_sel:DWORD
	s_mov_b64 s[40:41], -1
	s_and_b64 vcc, exec, s[42:43]
	s_cbranch_vccnz .LBB46_152
; %bb.144:
	v_cmp_gt_i16_sdwa s[42:43], s33, v3 src0_sel:BYTE_0 src1_sel:DWORD
	s_and_b64 vcc, exec, s[42:43]
	s_cbranch_vccz .LBB46_149
; %bb.145:
	s_andn2_b64 vcc, exec, s[22:23]
	v_mov_b32_e32 v3, 0x80
	s_cbranch_vccnz .LBB46_148
; %bb.146:
	s_or_b64 s[40:41], s[0:1], s[24:25]
	s_andn2_b64 vcc, exec, s[40:41]
	v_mov_b32_e32 v3, 0
	s_cbranch_vccnz .LBB46_148
; %bb.147:
	v_mov_b32_e32 v3, s58
	v_cndmask_b32_e64 v3, v13, v3, s[0:1]
	v_or_b32_e32 v3, v3, v11
.LBB46_148:
	s_mov_b64 s[40:41], 0
	global_store_byte v[6:7], v3, off
.LBB46_149:
	s_and_b64 vcc, exec, s[40:41]
	s_cbranch_vccz .LBB46_151
; %bb.150:
	s_and_b64 s[40:41], s[20:21], exec
	s_cselect_b32 s42, s57, s56
	s_and_b64 s[40:41], s[18:19], exec
	s_cselect_b32 s40, s59, s42
	v_or_b32_e32 v3, s40, v11
	global_store_byte v[6:7], v3, off
.LBB46_151:
	s_mov_b64 s[40:41], 0
.LBB46_152:
	s_andn2_b64 vcc, exec, s[40:41]
	s_cbranch_vccnz .LBB46_154
; %bb.153:
	s_and_b64 s[40:41], s[16:17], exec
	s_cselect_b32 s42, s54, s53
	s_and_b64 s[40:41], s[14:15], exec
	s_cselect_b32 s40, s55, s42
	v_or_b32_e32 v3, s40, v11
	global_store_byte v[6:7], v3, off
.LBB46_154:
	s_mov_b64 s[42:43], 0
	s_mov_b64 s[40:41], -1
.LBB46_155:
	s_andn2_b64 vcc, exec, s[42:43]
	s_cbranch_vccnz .LBB46_163
; %bb.156:
	v_mov_b32_e32 v3, 14
	v_cmp_gt_i16_sdwa s[44:45], s33, v3 src0_sel:BYTE_0 src1_sel:DWORD
	s_mov_b64 s[42:43], -1
	s_and_b64 vcc, exec, s[44:45]
	s_cbranch_vccz .LBB46_160
; %bb.157:
	v_mov_b32_e32 v3, 15
	v_cmp_eq_u16_sdwa s[42:43], s33, v3 src0_sel:BYTE_0 src1_sel:DWORD
	s_mov_b64 s[36:37], -1
	s_and_b64 vcc, exec, s[42:43]
	s_cbranch_vccz .LBB46_159
; %bb.158:
	global_store_short v[6:7], v12, off
	s_mov_b64 s[40:41], -1
	s_mov_b64 s[36:37], 0
.LBB46_159:
	s_mov_b64 s[42:43], 0
.LBB46_160:
	s_and_b64 vcc, exec, s[42:43]
	s_cbranch_vccz .LBB46_163
; %bb.161:
	v_mov_b32_e32 v3, 11
	v_cmp_eq_u16_sdwa s[42:43], s33, v3 src0_sel:BYTE_0 src1_sel:DWORD
	s_mov_b64 s[36:37], -1
	s_and_b64 vcc, exec, s[42:43]
	s_cbranch_vccz .LBB46_163
; %bb.162:
	s_mov_b64 s[40:41], -1
	s_mov_b64 s[36:37], 0
	global_store_byte v[6:7], v10, off
.LBB46_163:
	s_branch .LBB46_113
.LBB46_164:
	v_mov_b32_e32 v3, 5
	v_cmp_lt_i16_sdwa s[42:43], s33, v3 src0_sel:BYTE_0 src1_sel:DWORD
	s_mov_b64 s[40:41], -1
	s_and_b64 vcc, exec, s[42:43]
	s_cbranch_vccnz .LBB46_185
; %bb.165:
	v_mov_b32_e32 v3, 8
	v_cmp_lt_i16_sdwa s[42:43], s33, v3 src0_sel:BYTE_0 src1_sel:DWORD
	s_and_b64 vcc, exec, s[42:43]
	s_cbranch_vccnz .LBB46_175
; %bb.166:
	v_mov_b32_e32 v3, 9
	v_cmp_lt_i16_sdwa s[42:43], s33, v3 src0_sel:BYTE_0 src1_sel:DWORD
	s_and_b64 vcc, exec, s[42:43]
	s_cbranch_vccnz .LBB46_172
; %bb.167:
	v_cmp_gt_i16_sdwa s[42:43], s33, v3 src0_sel:BYTE_0 src1_sel:DWORD
	s_and_b64 vcc, exec, s[42:43]
	s_cbranch_vccz .LBB46_169
; %bb.168:
	v_mov_b32_e32 v20, 0
	v_mov_b32_e32 v18, s8
	;; [unrolled: 1-line block ×4, first 2 shown]
	s_mov_b64 s[40:41], 0
	global_store_dwordx4 v[6:7], v[18:21], off
.LBB46_169:
	s_andn2_b64 vcc, exec, s[40:41]
	s_cbranch_vccnz .LBB46_171
; %bb.170:
	v_mov_b32_e32 v3, 0
	global_store_dwordx2 v[6:7], v[2:3], off
.LBB46_171:
	s_mov_b64 s[40:41], 0
.LBB46_172:
	s_andn2_b64 vcc, exec, s[40:41]
	s_cbranch_vccnz .LBB46_174
; %bb.173:
	global_store_dword v[6:7], v9, off
.LBB46_174:
	s_mov_b64 s[40:41], 0
.LBB46_175:
	s_andn2_b64 vcc, exec, s[40:41]
	s_cbranch_vccnz .LBB46_184
; %bb.176:
	v_mov_b32_e32 v3, 6
	v_cmp_lt_i16_sdwa s[42:43], s33, v3 src0_sel:BYTE_0 src1_sel:DWORD
	s_mov_b64 s[40:41], -1
	s_and_b64 vcc, exec, s[42:43]
	s_cbranch_vccnz .LBB46_182
; %bb.177:
	v_cmp_gt_i16_sdwa s[42:43], s33, v3 src0_sel:BYTE_0 src1_sel:DWORD
	s_and_b64 vcc, exec, s[42:43]
	s_cbranch_vccz .LBB46_179
; %bb.178:
	v_pk_mov_b32 v[18:19], s[8:9], s[8:9] op_sel:[0,1]
	s_mov_b64 s[40:41], 0
	global_store_dwordx2 v[6:7], v[18:19], off
.LBB46_179:
	s_andn2_b64 vcc, exec, s[40:41]
	s_cbranch_vccnz .LBB46_181
; %bb.180:
	global_store_dword v[6:7], v2, off
.LBB46_181:
	s_mov_b64 s[40:41], 0
.LBB46_182:
	s_andn2_b64 vcc, exec, s[40:41]
	s_cbranch_vccnz .LBB46_184
; %bb.183:
	global_store_short v[6:7], v9, off
.LBB46_184:
	s_mov_b64 s[40:41], 0
.LBB46_185:
	s_andn2_b64 vcc, exec, s[40:41]
	s_cbranch_vccnz .LBB46_201
; %bb.186:
	v_mov_b32_e32 v3, 2
	v_cmp_lt_i16_sdwa s[42:43], s33, v3 src0_sel:BYTE_0 src1_sel:DWORD
	s_mov_b64 s[40:41], -1
	s_and_b64 vcc, exec, s[42:43]
	s_cbranch_vccnz .LBB46_196
; %bb.187:
	v_mov_b32_e32 v3, 3
	v_cmp_lt_i16_sdwa s[42:43], s33, v3 src0_sel:BYTE_0 src1_sel:DWORD
	s_and_b64 vcc, exec, s[42:43]
	s_cbranch_vccnz .LBB46_193
; %bb.188:
	v_cmp_gt_i16_sdwa s[42:43], s33, v3 src0_sel:BYTE_0 src1_sel:DWORD
	s_and_b64 vcc, exec, s[42:43]
	s_cbranch_vccz .LBB46_190
; %bb.189:
	s_mov_b64 s[40:41], 0
	global_store_dwordx2 v[6:7], v[4:5], off
.LBB46_190:
	s_andn2_b64 vcc, exec, s[40:41]
	s_cbranch_vccnz .LBB46_192
; %bb.191:
	global_store_dword v[6:7], v8, off
.LBB46_192:
	s_mov_b64 s[40:41], 0
.LBB46_193:
	s_andn2_b64 vcc, exec, s[40:41]
	s_cbranch_vccnz .LBB46_195
; %bb.194:
	global_store_short v[6:7], v8, off
.LBB46_195:
	s_mov_b64 s[40:41], 0
.LBB46_196:
	s_andn2_b64 vcc, exec, s[40:41]
	s_cbranch_vccnz .LBB46_201
; %bb.197:
	v_mov_b32_e32 v3, 0
	v_cmp_gt_i16_sdwa s[42:43], s33, v3 src0_sel:BYTE_0 src1_sel:DWORD
	s_mov_b64 s[40:41], -1
	s_and_b64 vcc, exec, s[42:43]
	s_cbranch_vccz .LBB46_199
; %bb.198:
	s_mov_b64 s[40:41], 0
	global_store_byte v[6:7], v8, off
.LBB46_199:
	s_andn2_b64 vcc, exec, s[40:41]
	s_cbranch_vccnz .LBB46_201
; %bb.200:
	global_store_byte v[6:7], v0, off
.LBB46_201:
	s_branch .LBB46_114
.LBB46_202:
	s_mov_b64 s[40:41], 0
                                        ; implicit-def: $vgpr17
.LBB46_203:
	s_andn2_b64 s[42:43], s[30:31], exec
	s_and_b64 s[36:37], s[36:37], exec
	s_or_b64 s[36:37], s[42:43], s[36:37]
	s_orn2_b64 s[42:43], s[40:41], exec
.LBB46_204:
	s_or_b64 exec, exec, s[38:39]
	s_mov_b64 s[44:45], 0
	s_mov_b64 s[40:41], 0
                                        ; implicit-def: $vgpr18
                                        ; implicit-def: $vgpr6_vgpr7
	s_and_saveexec_b64 s[38:39], s[42:43]
	s_cbranch_execz .LBB46_363
; %bb.205:
	v_cmp_gt_i32_e32 vcc, s48, v17
	s_mov_b64 s[46:47], -1
	s_mov_b64 s[42:43], s[36:37]
	s_and_saveexec_b64 s[40:41], vcc
	s_cbranch_execz .LBB46_306
; %bb.206:
	v_mul_lo_u32 v3, v17, s52
	v_ashrrev_i32_e32 v7, 31, v3
	v_mov_b32_e32 v18, s11
	v_add_co_u32_e32 v6, vcc, s10, v3
	v_mov_b32_e32 v3, 11
	v_addc_co_u32_e32 v7, vcc, v18, v7, vcc
	v_cmp_lt_i16_sdwa s[42:43], s33, v3 src0_sel:BYTE_0 src1_sel:DWORD
	s_and_b64 vcc, exec, s[42:43]
	s_cbranch_vccnz .LBB46_213
; %bb.207:
	v_mov_b32_e32 v3, 25
	v_cmp_gt_i16_sdwa s[42:43], s33, v3 src0_sel:BYTE_0 src1_sel:DWORD
	s_and_b64 vcc, exec, s[42:43]
	s_cbranch_vccz .LBB46_214
; %bb.208:
	v_mov_b32_e32 v3, 28
	v_cmp_gt_i16_sdwa s[42:43], s33, v3 src0_sel:BYTE_0 src1_sel:DWORD
	s_and_b64 vcc, exec, s[42:43]
	s_cbranch_vccz .LBB46_215
	;; [unrolled: 5-line block ×4, first 2 shown]
; %bb.211:
	v_mov_b32_e32 v3, 46
	v_cmp_eq_u16_sdwa s[44:45], s33, v3 src0_sel:BYTE_0 src1_sel:DWORD
	s_mov_b64 s[46:47], 0
	s_mov_b64 s[42:43], -1
	s_and_b64 vcc, exec, s[44:45]
	s_mov_b64 s[44:45], 0
	s_cbranch_vccz .LBB46_218
; %bb.212:
	global_store_dword v[6:7], v12, off
	s_mov_b64 s[44:45], -1
	s_mov_b64 s[42:43], 0
	s_branch .LBB46_218
.LBB46_213:
	s_mov_b64 s[42:43], s[36:37]
	s_branch .LBB46_263
.LBB46_214:
	s_mov_b64 s[42:43], s[36:37]
	s_branch .LBB46_240
.LBB46_215:
	s_mov_b64 s[42:43], s[36:37]
	s_branch .LBB46_226
.LBB46_216:
	s_mov_b64 s[42:43], s[36:37]
	s_branch .LBB46_222
.LBB46_217:
	s_mov_b64 s[42:43], s[36:37]
.LBB46_218:
	s_and_b64 vcc, exec, s[46:47]
	s_cbranch_vccz .LBB46_221
; %bb.219:
	v_mov_b32_e32 v3, 44
	v_cmp_eq_u16_sdwa s[46:47], s33, v3 src0_sel:BYTE_0 src1_sel:DWORD
	s_mov_b64 s[42:43], -1
	s_and_b64 vcc, exec, s[46:47]
	s_cbranch_vccz .LBB46_221
; %bb.220:
	v_mov_b32_e32 v3, 0xff
	v_cndmask_b32_e64 v3, v16, v3, s[4:5]
	s_mov_b64 s[44:45], -1
	s_mov_b64 s[42:43], 0
	global_store_byte v[6:7], v3, off
.LBB46_221:
	s_mov_b64 s[46:47], 0
.LBB46_222:
	s_and_b64 vcc, exec, s[46:47]
	s_cbranch_vccz .LBB46_225
; %bb.223:
	v_mov_b32_e32 v3, 29
	v_cmp_eq_u16_sdwa s[46:47], s33, v3 src0_sel:BYTE_0 src1_sel:DWORD
	s_mov_b64 s[42:43], -1
	s_and_b64 vcc, exec, s[46:47]
	s_cbranch_vccz .LBB46_225
; %bb.224:
	global_store_dwordx2 v[6:7], v[0:1], off
	s_mov_b64 s[44:45], -1
	s_mov_b64 s[42:43], 0
.LBB46_225:
	s_mov_b64 s[46:47], 0
.LBB46_226:
	s_and_b64 vcc, exec, s[46:47]
	s_cbranch_vccz .LBB46_239
; %bb.227:
	v_mov_b32_e32 v3, 27
	v_cmp_lt_i16_sdwa s[46:47], s33, v3 src0_sel:BYTE_0 src1_sel:DWORD
	s_mov_b64 s[44:45], -1
	s_and_b64 vcc, exec, s[46:47]
	s_cbranch_vccnz .LBB46_233
; %bb.228:
	v_cmp_gt_i16_sdwa s[46:47], s33, v3 src0_sel:BYTE_0 src1_sel:DWORD
	s_and_b64 vcc, exec, s[46:47]
	s_cbranch_vccz .LBB46_230
; %bb.229:
	s_mov_b64 s[44:45], 0
	global_store_dword v[6:7], v15, off
.LBB46_230:
	s_andn2_b64 vcc, exec, s[44:45]
	s_cbranch_vccnz .LBB46_232
; %bb.231:
	global_store_short v[6:7], v15, off
.LBB46_232:
	s_mov_b64 s[44:45], 0
.LBB46_233:
	s_andn2_b64 vcc, exec, s[44:45]
	s_cbranch_vccnz .LBB46_238
; %bb.234:
	s_andn2_b64 vcc, exec, s[26:27]
	v_mov_b32_e32 v3, 0x80
	s_cbranch_vccnz .LBB46_237
; %bb.235:
	s_or_b64 s[44:45], s[2:3], s[28:29]
	s_andn2_b64 vcc, exec, s[44:45]
	v_mov_b32_e32 v3, 0
	s_cbranch_vccnz .LBB46_237
; %bb.236:
	v_mov_b32_e32 v3, s60
	v_cndmask_b32_e64 v3, v14, v3, s[2:3]
	v_or_b32_e32 v3, v3, v11
.LBB46_237:
	global_store_byte v[6:7], v3, off
.LBB46_238:
	s_mov_b64 s[44:45], -1
.LBB46_239:
	s_mov_b64 s[46:47], 0
.LBB46_240:
	s_and_b64 vcc, exec, s[46:47]
	s_cbranch_vccz .LBB46_262
; %bb.241:
	v_mov_b32_e32 v3, 22
	v_cmp_gt_i16_sdwa s[50:51], s33, v3 src0_sel:BYTE_0 src1_sel:DWORD
	s_mov_b64 s[46:47], -1
	s_and_b64 vcc, exec, s[50:51]
	s_cbranch_vccz .LBB46_254
; %bb.242:
	v_mov_b32_e32 v3, 24
	v_cmp_lt_i16_sdwa s[46:47], s33, v3 src0_sel:BYTE_0 src1_sel:DWORD
	s_mov_b64 s[44:45], -1
	s_and_b64 vcc, exec, s[46:47]
	s_cbranch_vccnz .LBB46_251
; %bb.243:
	v_cmp_gt_i16_sdwa s[46:47], s33, v3 src0_sel:BYTE_0 src1_sel:DWORD
	s_and_b64 vcc, exec, s[46:47]
	s_cbranch_vccz .LBB46_248
; %bb.244:
	s_andn2_b64 vcc, exec, s[22:23]
	v_mov_b32_e32 v3, 0x80
	s_cbranch_vccnz .LBB46_247
; %bb.245:
	s_or_b64 s[44:45], s[0:1], s[24:25]
	s_andn2_b64 vcc, exec, s[44:45]
	v_mov_b32_e32 v3, 0
	s_cbranch_vccnz .LBB46_247
; %bb.246:
	v_mov_b32_e32 v3, s58
	v_cndmask_b32_e64 v3, v13, v3, s[0:1]
	v_or_b32_e32 v3, v3, v11
.LBB46_247:
	s_mov_b64 s[44:45], 0
	global_store_byte v[6:7], v3, off
.LBB46_248:
	s_and_b64 vcc, exec, s[44:45]
	s_cbranch_vccz .LBB46_250
; %bb.249:
	s_and_b64 s[44:45], s[20:21], exec
	s_cselect_b32 s46, s57, s56
	s_and_b64 s[44:45], s[18:19], exec
	s_cselect_b32 s44, s59, s46
	v_or_b32_e32 v3, s44, v11
	global_store_byte v[6:7], v3, off
.LBB46_250:
	s_mov_b64 s[44:45], 0
.LBB46_251:
	s_andn2_b64 vcc, exec, s[44:45]
	s_cbranch_vccnz .LBB46_253
; %bb.252:
	s_and_b64 s[44:45], s[16:17], exec
	s_cselect_b32 s46, s54, s53
	s_and_b64 s[44:45], s[14:15], exec
	s_cselect_b32 s44, s55, s46
	v_or_b32_e32 v3, s44, v11
	global_store_byte v[6:7], v3, off
.LBB46_253:
	s_mov_b64 s[46:47], 0
	s_mov_b64 s[44:45], -1
.LBB46_254:
	s_andn2_b64 vcc, exec, s[46:47]
	s_cbranch_vccnz .LBB46_262
; %bb.255:
	v_mov_b32_e32 v3, 14
	v_cmp_gt_i16_sdwa s[50:51], s33, v3 src0_sel:BYTE_0 src1_sel:DWORD
	s_mov_b64 s[46:47], -1
	s_and_b64 vcc, exec, s[50:51]
	s_cbranch_vccz .LBB46_259
; %bb.256:
	v_mov_b32_e32 v3, 15
	v_cmp_eq_u16_sdwa s[46:47], s33, v3 src0_sel:BYTE_0 src1_sel:DWORD
	s_mov_b64 s[42:43], -1
	s_and_b64 vcc, exec, s[46:47]
	s_cbranch_vccz .LBB46_258
; %bb.257:
	global_store_short v[6:7], v12, off
	s_mov_b64 s[44:45], -1
	s_mov_b64 s[42:43], 0
.LBB46_258:
	s_mov_b64 s[46:47], 0
.LBB46_259:
	s_and_b64 vcc, exec, s[46:47]
	s_cbranch_vccz .LBB46_262
; %bb.260:
	v_mov_b32_e32 v3, 11
	v_cmp_eq_u16_sdwa s[46:47], s33, v3 src0_sel:BYTE_0 src1_sel:DWORD
	s_mov_b64 s[42:43], -1
	s_and_b64 vcc, exec, s[46:47]
	s_cbranch_vccz .LBB46_262
; %bb.261:
	s_mov_b64 s[44:45], -1
	s_mov_b64 s[42:43], 0
	global_store_byte v[6:7], v10, off
.LBB46_262:
	s_mov_b64 s[46:47], 0
.LBB46_263:
	s_and_b64 vcc, exec, s[46:47]
	s_cbranch_vccz .LBB46_302
; %bb.264:
	v_mov_b32_e32 v3, 5
	v_cmp_lt_i16_sdwa s[46:47], s33, v3 src0_sel:BYTE_0 src1_sel:DWORD
	s_mov_b64 s[44:45], -1
	s_and_b64 vcc, exec, s[46:47]
	s_cbranch_vccnz .LBB46_285
; %bb.265:
	v_mov_b32_e32 v3, 8
	v_cmp_lt_i16_sdwa s[46:47], s33, v3 src0_sel:BYTE_0 src1_sel:DWORD
	s_and_b64 vcc, exec, s[46:47]
	s_cbranch_vccnz .LBB46_275
; %bb.266:
	v_mov_b32_e32 v3, 9
	v_cmp_lt_i16_sdwa s[46:47], s33, v3 src0_sel:BYTE_0 src1_sel:DWORD
	s_and_b64 vcc, exec, s[46:47]
	s_cbranch_vccnz .LBB46_272
; %bb.267:
	v_cmp_gt_i16_sdwa s[46:47], s33, v3 src0_sel:BYTE_0 src1_sel:DWORD
	s_and_b64 vcc, exec, s[46:47]
	s_cbranch_vccz .LBB46_269
; %bb.268:
	v_mov_b32_e32 v20, 0
	v_mov_b32_e32 v18, s8
	;; [unrolled: 1-line block ×4, first 2 shown]
	s_mov_b64 s[44:45], 0
	global_store_dwordx4 v[6:7], v[18:21], off
.LBB46_269:
	s_andn2_b64 vcc, exec, s[44:45]
	s_cbranch_vccnz .LBB46_271
; %bb.270:
	v_mov_b32_e32 v3, 0
	global_store_dwordx2 v[6:7], v[2:3], off
.LBB46_271:
	s_mov_b64 s[44:45], 0
.LBB46_272:
	s_andn2_b64 vcc, exec, s[44:45]
	s_cbranch_vccnz .LBB46_274
; %bb.273:
	global_store_dword v[6:7], v9, off
.LBB46_274:
	s_mov_b64 s[44:45], 0
.LBB46_275:
	s_andn2_b64 vcc, exec, s[44:45]
	s_cbranch_vccnz .LBB46_284
; %bb.276:
	v_mov_b32_e32 v3, 6
	v_cmp_lt_i16_sdwa s[46:47], s33, v3 src0_sel:BYTE_0 src1_sel:DWORD
	s_mov_b64 s[44:45], -1
	s_and_b64 vcc, exec, s[46:47]
	s_cbranch_vccnz .LBB46_282
; %bb.277:
	v_cmp_gt_i16_sdwa s[46:47], s33, v3 src0_sel:BYTE_0 src1_sel:DWORD
	s_and_b64 vcc, exec, s[46:47]
	s_cbranch_vccz .LBB46_279
; %bb.278:
	v_pk_mov_b32 v[18:19], s[8:9], s[8:9] op_sel:[0,1]
	s_mov_b64 s[44:45], 0
	global_store_dwordx2 v[6:7], v[18:19], off
.LBB46_279:
	s_andn2_b64 vcc, exec, s[44:45]
	s_cbranch_vccnz .LBB46_281
; %bb.280:
	global_store_dword v[6:7], v2, off
.LBB46_281:
	s_mov_b64 s[44:45], 0
.LBB46_282:
	s_andn2_b64 vcc, exec, s[44:45]
	s_cbranch_vccnz .LBB46_284
; %bb.283:
	global_store_short v[6:7], v9, off
.LBB46_284:
	s_mov_b64 s[44:45], 0
.LBB46_285:
	s_andn2_b64 vcc, exec, s[44:45]
	s_cbranch_vccnz .LBB46_301
; %bb.286:
	v_mov_b32_e32 v3, 2
	v_cmp_lt_i16_sdwa s[46:47], s33, v3 src0_sel:BYTE_0 src1_sel:DWORD
	s_mov_b64 s[44:45], -1
	s_and_b64 vcc, exec, s[46:47]
	s_cbranch_vccnz .LBB46_296
; %bb.287:
	v_mov_b32_e32 v3, 3
	v_cmp_lt_i16_sdwa s[46:47], s33, v3 src0_sel:BYTE_0 src1_sel:DWORD
	s_and_b64 vcc, exec, s[46:47]
	s_cbranch_vccnz .LBB46_293
; %bb.288:
	v_cmp_gt_i16_sdwa s[46:47], s33, v3 src0_sel:BYTE_0 src1_sel:DWORD
	s_and_b64 vcc, exec, s[46:47]
	s_cbranch_vccz .LBB46_290
; %bb.289:
	s_mov_b64 s[44:45], 0
	global_store_dwordx2 v[6:7], v[4:5], off
.LBB46_290:
	s_andn2_b64 vcc, exec, s[44:45]
	s_cbranch_vccnz .LBB46_292
; %bb.291:
	global_store_dword v[6:7], v8, off
.LBB46_292:
	s_mov_b64 s[44:45], 0
.LBB46_293:
	s_andn2_b64 vcc, exec, s[44:45]
	s_cbranch_vccnz .LBB46_295
; %bb.294:
	global_store_short v[6:7], v8, off
.LBB46_295:
	s_mov_b64 s[44:45], 0
.LBB46_296:
	s_andn2_b64 vcc, exec, s[44:45]
	s_cbranch_vccnz .LBB46_301
; %bb.297:
	v_mov_b32_e32 v3, 0
	v_cmp_gt_i16_sdwa s[46:47], s33, v3 src0_sel:BYTE_0 src1_sel:DWORD
	s_mov_b64 s[44:45], -1
	s_and_b64 vcc, exec, s[46:47]
	s_cbranch_vccz .LBB46_299
; %bb.298:
	s_mov_b64 s[44:45], 0
	global_store_byte v[6:7], v8, off
.LBB46_299:
	s_andn2_b64 vcc, exec, s[44:45]
	s_cbranch_vccnz .LBB46_301
; %bb.300:
	global_store_byte v[6:7], v0, off
.LBB46_301:
	s_mov_b64 s[44:45], -1
.LBB46_302:
	s_andn2_b64 vcc, exec, s[44:45]
	s_cbranch_vccnz .LBB46_304
; %bb.303:
	v_add_u32_e32 v17, 0x80, v17
	s_mov_b64 s[44:45], -1
	s_branch .LBB46_305
.LBB46_304:
	s_mov_b64 s[44:45], 0
                                        ; implicit-def: $vgpr17
.LBB46_305:
	s_andn2_b64 s[46:47], s[36:37], exec
	s_and_b64 s[42:43], s[42:43], exec
	s_or_b64 s[42:43], s[46:47], s[42:43]
	s_orn2_b64 s[46:47], s[44:45], exec
.LBB46_306:
	s_or_b64 exec, exec, s[40:41]
	s_mov_b64 s[44:45], 0
	s_mov_b64 s[50:51], 0
                                        ; implicit-def: $vgpr18
                                        ; implicit-def: $vgpr6_vgpr7
	s_and_saveexec_b64 s[40:41], s[46:47]
	s_cbranch_execz .LBB46_362
; %bb.307:
	v_cmp_gt_i32_e32 vcc, s48, v17
	s_mov_b64 s[48:49], 0
	s_mov_b64 s[46:47], s[42:43]
                                        ; implicit-def: $vgpr18
                                        ; implicit-def: $vgpr6_vgpr7
	s_and_saveexec_b64 s[44:45], vcc
	s_cbranch_execz .LBB46_361
; %bb.308:
	v_mul_lo_u32 v3, v17, s52
	v_ashrrev_i32_e32 v7, 31, v3
	v_mov_b32_e32 v17, s11
	v_add_co_u32_e32 v6, vcc, s10, v3
	v_mov_b32_e32 v3, 0xff
	v_addc_co_u32_e32 v7, vcc, v17, v7, vcc
	v_and_b32_e32 v18, s33, v3
	v_cmp_gt_i16_e32 vcc, 11, v18
	s_cbranch_vccnz .LBB46_358
; %bb.309:
	v_cmp_lt_i16_e32 vcc, 25, v18
	s_mov_b64 s[48:49], -1
	s_mov_b64 s[46:47], s[42:43]
	s_cbranch_vccz .LBB46_337
; %bb.310:
	v_cmp_lt_i16_e32 vcc, 28, v18
	s_mov_b64 s[46:47], s[42:43]
	s_cbranch_vccz .LBB46_324
; %bb.311:
	v_cmp_lt_i16_e32 vcc, 43, v18
	;; [unrolled: 4-line block ×3, first 2 shown]
	s_mov_b64 s[46:47], s[42:43]
	s_cbranch_vccz .LBB46_316
; %bb.313:
	v_cmp_eq_u16_e32 vcc, 46, v18
	s_mov_b64 s[46:47], -1
	s_cbranch_vccz .LBB46_315
; %bb.314:
	global_store_dword v[6:7], v12, off
	s_mov_b64 s[46:47], 0
.LBB46_315:
	s_mov_b64 s[48:49], 0
.LBB46_316:
	s_and_b64 vcc, exec, s[48:49]
	s_cbranch_vccz .LBB46_319
; %bb.317:
	v_cmp_eq_u16_e32 vcc, 44, v18
	s_mov_b64 s[46:47], -1
	s_cbranch_vccz .LBB46_319
; %bb.318:
	v_mov_b32_e32 v3, 0xff
	v_cndmask_b32_e64 v3, v16, v3, s[4:5]
	global_store_byte v[6:7], v3, off
	s_mov_b64 s[46:47], 0
.LBB46_319:
	s_mov_b64 s[48:49], 0
.LBB46_320:
	s_and_b64 vcc, exec, s[48:49]
	s_cbranch_vccz .LBB46_323
; %bb.321:
	v_cmp_eq_u16_e32 vcc, 29, v18
	s_mov_b64 s[46:47], -1
	s_cbranch_vccz .LBB46_323
; %bb.322:
	global_store_dwordx2 v[6:7], v[0:1], off
	s_mov_b64 s[46:47], 0
.LBB46_323:
	s_mov_b64 s[48:49], 0
.LBB46_324:
	s_and_b64 vcc, exec, s[48:49]
	s_cbranch_vccz .LBB46_336
; %bb.325:
	v_cmp_gt_i16_e32 vcc, 27, v18
	s_mov_b64 s[4:5], -1
	s_cbranch_vccnz .LBB46_331
; %bb.326:
	v_cmp_lt_i16_e32 vcc, 27, v18
	s_cbranch_vccz .LBB46_328
; %bb.327:
	s_mov_b64 s[4:5], 0
	global_store_dword v[6:7], v15, off
.LBB46_328:
	s_andn2_b64 vcc, exec, s[4:5]
	s_cbranch_vccnz .LBB46_330
; %bb.329:
	global_store_short v[6:7], v15, off
.LBB46_330:
	s_mov_b64 s[4:5], 0
.LBB46_331:
	s_andn2_b64 vcc, exec, s[4:5]
	s_cbranch_vccnz .LBB46_336
; %bb.332:
	s_andn2_b64 vcc, exec, s[26:27]
	v_mov_b32_e32 v1, 0x80
	s_cbranch_vccnz .LBB46_335
; %bb.333:
	s_or_b64 s[4:5], s[2:3], s[28:29]
	s_andn2_b64 vcc, exec, s[4:5]
	v_mov_b32_e32 v1, 0
	s_cbranch_vccnz .LBB46_335
; %bb.334:
	v_mov_b32_e32 v1, s60
	v_cndmask_b32_e64 v1, v14, v1, s[2:3]
	v_or_b32_e32 v1, v1, v11
.LBB46_335:
	global_store_byte v[6:7], v1, off
.LBB46_336:
	s_mov_b64 s[48:49], 0
.LBB46_337:
	s_mov_b64 s[2:3], 0
	s_and_b64 vcc, exec, s[48:49]
	s_cbranch_vccz .LBB46_359
; %bb.338:
	v_cmp_lt_i16_e32 vcc, 22, v18
	s_mov_b64 s[4:5], -1
	s_cbranch_vccz .LBB46_351
; %bb.339:
	v_cmp_gt_i16_e32 vcc, 24, v18
	s_cbranch_vccnz .LBB46_348
; %bb.340:
	v_cmp_lt_i16_e32 vcc, 24, v18
	s_cbranch_vccz .LBB46_345
; %bb.341:
	s_andn2_b64 vcc, exec, s[22:23]
	v_mov_b32_e32 v1, 0x80
	s_cbranch_vccnz .LBB46_344
; %bb.342:
	s_or_b64 s[4:5], s[0:1], s[24:25]
	s_andn2_b64 vcc, exec, s[4:5]
	v_mov_b32_e32 v1, 0
	s_cbranch_vccnz .LBB46_344
; %bb.343:
	v_mov_b32_e32 v1, s58
	v_cndmask_b32_e64 v1, v13, v1, s[0:1]
	v_or_b32_e32 v1, v1, v11
.LBB46_344:
	s_mov_b64 s[4:5], 0
	global_store_byte v[6:7], v1, off
.LBB46_345:
	s_and_b64 vcc, exec, s[4:5]
	s_cbranch_vccz .LBB46_347
; %bb.346:
	s_and_b64 s[0:1], s[20:21], exec
	s_cselect_b32 s4, s57, s56
	s_and_b64 s[0:1], s[18:19], exec
	s_cselect_b32 s0, s59, s4
	v_or_b32_e32 v1, s0, v11
	global_store_byte v[6:7], v1, off
.LBB46_347:
	s_mov_b64 s[4:5], 0
.LBB46_348:
	s_andn2_b64 vcc, exec, s[4:5]
	s_cbranch_vccnz .LBB46_350
; %bb.349:
	s_and_b64 s[0:1], s[16:17], exec
	s_cselect_b32 s4, s54, s53
	s_and_b64 s[0:1], s[14:15], exec
	s_cselect_b32 s0, s55, s4
	v_or_b32_e32 v1, s0, v11
	global_store_byte v[6:7], v1, off
.LBB46_350:
	s_mov_b64 s[4:5], 0
.LBB46_351:
	s_andn2_b64 vcc, exec, s[4:5]
	s_mov_b64 s[0:1], 0
	s_cbranch_vccnz .LBB46_360
; %bb.352:
	v_cmp_lt_i16_e32 vcc, 14, v18
	s_mov_b64 s[4:5], -1
	s_cbranch_vccz .LBB46_356
; %bb.353:
	v_cmp_eq_u16_e32 vcc, 15, v18
	s_mov_b64 s[46:47], -1
	s_cbranch_vccz .LBB46_355
; %bb.354:
	global_store_short v[6:7], v12, off
	s_mov_b64 s[46:47], 0
.LBB46_355:
	s_mov_b64 s[4:5], 0
.LBB46_356:
	s_and_b64 vcc, exec, s[4:5]
	s_cbranch_vccz .LBB46_360
; %bb.357:
	v_cmp_ne_u16_e32 vcc, 11, v18
	s_andn2_b64 s[4:5], s[46:47], exec
	s_and_b64 s[14:15], vcc, exec
	s_mov_b64 s[0:1], -1
	s_or_b64 s[46:47], s[4:5], s[14:15]
	s_branch .LBB46_360
.LBB46_358:
	s_mov_b64 s[0:1], 0
	s_mov_b64 s[2:3], -1
	s_mov_b64 s[46:47], s[42:43]
	s_branch .LBB46_360
.LBB46_359:
	s_mov_b64 s[0:1], 0
.LBB46_360:
	s_and_b64 s[50:51], s[2:3], exec
	s_and_b64 s[48:49], s[0:1], exec
	s_andn2_b64 s[0:1], s[42:43], exec
	s_and_b64 s[2:3], s[46:47], exec
	s_or_b64 s[46:47], s[0:1], s[2:3]
.LBB46_361:
	s_or_b64 exec, exec, s[44:45]
	s_andn2_b64 s[0:1], s[42:43], exec
	s_and_b64 s[2:3], s[46:47], exec
	s_and_b64 s[50:51], s[50:51], exec
	;; [unrolled: 1-line block ×3, first 2 shown]
	s_or_b64 s[42:43], s[0:1], s[2:3]
.LBB46_362:
	s_or_b64 exec, exec, s[40:41]
	s_andn2_b64 s[0:1], s[36:37], exec
	s_and_b64 s[2:3], s[42:43], exec
	s_and_b64 s[40:41], s[50:51], exec
	;; [unrolled: 1-line block ×3, first 2 shown]
	s_or_b64 s[36:37], s[0:1], s[2:3]
.LBB46_363:
	s_or_b64 exec, exec, s[38:39]
	s_andn2_b64 s[0:1], s[30:31], exec
	s_and_b64 s[2:3], s[36:37], exec
	s_and_b64 s[40:41], s[40:41], exec
	;; [unrolled: 1-line block ×3, first 2 shown]
	s_or_b64 s[30:31], s[0:1], s[2:3]
	s_or_b64 exec, exec, s[34:35]
	s_mov_b64 s[0:1], 0
	s_and_saveexec_b64 s[2:3], s[30:31]
	s_cbranch_execz .LBB46_110
.LBB46_364:
	s_mov_b64 s[0:1], exec
	s_andn2_b64 s[38:39], s[38:39], exec
	s_trap 2
	s_or_b64 exec, exec, s[2:3]
	s_and_saveexec_b64 s[2:3], s[38:39]
	s_xor_b64 s[2:3], exec, s[2:3]
	s_cbranch_execnz .LBB46_111
.LBB46_365:
	s_or_b64 exec, exec, s[2:3]
	s_and_saveexec_b64 s[2:3], s[40:41]
	s_xor_b64 s[2:3], exec, s[2:3]
	s_cbranch_execz .LBB46_403
.LBB46_366:
	v_cmp_gt_i16_e32 vcc, 5, v18
	s_mov_b64 s[4:5], -1
	s_cbranch_vccnz .LBB46_387
; %bb.367:
	v_cmp_gt_i16_e32 vcc, 8, v18
	s_cbranch_vccnz .LBB46_377
; %bb.368:
	v_cmp_gt_i16_e32 vcc, 9, v18
	s_cbranch_vccnz .LBB46_374
; %bb.369:
	v_cmp_lt_i16_e32 vcc, 9, v18
	s_cbranch_vccz .LBB46_371
; %bb.370:
	v_mov_b32_e32 v12, 0
	v_mov_b32_e32 v10, s8
	;; [unrolled: 1-line block ×4, first 2 shown]
	s_mov_b64 s[4:5], 0
	global_store_dwordx4 v[6:7], v[10:13], off
.LBB46_371:
	s_andn2_b64 vcc, exec, s[4:5]
	s_cbranch_vccnz .LBB46_373
; %bb.372:
	v_mov_b32_e32 v3, 0
	global_store_dwordx2 v[6:7], v[2:3], off
.LBB46_373:
	s_mov_b64 s[4:5], 0
.LBB46_374:
	s_andn2_b64 vcc, exec, s[4:5]
	s_cbranch_vccnz .LBB46_376
; %bb.375:
	global_store_dword v[6:7], v9, off
.LBB46_376:
	s_mov_b64 s[4:5], 0
.LBB46_377:
	s_andn2_b64 vcc, exec, s[4:5]
	s_cbranch_vccnz .LBB46_386
; %bb.378:
	v_cmp_gt_i16_e32 vcc, 6, v18
	s_mov_b64 s[4:5], -1
	s_cbranch_vccnz .LBB46_384
; %bb.379:
	v_cmp_lt_i16_e32 vcc, 6, v18
	s_cbranch_vccz .LBB46_381
; %bb.380:
	v_pk_mov_b32 v[10:11], s[8:9], s[8:9] op_sel:[0,1]
	s_mov_b64 s[4:5], 0
	global_store_dwordx2 v[6:7], v[10:11], off
.LBB46_381:
	s_andn2_b64 vcc, exec, s[4:5]
	s_cbranch_vccnz .LBB46_383
; %bb.382:
	global_store_dword v[6:7], v2, off
.LBB46_383:
	s_mov_b64 s[4:5], 0
.LBB46_384:
	s_andn2_b64 vcc, exec, s[4:5]
	s_cbranch_vccnz .LBB46_386
; %bb.385:
	global_store_short v[6:7], v9, off
.LBB46_386:
	s_mov_b64 s[4:5], 0
.LBB46_387:
	s_andn2_b64 vcc, exec, s[4:5]
	s_cbranch_vccnz .LBB46_403
; %bb.388:
	v_cmp_gt_i16_e32 vcc, 2, v18
	s_mov_b64 s[4:5], -1
	s_cbranch_vccnz .LBB46_398
; %bb.389:
	v_cmp_gt_i16_e32 vcc, 3, v18
	s_cbranch_vccnz .LBB46_395
; %bb.390:
	v_cmp_lt_i16_e32 vcc, 3, v18
	s_cbranch_vccz .LBB46_392
; %bb.391:
	s_mov_b64 s[4:5], 0
	global_store_dwordx2 v[6:7], v[4:5], off
.LBB46_392:
	s_andn2_b64 vcc, exec, s[4:5]
	s_cbranch_vccnz .LBB46_394
; %bb.393:
	global_store_dword v[6:7], v8, off
.LBB46_394:
	s_mov_b64 s[4:5], 0
.LBB46_395:
	s_andn2_b64 vcc, exec, s[4:5]
	s_cbranch_vccnz .LBB46_397
; %bb.396:
	global_store_short v[6:7], v8, off
.LBB46_397:
	s_mov_b64 s[4:5], 0
.LBB46_398:
	s_andn2_b64 vcc, exec, s[4:5]
	s_cbranch_vccnz .LBB46_403
; %bb.399:
	v_cmp_lt_i16_e32 vcc, 0, v18
	s_mov_b64 s[4:5], -1
	s_cbranch_vccz .LBB46_401
; %bb.400:
	s_mov_b64 s[4:5], 0
	global_store_byte v[6:7], v8, off
.LBB46_401:
	s_andn2_b64 vcc, exec, s[4:5]
	s_cbranch_vccnz .LBB46_403
; %bb.402:
	global_store_byte v[6:7], v0, off
.LBB46_403:
	s_or_b64 exec, exec, s[2:3]
	s_and_b64 s[0:1], s[0:1], exec
                                        ; implicit-def: $vgpr17
.LBB46_404:
	s_or_saveexec_b64 s[2:3], s[12:13]
	s_mov_b64 s[12:13], 0
                                        ; implicit-def: $vgpr2
                                        ; implicit-def: $vgpr0_vgpr1
	s_xor_b64 exec, exec, s[2:3]
	s_cbranch_execz .LBB46_412
; %bb.405:
	v_mul_lo_u32 v2, s52, v17
	v_ashrrev_i32_e32 v1, 31, v2
	v_mov_b32_e32 v3, s11
	v_add_co_u32_e32 v0, vcc, s10, v2
	v_addc_co_u32_e32 v1, vcc, v3, v1, vcc
	v_mov_b32_e32 v3, 11
	v_cmp_lt_i16_sdwa s[4:5], s33, v3 src0_sel:BYTE_0 src1_sel:DWORD
	s_and_b64 vcc, exec, s[4:5]
	s_cbranch_vccnz .LBB46_415
; %bb.406:
	v_mov_b32_e32 v3, 25
	v_cmp_gt_i16_sdwa s[4:5], s33, v3 src0_sel:BYTE_0 src1_sel:DWORD
	s_mov_b64 s[14:15], -1
	s_and_b64 vcc, exec, s[4:5]
	s_mov_b64 s[4:5], 0
	s_cbranch_vccz .LBB46_447
; %bb.407:
	v_mov_b32_e32 v3, 28
	v_cmp_gt_i16_sdwa s[4:5], s33, v3 src0_sel:BYTE_0 src1_sel:DWORD
	s_and_b64 vcc, exec, s[4:5]
	s_cbranch_vccz .LBB46_417
; %bb.408:
	v_mov_b32_e32 v3, 43
	v_cmp_gt_i16_sdwa s[4:5], s33, v3 src0_sel:BYTE_0 src1_sel:DWORD
	s_and_b64 vcc, exec, s[4:5]
	;; [unrolled: 5-line block ×3, first 2 shown]
	s_cbranch_vccz .LBB46_419
; %bb.410:
	v_mov_b32_e32 v3, 46
	v_cmp_eq_u16_sdwa s[12:13], s33, v3 src0_sel:BYTE_0 src1_sel:DWORD
	s_mov_b64 s[4:5], -1
	s_mov_b64 s[14:15], 0
	s_and_b64 vcc, exec, s[12:13]
	s_mov_b64 s[12:13], 0
	s_cbranch_vccz .LBB46_420
; %bb.411:
	v_cvt_f32_f64_e32 v3, s[8:9]
	v_bfe_u32 v4, v3, 16, 1
	v_add_u32_e32 v4, v3, v4
	v_add_u32_e32 v4, 0x7fff, v4
	v_lshrrev_b32_e32 v4, 16, v4
	v_mov_b32_e32 v5, 0x7fc0
	v_cmp_o_f32_e32 vcc, v3, v3
	v_cndmask_b32_e32 v3, v5, v4, vcc
	global_store_dword v[0:1], v3, off
	s_mov_b64 s[4:5], 0
	s_mov_b64 s[12:13], -1
	s_branch .LBB46_420
.LBB46_412:
	s_or_b64 exec, exec, s[2:3]
	s_and_saveexec_b64 s[2:3], s[0:1]
	s_cbranch_execz .LBB46_841
.LBB46_413:
	; divergent unreachable
	s_or_b64 exec, exec, s[2:3]
	s_and_saveexec_b64 s[0:1], s[6:7]
	s_xor_b64 s[0:1], exec, s[0:1]
	s_cbranch_execnz .LBB46_842
.LBB46_414:
	s_or_b64 exec, exec, s[0:1]
	s_and_saveexec_b64 s[0:1], s[12:13]
	s_cbranch_execnz .LBB46_843
	s_branch .LBB46_880
.LBB46_415:
	s_mov_b64 s[4:5], s[0:1]
	s_cbranch_execnz .LBB46_497
.LBB46_416:
	s_andn2_b64 vcc, exec, s[12:13]
	s_cbranch_vccz .LBB46_535
	s_branch .LBB46_839
.LBB46_417:
	s_mov_b64 s[4:5], 0
	s_and_b64 vcc, exec, s[14:15]
	s_cbranch_vccz .LBB46_446
	s_branch .LBB46_429
.LBB46_418:
	s_mov_b64 s[4:5], 0
	s_and_b64 vcc, exec, s[14:15]
	s_cbranch_vccnz .LBB46_426
	s_branch .LBB46_428
.LBB46_419:
	s_mov_b64 s[4:5], 0
.LBB46_420:
	s_and_b64 vcc, exec, s[14:15]
	s_cbranch_vccz .LBB46_425
; %bb.421:
	v_mov_b32_e32 v3, 44
	v_cmp_eq_u16_sdwa s[14:15], s33, v3 src0_sel:BYTE_0 src1_sel:DWORD
	s_mov_b64 s[4:5], -1
	s_and_b64 vcc, exec, s[14:15]
	s_cbranch_vccz .LBB46_425
; %bb.422:
	v_cvt_f32_f64_e32 v3, s[8:9]
	v_readfirstlane_b32 s4, v3
	s_bfe_u32 s5, s4, 0x80017
	s_cmpk_eq_i32 s5, 0xff
	v_mov_b32_e32 v4, 0xff
	s_cbranch_scc1 .LBB46_424
; %bb.423:
	s_bitcmp1_b32 s4, 22
	s_cselect_b64 s[12:13], -1, 0
	s_and_b32 s4, s4, 0x3fffff
	s_or_b32 s4, s5, s4
	s_cmp_lg_u32 s4, 0
	s_cselect_b64 s[4:5], -1, 0
	s_and_b64 s[4:5], s[12:13], s[4:5]
	v_lshrrev_b32_e32 v3, 23, v3
	v_cndmask_b32_e64 v4, 0, 1, s[4:5]
	v_add_u32_e32 v4, v3, v4
.LBB46_424:
	s_mov_b64 s[4:5], 0
	s_mov_b64 s[12:13], -1
	global_store_byte v[0:1], v4, off
.LBB46_425:
	s_branch .LBB46_428
.LBB46_426:
	v_mov_b32_e32 v3, 29
	v_cmp_eq_u16_sdwa s[14:15], s33, v3 src0_sel:BYTE_0 src1_sel:DWORD
	s_mov_b64 s[4:5], -1
	s_and_b64 vcc, exec, s[14:15]
	s_cbranch_vccz .LBB46_428
; %bb.427:
	v_trunc_f64_e32 v[4:5], s[8:9]
	s_movk_i32 s4, 0xffe0
	v_ldexp_f64 v[6:7], v[4:5], s4
	v_floor_f64_e32 v[6:7], v[6:7]
	v_fmac_f64_e32 v[4:5], 0xc1f00000, v[6:7]
	v_cvt_u32_f64_e32 v9, v[6:7]
	v_cvt_u32_f64_e32 v8, v[4:5]
	global_store_dwordx2 v[0:1], v[8:9], off
	s_mov_b64 s[4:5], 0
	s_mov_b64 s[12:13], -1
.LBB46_428:
	s_branch .LBB46_446
.LBB46_429:
	v_mov_b32_e32 v3, 27
	v_cmp_lt_i16_sdwa s[14:15], s33, v3 src0_sel:BYTE_0 src1_sel:DWORD
	s_mov_b64 s[12:13], -1
	s_and_b64 vcc, exec, s[14:15]
	s_cbranch_vccnz .LBB46_435
; %bb.430:
	v_cmp_gt_i16_sdwa s[14:15], s33, v3 src0_sel:BYTE_0 src1_sel:DWORD
	s_and_b64 vcc, exec, s[14:15]
	s_cbranch_vccz .LBB46_432
; %bb.431:
	v_cvt_u32_f64_e32 v3, s[8:9]
	s_mov_b64 s[12:13], 0
	global_store_dword v[0:1], v3, off
.LBB46_432:
	s_andn2_b64 vcc, exec, s[12:13]
	s_cbranch_vccnz .LBB46_434
; %bb.433:
	v_cvt_u32_f64_e32 v3, s[8:9]
	global_store_short v[0:1], v3, off
.LBB46_434:
	s_mov_b64 s[12:13], 0
.LBB46_435:
	s_andn2_b64 vcc, exec, s[12:13]
	s_cbranch_vccnz .LBB46_445
; %bb.436:
	v_cvt_f32_f64_e32 v3, s[8:9]
	v_readfirstlane_b32 s16, v3
	s_and_b32 s12, s16, 0x7fffffff
	s_cmp_gt_u32 s12, 0x437fffff
	v_mov_b32_e32 v4, 0x80
	s_cbranch_scc1 .LBB46_444
; %bb.437:
	s_cmp_gt_u32 s12, 0x3bffffff
	s_cbranch_scc0 .LBB46_439
; %bb.438:
	s_bfe_u32 s12, s16, 0x10014
	s_add_i32 s12, s16, s12
	s_add_i32 s12, s12, 0x487ffff
	s_lshr_b32 s17, s12, 20
	s_mov_b64 s[14:15], 0
	s_mov_b64 s[12:13], -1
	s_branch .LBB46_440
.LBB46_439:
	s_mov_b64 s[14:15], -1
	s_mov_b64 s[12:13], 0
                                        ; implicit-def: $sgpr17
.LBB46_440:
	s_andn2_b64 vcc, exec, s[14:15]
	v_mov_b32_e32 v3, s17
                                        ; implicit-def: $sgpr14
	s_cbranch_vccnz .LBB46_442
; %bb.441:
	v_mov_b32_e32 v3, 0x46000000
	v_add_f32_e64 v3, |s16|, v3
	v_and_b32_e32 v3, 0xff, v3
	s_mov_b32 s14, 0
	v_cmp_ne_u32_e64 s[12:13], 0, v3
.LBB46_442:
	s_andn2_b64 vcc, exec, s[12:13]
	v_mov_b32_e32 v4, s14
	s_cbranch_vccnz .LBB46_444
; %bb.443:
	s_lshr_b32 s12, s16, 24
	s_and_b32 s12, s12, 0x80
	v_or_b32_e32 v4, s12, v3
.LBB46_444:
	global_store_byte v[0:1], v4, off
.LBB46_445:
	s_mov_b64 s[12:13], -1
.LBB46_446:
	s_mov_b64 s[14:15], 0
.LBB46_447:
	s_and_b64 vcc, exec, s[14:15]
	s_cbranch_vccz .LBB46_493
; %bb.448:
	v_mov_b32_e32 v3, 22
	v_cmp_gt_i16_sdwa s[14:15], s33, v3 src0_sel:BYTE_0 src1_sel:DWORD
	s_mov_b64 s[6:7], -1
	s_and_b64 vcc, exec, s[14:15]
	s_cbranch_vccz .LBB46_486
; %bb.449:
	v_mov_b32_e32 v3, 24
	v_cmp_lt_i16_sdwa s[12:13], s33, v3 src0_sel:BYTE_0 src1_sel:DWORD
	s_and_b64 vcc, exec, s[12:13]
	s_cbranch_vccnz .LBB46_473
; %bb.450:
	v_cmp_gt_i16_sdwa s[12:13], s33, v3 src0_sel:BYTE_0 src1_sel:DWORD
	s_and_b64 vcc, exec, s[12:13]
	s_cbranch_vccz .LBB46_460
; %bb.451:
	v_cvt_f32_f64_e32 v3, s[8:9]
	v_readfirstlane_b32 s14, v3
	s_and_b32 s6, s14, 0x7fffffff
	s_cmp_gt_u32 s6, 0x477fffff
	v_mov_b32_e32 v4, 0x80
	s_cbranch_scc1 .LBB46_459
; %bb.452:
	s_cmp_gt_u32 s6, 0x37ffffff
	s_cbranch_scc0 .LBB46_454
; %bb.453:
	s_bfe_u32 s6, s14, 0x10015
	s_add_i32 s6, s14, s6
	s_add_i32 s6, s6, 0x88fffff
	s_lshr_b32 s15, s6, 21
	s_mov_b64 s[12:13], 0
	s_mov_b64 s[6:7], -1
	s_branch .LBB46_455
.LBB46_454:
	s_mov_b64 s[12:13], -1
	s_mov_b64 s[6:7], 0
                                        ; implicit-def: $sgpr15
.LBB46_455:
	s_andn2_b64 vcc, exec, s[12:13]
	v_mov_b32_e32 v3, s15
                                        ; implicit-def: $sgpr12
	s_cbranch_vccnz .LBB46_457
; %bb.456:
	v_mov_b32_e32 v3, 0x42800000
	v_add_f32_e64 v3, |s14|, v3
	v_and_b32_e32 v3, 0xff, v3
	s_mov_b32 s12, 0
	v_cmp_ne_u32_e64 s[6:7], 0, v3
.LBB46_457:
	s_andn2_b64 vcc, exec, s[6:7]
	v_mov_b32_e32 v4, s12
	s_cbranch_vccnz .LBB46_459
; %bb.458:
	s_lshr_b32 s6, s14, 24
	s_and_b32 s6, s6, 0x80
	v_or_b32_e32 v4, s6, v3
.LBB46_459:
	s_mov_b64 s[6:7], 0
	global_store_byte v[0:1], v4, off
.LBB46_460:
	s_and_b64 vcc, exec, s[6:7]
	s_cbranch_vccz .LBB46_472
; %bb.461:
	v_cvt_f32_f64_e32 v3, s[8:9]
	v_readfirstlane_b32 s12, v3
	s_and_b32 s13, s12, 0x7fffffff
	s_cmp_lt_u32 s13, 0x43f00000
	s_cbranch_scc0 .LBB46_464
; %bb.462:
	s_cmp_gt_u32 s13, 0x3c7fffff
	s_cbranch_scc0 .LBB46_465
; %bb.463:
	s_bfe_u32 s6, s12, 0x10014
	s_add_i32 s6, s12, s6
	s_add_i32 s6, s6, 0x407ffff
	s_lshr_b32 s7, s6, 20
	s_and_b32 s6, s6, 0xff00000
	s_cmp_lg_u32 s6, 0x7f00000
	s_cselect_b32 s14, s7, 0x7e
	s_mov_b64 s[6:7], 0
	s_branch .LBB46_466
.LBB46_464:
	s_mov_b64 s[6:7], -1
                                        ; implicit-def: $vgpr4
	s_branch .LBB46_469
.LBB46_465:
	s_mov_b64 s[6:7], -1
                                        ; implicit-def: $sgpr14
.LBB46_466:
	s_andn2_b64 vcc, exec, s[6:7]
	v_mov_b32_e32 v4, s14
	s_cbranch_vccnz .LBB46_468
; %bb.467:
	s_mov_b32 s6, 0x46800000
	v_add_f32_e64 v4, |v3|, s6
.LBB46_468:
	s_mov_b64 s[6:7], 0
.LBB46_469:
	s_andn2_b64 vcc, exec, s[6:7]
	s_cbranch_vccnz .LBB46_471
; %bb.470:
	s_cmp_gt_u32 s13, 0x7f800000
	s_movk_i32 s6, 0x7f
	s_cselect_b32 s6, s6, 0x7e
	v_mov_b32_e32 v4, s6
.LBB46_471:
	s_lshr_b32 s6, s12, 24
	s_and_b32 s6, s6, 0x80
	v_or_b32_e32 v3, s6, v4
	global_store_byte v[0:1], v3, off
.LBB46_472:
	s_mov_b64 s[6:7], 0
.LBB46_473:
	s_andn2_b64 vcc, exec, s[6:7]
	s_cbranch_vccnz .LBB46_485
; %bb.474:
	v_cvt_f32_f64_e32 v3, s[8:9]
	v_readfirstlane_b32 s12, v3
	s_and_b32 s13, s12, 0x7fffffff
	s_cmp_lt_u32 s13, 0x47800000
	s_cbranch_scc0 .LBB46_477
; %bb.475:
	s_cmp_gt_u32 s13, 0x387fffff
	s_cbranch_scc0 .LBB46_478
; %bb.476:
	s_bfe_u32 s6, s12, 0x10015
	s_add_i32 s6, s12, s6
	s_add_i32 s6, s6, 0x80fffff
	s_lshr_b32 s14, s6, 21
	s_mov_b64 s[6:7], 0
	s_branch .LBB46_479
.LBB46_477:
	s_mov_b64 s[6:7], -1
                                        ; implicit-def: $vgpr4
	s_branch .LBB46_482
.LBB46_478:
	s_mov_b64 s[6:7], -1
                                        ; implicit-def: $sgpr14
.LBB46_479:
	s_andn2_b64 vcc, exec, s[6:7]
	v_mov_b32_e32 v4, s14
	s_cbranch_vccnz .LBB46_481
; %bb.480:
	s_mov_b32 s6, 0x43000000
	v_add_f32_e64 v4, |v3|, s6
.LBB46_481:
	s_mov_b64 s[6:7], 0
.LBB46_482:
	s_andn2_b64 vcc, exec, s[6:7]
	s_cbranch_vccnz .LBB46_484
; %bb.483:
	s_cmp_gt_u32 s13, 0x7f800000
	s_movk_i32 s6, 0x7f
	s_cselect_b32 s6, s6, 0x7c
	v_mov_b32_e32 v4, s6
.LBB46_484:
	s_lshr_b32 s6, s12, 24
	s_and_b32 s6, s6, 0x80
	v_or_b32_e32 v3, s6, v4
	global_store_byte v[0:1], v3, off
.LBB46_485:
	s_mov_b64 s[6:7], 0
	s_mov_b64 s[12:13], -1
.LBB46_486:
	s_andn2_b64 vcc, exec, s[6:7]
	s_mov_b64 s[6:7], 0
	s_cbranch_vccnz .LBB46_493
; %bb.487:
	v_mov_b32_e32 v3, 14
	v_cmp_gt_i16_sdwa s[6:7], s33, v3 src0_sel:BYTE_0 src1_sel:DWORD
	s_mov_b64 s[14:15], -1
	s_and_b64 vcc, exec, s[6:7]
	s_cbranch_vccz .LBB46_491
; %bb.488:
	v_mov_b32_e32 v3, 15
	v_cmp_eq_u16_sdwa s[6:7], s33, v3 src0_sel:BYTE_0 src1_sel:DWORD
	s_mov_b64 s[4:5], -1
	s_and_b64 vcc, exec, s[6:7]
	s_cbranch_vccz .LBB46_490
; %bb.489:
	v_cvt_f32_f64_e32 v3, s[8:9]
	v_bfe_u32 v4, v3, 16, 1
	v_add_u32_e32 v4, v3, v4
	v_add_u32_e32 v4, 0x7fff, v4
	v_lshrrev_b32_e32 v4, 16, v4
	v_mov_b32_e32 v5, 0x7fc0
	v_cmp_o_f32_e32 vcc, v3, v3
	v_cndmask_b32_e32 v3, v5, v4, vcc
	global_store_short v[0:1], v3, off
	s_mov_b64 s[4:5], 0
	s_mov_b64 s[12:13], -1
.LBB46_490:
	s_mov_b64 s[14:15], 0
.LBB46_491:
	s_mov_b64 s[6:7], 0
	s_and_b64 vcc, exec, s[14:15]
	s_cbranch_vccz .LBB46_493
; %bb.492:
	v_mov_b32_e32 v3, 11
	v_cmp_ne_u16_sdwa s[4:5], s33, v3 src0_sel:BYTE_0 src1_sel:DWORD
	s_mov_b64 s[6:7], -1
.LBB46_493:
	s_and_b64 vcc, exec, s[4:5]
	s_mov_b64 s[4:5], s[0:1]
	s_cbranch_vccnz .LBB46_546
; %bb.494:
	s_andn2_b64 vcc, exec, s[6:7]
	s_cbranch_vccnz .LBB46_496
.LBB46_495:
	v_cmp_neq_f64_e64 s[6:7], s[8:9], 0
	v_cndmask_b32_e64 v3, 0, 1, s[6:7]
	s_mov_b64 s[12:13], -1
	global_store_byte v[0:1], v3, off
.LBB46_496:
	s_branch .LBB46_416
.LBB46_497:
	v_mov_b32_e32 v3, 5
	v_cmp_lt_i16_sdwa s[12:13], s33, v3 src0_sel:BYTE_0 src1_sel:DWORD
	s_mov_b64 s[6:7], -1
	s_and_b64 vcc, exec, s[12:13]
	s_cbranch_vccnz .LBB46_518
; %bb.498:
	v_mov_b32_e32 v3, 8
	v_cmp_lt_i16_sdwa s[12:13], s33, v3 src0_sel:BYTE_0 src1_sel:DWORD
	s_and_b64 vcc, exec, s[12:13]
	s_cbranch_vccnz .LBB46_508
; %bb.499:
	v_mov_b32_e32 v3, 9
	v_cmp_lt_i16_sdwa s[12:13], s33, v3 src0_sel:BYTE_0 src1_sel:DWORD
	s_and_b64 vcc, exec, s[12:13]
	s_cbranch_vccnz .LBB46_505
; %bb.500:
	v_cmp_gt_i16_sdwa s[12:13], s33, v3 src0_sel:BYTE_0 src1_sel:DWORD
	s_and_b64 vcc, exec, s[12:13]
	s_cbranch_vccz .LBB46_502
; %bb.501:
	v_mov_b32_e32 v6, 0
	v_mov_b32_e32 v4, s8
	;; [unrolled: 1-line block ×4, first 2 shown]
	global_store_dwordx4 v[0:1], v[4:7], off
	s_mov_b64 s[6:7], 0
.LBB46_502:
	s_andn2_b64 vcc, exec, s[6:7]
	s_cbranch_vccnz .LBB46_504
; %bb.503:
	v_cvt_f32_f64_e32 v4, s[8:9]
	v_mov_b32_e32 v5, 0
	global_store_dwordx2 v[0:1], v[4:5], off
.LBB46_504:
	s_mov_b64 s[6:7], 0
.LBB46_505:
	s_andn2_b64 vcc, exec, s[6:7]
	s_cbranch_vccnz .LBB46_507
; %bb.506:
	v_cvt_f32_f64_e32 v3, s[8:9]
	v_cvt_f16_f32_e32 v3, v3
	global_store_dword v[0:1], v3, off
.LBB46_507:
	s_mov_b64 s[6:7], 0
.LBB46_508:
	s_andn2_b64 vcc, exec, s[6:7]
	s_cbranch_vccnz .LBB46_517
; %bb.509:
	v_mov_b32_e32 v3, 6
	v_cmp_lt_i16_sdwa s[12:13], s33, v3 src0_sel:BYTE_0 src1_sel:DWORD
	s_mov_b64 s[6:7], -1
	s_and_b64 vcc, exec, s[12:13]
	s_cbranch_vccnz .LBB46_515
; %bb.510:
	v_cmp_gt_i16_sdwa s[12:13], s33, v3 src0_sel:BYTE_0 src1_sel:DWORD
	s_and_b64 vcc, exec, s[12:13]
	s_cbranch_vccz .LBB46_512
; %bb.511:
	v_pk_mov_b32 v[4:5], s[8:9], s[8:9] op_sel:[0,1]
	global_store_dwordx2 v[0:1], v[4:5], off
	s_mov_b64 s[6:7], 0
.LBB46_512:
	s_andn2_b64 vcc, exec, s[6:7]
	s_cbranch_vccnz .LBB46_514
; %bb.513:
	v_cvt_f32_f64_e32 v3, s[8:9]
	global_store_dword v[0:1], v3, off
.LBB46_514:
	s_mov_b64 s[6:7], 0
.LBB46_515:
	s_andn2_b64 vcc, exec, s[6:7]
	s_cbranch_vccnz .LBB46_517
; %bb.516:
	v_cvt_f32_f64_e32 v3, s[8:9]
	v_cvt_f16_f32_e32 v3, v3
	global_store_short v[0:1], v3, off
.LBB46_517:
	s_mov_b64 s[6:7], 0
.LBB46_518:
	s_andn2_b64 vcc, exec, s[6:7]
	s_cbranch_vccnz .LBB46_534
; %bb.519:
	v_mov_b32_e32 v3, 2
	v_cmp_lt_i16_sdwa s[12:13], s33, v3 src0_sel:BYTE_0 src1_sel:DWORD
	s_mov_b64 s[6:7], -1
	s_and_b64 vcc, exec, s[12:13]
	s_cbranch_vccnz .LBB46_529
; %bb.520:
	v_mov_b32_e32 v3, 3
	v_cmp_lt_i16_sdwa s[12:13], s33, v3 src0_sel:BYTE_0 src1_sel:DWORD
	s_and_b64 vcc, exec, s[12:13]
	s_cbranch_vccnz .LBB46_526
; %bb.521:
	v_cmp_gt_i16_sdwa s[12:13], s33, v3 src0_sel:BYTE_0 src1_sel:DWORD
	s_and_b64 vcc, exec, s[12:13]
	s_cbranch_vccz .LBB46_523
; %bb.522:
	v_trunc_f64_e32 v[4:5], s[8:9]
	s_movk_i32 s6, 0xffe0
	v_ldexp_f64 v[6:7], v[4:5], s6
	v_floor_f64_e32 v[6:7], v[6:7]
	v_fmac_f64_e32 v[4:5], 0xc1f00000, v[6:7]
	v_cvt_i32_f64_e32 v9, v[6:7]
	v_cvt_u32_f64_e32 v8, v[4:5]
	global_store_dwordx2 v[0:1], v[8:9], off
	s_mov_b64 s[6:7], 0
.LBB46_523:
	s_andn2_b64 vcc, exec, s[6:7]
	s_cbranch_vccnz .LBB46_525
; %bb.524:
	v_cvt_i32_f64_e32 v3, s[8:9]
	global_store_dword v[0:1], v3, off
.LBB46_525:
	s_mov_b64 s[6:7], 0
.LBB46_526:
	s_andn2_b64 vcc, exec, s[6:7]
	s_cbranch_vccnz .LBB46_528
; %bb.527:
	v_cvt_i32_f64_e32 v3, s[8:9]
	global_store_short v[0:1], v3, off
.LBB46_528:
	s_mov_b64 s[6:7], 0
.LBB46_529:
	s_andn2_b64 vcc, exec, s[6:7]
	s_cbranch_vccnz .LBB46_534
; %bb.530:
	v_mov_b32_e32 v3, 0
	v_cmp_gt_i16_sdwa s[12:13], s33, v3 src0_sel:BYTE_0 src1_sel:DWORD
	s_mov_b64 s[6:7], -1
	s_and_b64 vcc, exec, s[12:13]
	s_cbranch_vccz .LBB46_532
; %bb.531:
	v_cvt_i32_f64_e32 v3, s[8:9]
	global_store_byte v[0:1], v3, off
	s_mov_b64 s[6:7], 0
.LBB46_532:
	s_andn2_b64 vcc, exec, s[6:7]
	s_cbranch_vccnz .LBB46_534
; %bb.533:
	v_trunc_f64_e32 v[4:5], s[8:9]
	s_movk_i32 s6, 0xffe0
	v_ldexp_f64 v[6:7], v[4:5], s6
	v_floor_f64_e32 v[6:7], v[6:7]
	v_fmac_f64_e32 v[4:5], 0xc1f00000, v[6:7]
	v_cvt_u32_f64_e32 v3, v[4:5]
	global_store_byte v[0:1], v3, off
.LBB46_534:
.LBB46_535:
	s_lshl_b32 s18, s52, 7
	v_add_u32_e32 v2, s18, v2
	v_ashrrev_i32_e32 v1, 31, v2
	v_mov_b32_e32 v3, s11
	v_add_co_u32_e32 v0, vcc, s10, v2
	v_addc_co_u32_e32 v1, vcc, v3, v1, vcc
	v_mov_b32_e32 v3, 11
	v_cmp_lt_i16_sdwa s[6:7], s33, v3 src0_sel:BYTE_0 src1_sel:DWORD
	s_and_b64 vcc, exec, s[6:7]
	s_cbranch_vccnz .LBB46_542
; %bb.536:
	v_mov_b32_e32 v3, 25
	v_cmp_gt_i16_sdwa s[6:7], s33, v3 src0_sel:BYTE_0 src1_sel:DWORD
	s_mov_b64 s[16:17], -1
	s_mov_b64 s[12:13], 0
	s_and_b64 vcc, exec, s[6:7]
	s_mov_b64 s[14:15], 0
	s_mov_b64 s[6:7], 0
	s_cbranch_vccz .LBB46_577
; %bb.537:
	v_mov_b32_e32 v3, 28
	v_cmp_gt_i16_sdwa s[6:7], s33, v3 src0_sel:BYTE_0 src1_sel:DWORD
	s_and_b64 vcc, exec, s[6:7]
	s_cbranch_vccz .LBB46_544
; %bb.538:
	v_mov_b32_e32 v3, 43
	v_cmp_gt_i16_sdwa s[6:7], s33, v3 src0_sel:BYTE_0 src1_sel:DWORD
	s_and_b64 vcc, exec, s[6:7]
	;; [unrolled: 5-line block ×3, first 2 shown]
	s_cbranch_vccz .LBB46_547
; %bb.540:
	v_mov_b32_e32 v3, 46
	v_cmp_eq_u16_sdwa s[14:15], s33, v3 src0_sel:BYTE_0 src1_sel:DWORD
	s_mov_b64 s[6:7], -1
	s_mov_b64 s[16:17], 0
	s_and_b64 vcc, exec, s[14:15]
	s_mov_b64 s[14:15], 0
	s_cbranch_vccz .LBB46_548
; %bb.541:
	v_cvt_f32_f64_e32 v3, s[8:9]
	v_bfe_u32 v4, v3, 16, 1
	v_add_u32_e32 v4, v3, v4
	v_add_u32_e32 v4, 0x7fff, v4
	v_lshrrev_b32_e32 v4, 16, v4
	v_mov_b32_e32 v5, 0x7fc0
	v_cmp_o_f32_e32 vcc, v3, v3
	v_cndmask_b32_e32 v3, v5, v4, vcc
	global_store_dword v[0:1], v3, off
	s_mov_b64 s[6:7], 0
	s_mov_b64 s[14:15], -1
	s_branch .LBB46_548
.LBB46_542:
	s_mov_b64 s[14:15], 0
	s_cbranch_execnz .LBB46_627
.LBB46_543:
	s_andn2_b64 vcc, exec, s[14:15]
	s_cbranch_vccz .LBB46_665
	s_branch .LBB46_839
.LBB46_544:
	s_mov_b64 s[6:7], 0
	s_branch .LBB46_558
.LBB46_545:
	s_mov_b64 s[6:7], 0
	s_branch .LBB46_554
.LBB46_546:
	s_or_b64 s[4:5], s[0:1], exec
	s_trap 2
	s_cbranch_execz .LBB46_495
	s_branch .LBB46_496
.LBB46_547:
	s_mov_b64 s[6:7], 0
.LBB46_548:
	s_and_b64 vcc, exec, s[16:17]
	s_cbranch_vccz .LBB46_553
; %bb.549:
	v_mov_b32_e32 v3, 44
	v_cmp_eq_u16_sdwa s[16:17], s33, v3 src0_sel:BYTE_0 src1_sel:DWORD
	s_mov_b64 s[6:7], -1
	s_and_b64 vcc, exec, s[16:17]
	s_cbranch_vccz .LBB46_553
; %bb.550:
	v_cvt_f32_f64_e32 v3, s[8:9]
	v_readfirstlane_b32 s6, v3
	s_bfe_u32 s7, s6, 0x80017
	s_cmpk_eq_i32 s7, 0xff
	v_mov_b32_e32 v4, 0xff
	s_cbranch_scc1 .LBB46_552
; %bb.551:
	s_bitcmp1_b32 s6, 22
	s_cselect_b64 s[14:15], -1, 0
	s_and_b32 s6, s6, 0x3fffff
	s_or_b32 s6, s7, s6
	s_cmp_lg_u32 s6, 0
	s_cselect_b64 s[6:7], -1, 0
	s_and_b64 s[6:7], s[14:15], s[6:7]
	v_lshrrev_b32_e32 v3, 23, v3
	v_cndmask_b32_e64 v4, 0, 1, s[6:7]
	v_add_u32_e32 v4, v3, v4
.LBB46_552:
	s_mov_b64 s[6:7], 0
	s_mov_b64 s[14:15], -1
	global_store_byte v[0:1], v4, off
.LBB46_553:
	s_mov_b64 s[16:17], 0
.LBB46_554:
	s_and_b64 vcc, exec, s[16:17]
	s_cbranch_vccz .LBB46_557
; %bb.555:
	v_mov_b32_e32 v3, 29
	v_cmp_eq_u16_sdwa s[16:17], s33, v3 src0_sel:BYTE_0 src1_sel:DWORD
	s_mov_b64 s[6:7], -1
	s_and_b64 vcc, exec, s[16:17]
	s_cbranch_vccz .LBB46_557
; %bb.556:
	v_trunc_f64_e32 v[4:5], s[8:9]
	s_movk_i32 s6, 0xffe0
	v_ldexp_f64 v[6:7], v[4:5], s6
	v_floor_f64_e32 v[6:7], v[6:7]
	v_fmac_f64_e32 v[4:5], 0xc1f00000, v[6:7]
	v_cvt_u32_f64_e32 v9, v[6:7]
	v_cvt_u32_f64_e32 v8, v[4:5]
	global_store_dwordx2 v[0:1], v[8:9], off
	s_mov_b64 s[6:7], 0
	s_mov_b64 s[14:15], -1
.LBB46_557:
	s_mov_b64 s[16:17], 0
.LBB46_558:
	s_and_b64 vcc, exec, s[16:17]
	s_cbranch_vccz .LBB46_576
; %bb.559:
	v_mov_b32_e32 v3, 27
	v_cmp_lt_i16_sdwa s[16:17], s33, v3 src0_sel:BYTE_0 src1_sel:DWORD
	s_mov_b64 s[14:15], -1
	s_and_b64 vcc, exec, s[16:17]
	s_cbranch_vccnz .LBB46_565
; %bb.560:
	v_cmp_gt_i16_sdwa s[16:17], s33, v3 src0_sel:BYTE_0 src1_sel:DWORD
	s_and_b64 vcc, exec, s[16:17]
	s_cbranch_vccz .LBB46_562
; %bb.561:
	v_cvt_u32_f64_e32 v3, s[8:9]
	s_mov_b64 s[14:15], 0
	global_store_dword v[0:1], v3, off
.LBB46_562:
	s_andn2_b64 vcc, exec, s[14:15]
	s_cbranch_vccnz .LBB46_564
; %bb.563:
	v_cvt_u32_f64_e32 v3, s[8:9]
	global_store_short v[0:1], v3, off
.LBB46_564:
	s_mov_b64 s[14:15], 0
.LBB46_565:
	s_andn2_b64 vcc, exec, s[14:15]
	s_cbranch_vccnz .LBB46_575
; %bb.566:
	v_cvt_f32_f64_e32 v3, s[8:9]
	v_readfirstlane_b32 s19, v3
	s_and_b32 s14, s19, 0x7fffffff
	s_cmp_gt_u32 s14, 0x437fffff
	v_mov_b32_e32 v4, 0x80
	s_cbranch_scc1 .LBB46_574
; %bb.567:
	s_cmp_gt_u32 s14, 0x3bffffff
	s_cbranch_scc0 .LBB46_569
; %bb.568:
	s_bfe_u32 s14, s19, 0x10014
	s_add_i32 s14, s19, s14
	s_add_i32 s14, s14, 0x487ffff
	s_lshr_b32 s20, s14, 20
	s_mov_b64 s[16:17], 0
	s_mov_b64 s[14:15], -1
	s_branch .LBB46_570
.LBB46_569:
	s_mov_b64 s[16:17], -1
	s_mov_b64 s[14:15], 0
                                        ; implicit-def: $sgpr20
.LBB46_570:
	s_andn2_b64 vcc, exec, s[16:17]
	v_mov_b32_e32 v3, s20
                                        ; implicit-def: $sgpr16
	s_cbranch_vccnz .LBB46_572
; %bb.571:
	v_mov_b32_e32 v3, 0x46000000
	v_add_f32_e64 v3, |s19|, v3
	v_and_b32_e32 v3, 0xff, v3
	s_mov_b32 s16, 0
	v_cmp_ne_u32_e64 s[14:15], 0, v3
.LBB46_572:
	s_andn2_b64 vcc, exec, s[14:15]
	v_mov_b32_e32 v4, s16
	s_cbranch_vccnz .LBB46_574
; %bb.573:
	s_lshr_b32 s14, s19, 24
	s_and_b32 s14, s14, 0x80
	v_or_b32_e32 v4, s14, v3
.LBB46_574:
	global_store_byte v[0:1], v4, off
.LBB46_575:
	s_mov_b64 s[14:15], -1
.LBB46_576:
	s_mov_b64 s[16:17], 0
.LBB46_577:
	s_and_b64 vcc, exec, s[16:17]
	s_cbranch_vccz .LBB46_623
; %bb.578:
	v_mov_b32_e32 v3, 22
	v_cmp_gt_i16_sdwa s[16:17], s33, v3 src0_sel:BYTE_0 src1_sel:DWORD
	s_mov_b64 s[12:13], -1
	s_and_b64 vcc, exec, s[16:17]
	s_cbranch_vccz .LBB46_616
; %bb.579:
	v_mov_b32_e32 v3, 24
	v_cmp_lt_i16_sdwa s[14:15], s33, v3 src0_sel:BYTE_0 src1_sel:DWORD
	s_and_b64 vcc, exec, s[14:15]
	s_cbranch_vccnz .LBB46_603
; %bb.580:
	v_cmp_gt_i16_sdwa s[14:15], s33, v3 src0_sel:BYTE_0 src1_sel:DWORD
	s_and_b64 vcc, exec, s[14:15]
	s_cbranch_vccz .LBB46_590
; %bb.581:
	v_cvt_f32_f64_e32 v3, s[8:9]
	v_readfirstlane_b32 s16, v3
	s_and_b32 s12, s16, 0x7fffffff
	s_cmp_gt_u32 s12, 0x477fffff
	v_mov_b32_e32 v4, 0x80
	s_cbranch_scc1 .LBB46_589
; %bb.582:
	s_cmp_gt_u32 s12, 0x37ffffff
	s_cbranch_scc0 .LBB46_584
; %bb.583:
	s_bfe_u32 s12, s16, 0x10015
	s_add_i32 s12, s16, s12
	s_add_i32 s12, s12, 0x88fffff
	s_lshr_b32 s17, s12, 21
	s_mov_b64 s[14:15], 0
	s_mov_b64 s[12:13], -1
	s_branch .LBB46_585
.LBB46_584:
	s_mov_b64 s[14:15], -1
	s_mov_b64 s[12:13], 0
                                        ; implicit-def: $sgpr17
.LBB46_585:
	s_andn2_b64 vcc, exec, s[14:15]
	v_mov_b32_e32 v3, s17
                                        ; implicit-def: $sgpr14
	s_cbranch_vccnz .LBB46_587
; %bb.586:
	v_mov_b32_e32 v3, 0x42800000
	v_add_f32_e64 v3, |s16|, v3
	v_and_b32_e32 v3, 0xff, v3
	s_mov_b32 s14, 0
	v_cmp_ne_u32_e64 s[12:13], 0, v3
.LBB46_587:
	s_andn2_b64 vcc, exec, s[12:13]
	v_mov_b32_e32 v4, s14
	s_cbranch_vccnz .LBB46_589
; %bb.588:
	s_lshr_b32 s12, s16, 24
	s_and_b32 s12, s12, 0x80
	v_or_b32_e32 v4, s12, v3
.LBB46_589:
	s_mov_b64 s[12:13], 0
	global_store_byte v[0:1], v4, off
.LBB46_590:
	s_and_b64 vcc, exec, s[12:13]
	s_cbranch_vccz .LBB46_602
; %bb.591:
	v_cvt_f32_f64_e32 v3, s[8:9]
	v_readfirstlane_b32 s14, v3
	s_and_b32 s15, s14, 0x7fffffff
	s_cmp_lt_u32 s15, 0x43f00000
	s_cbranch_scc0 .LBB46_594
; %bb.592:
	s_cmp_gt_u32 s15, 0x3c7fffff
	s_cbranch_scc0 .LBB46_595
; %bb.593:
	s_bfe_u32 s12, s14, 0x10014
	s_add_i32 s12, s14, s12
	s_add_i32 s12, s12, 0x407ffff
	s_lshr_b32 s13, s12, 20
	s_and_b32 s12, s12, 0xff00000
	s_cmp_lg_u32 s12, 0x7f00000
	s_cselect_b32 s16, s13, 0x7e
	s_mov_b64 s[12:13], 0
	s_branch .LBB46_596
.LBB46_594:
	s_mov_b64 s[12:13], -1
                                        ; implicit-def: $vgpr4
	s_branch .LBB46_599
.LBB46_595:
	s_mov_b64 s[12:13], -1
                                        ; implicit-def: $sgpr16
.LBB46_596:
	s_andn2_b64 vcc, exec, s[12:13]
	v_mov_b32_e32 v4, s16
	s_cbranch_vccnz .LBB46_598
; %bb.597:
	s_mov_b32 s12, 0x46800000
	v_add_f32_e64 v4, |v3|, s12
.LBB46_598:
	s_mov_b64 s[12:13], 0
.LBB46_599:
	s_andn2_b64 vcc, exec, s[12:13]
	s_cbranch_vccnz .LBB46_601
; %bb.600:
	s_cmp_gt_u32 s15, 0x7f800000
	s_movk_i32 s12, 0x7f
	s_cselect_b32 s12, s12, 0x7e
	v_mov_b32_e32 v4, s12
.LBB46_601:
	s_lshr_b32 s12, s14, 24
	s_and_b32 s12, s12, 0x80
	v_or_b32_e32 v3, s12, v4
	global_store_byte v[0:1], v3, off
.LBB46_602:
	s_mov_b64 s[12:13], 0
.LBB46_603:
	s_andn2_b64 vcc, exec, s[12:13]
	s_cbranch_vccnz .LBB46_615
; %bb.604:
	v_cvt_f32_f64_e32 v3, s[8:9]
	v_readfirstlane_b32 s14, v3
	s_and_b32 s15, s14, 0x7fffffff
	s_cmp_lt_u32 s15, 0x47800000
	s_cbranch_scc0 .LBB46_607
; %bb.605:
	s_cmp_gt_u32 s15, 0x387fffff
	s_cbranch_scc0 .LBB46_608
; %bb.606:
	s_bfe_u32 s12, s14, 0x10015
	s_add_i32 s12, s14, s12
	s_add_i32 s12, s12, 0x80fffff
	s_lshr_b32 s16, s12, 21
	s_mov_b64 s[12:13], 0
	s_branch .LBB46_609
.LBB46_607:
	s_mov_b64 s[12:13], -1
                                        ; implicit-def: $vgpr4
	s_branch .LBB46_612
.LBB46_608:
	s_mov_b64 s[12:13], -1
                                        ; implicit-def: $sgpr16
.LBB46_609:
	s_andn2_b64 vcc, exec, s[12:13]
	v_mov_b32_e32 v4, s16
	s_cbranch_vccnz .LBB46_611
; %bb.610:
	s_mov_b32 s12, 0x43000000
	v_add_f32_e64 v4, |v3|, s12
.LBB46_611:
	s_mov_b64 s[12:13], 0
.LBB46_612:
	s_andn2_b64 vcc, exec, s[12:13]
	s_cbranch_vccnz .LBB46_614
; %bb.613:
	s_cmp_gt_u32 s15, 0x7f800000
	s_movk_i32 s12, 0x7f
	s_cselect_b32 s12, s12, 0x7c
	v_mov_b32_e32 v4, s12
.LBB46_614:
	s_lshr_b32 s12, s14, 24
	s_and_b32 s12, s12, 0x80
	v_or_b32_e32 v3, s12, v4
	global_store_byte v[0:1], v3, off
.LBB46_615:
	s_mov_b64 s[12:13], 0
	s_mov_b64 s[14:15], -1
.LBB46_616:
	s_andn2_b64 vcc, exec, s[12:13]
	s_mov_b64 s[12:13], 0
	s_cbranch_vccnz .LBB46_623
; %bb.617:
	v_mov_b32_e32 v3, 14
	v_cmp_gt_i16_sdwa s[12:13], s33, v3 src0_sel:BYTE_0 src1_sel:DWORD
	s_mov_b64 s[16:17], -1
	s_and_b64 vcc, exec, s[12:13]
	s_cbranch_vccz .LBB46_621
; %bb.618:
	v_mov_b32_e32 v3, 15
	v_cmp_eq_u16_sdwa s[12:13], s33, v3 src0_sel:BYTE_0 src1_sel:DWORD
	s_mov_b64 s[6:7], -1
	s_and_b64 vcc, exec, s[12:13]
	s_cbranch_vccz .LBB46_620
; %bb.619:
	v_cvt_f32_f64_e32 v3, s[8:9]
	v_bfe_u32 v4, v3, 16, 1
	v_add_u32_e32 v4, v3, v4
	v_add_u32_e32 v4, 0x7fff, v4
	v_lshrrev_b32_e32 v4, 16, v4
	v_mov_b32_e32 v5, 0x7fc0
	v_cmp_o_f32_e32 vcc, v3, v3
	v_cndmask_b32_e32 v3, v5, v4, vcc
	global_store_short v[0:1], v3, off
	s_mov_b64 s[6:7], 0
	s_mov_b64 s[14:15], -1
.LBB46_620:
	s_mov_b64 s[16:17], 0
.LBB46_621:
	s_mov_b64 s[12:13], 0
	s_and_b64 vcc, exec, s[16:17]
	s_cbranch_vccz .LBB46_623
; %bb.622:
	v_mov_b32_e32 v3, 11
	v_cmp_ne_u16_sdwa s[6:7], s33, v3 src0_sel:BYTE_0 src1_sel:DWORD
	s_mov_b64 s[12:13], -1
.LBB46_623:
	s_and_b64 vcc, exec, s[6:7]
	s_cbranch_vccnz .LBB46_706
; %bb.624:
	s_andn2_b64 vcc, exec, s[12:13]
	s_cbranch_vccnz .LBB46_626
.LBB46_625:
	v_cmp_neq_f64_e64 s[6:7], s[8:9], 0
	v_cndmask_b32_e64 v3, 0, 1, s[6:7]
	s_mov_b64 s[14:15], -1
	global_store_byte v[0:1], v3, off
.LBB46_626:
	s_branch .LBB46_543
.LBB46_627:
	v_mov_b32_e32 v3, 5
	v_cmp_lt_i16_sdwa s[12:13], s33, v3 src0_sel:BYTE_0 src1_sel:DWORD
	s_mov_b64 s[6:7], -1
	s_and_b64 vcc, exec, s[12:13]
	s_cbranch_vccnz .LBB46_648
; %bb.628:
	v_mov_b32_e32 v3, 8
	v_cmp_lt_i16_sdwa s[12:13], s33, v3 src0_sel:BYTE_0 src1_sel:DWORD
	s_and_b64 vcc, exec, s[12:13]
	s_cbranch_vccnz .LBB46_638
; %bb.629:
	v_mov_b32_e32 v3, 9
	v_cmp_lt_i16_sdwa s[12:13], s33, v3 src0_sel:BYTE_0 src1_sel:DWORD
	s_and_b64 vcc, exec, s[12:13]
	s_cbranch_vccnz .LBB46_635
; %bb.630:
	v_cmp_gt_i16_sdwa s[12:13], s33, v3 src0_sel:BYTE_0 src1_sel:DWORD
	s_and_b64 vcc, exec, s[12:13]
	s_cbranch_vccz .LBB46_632
; %bb.631:
	v_mov_b32_e32 v6, 0
	v_mov_b32_e32 v4, s8
	;; [unrolled: 1-line block ×4, first 2 shown]
	global_store_dwordx4 v[0:1], v[4:7], off
	s_mov_b64 s[6:7], 0
.LBB46_632:
	s_andn2_b64 vcc, exec, s[6:7]
	s_cbranch_vccnz .LBB46_634
; %bb.633:
	v_cvt_f32_f64_e32 v4, s[8:9]
	v_mov_b32_e32 v5, 0
	global_store_dwordx2 v[0:1], v[4:5], off
.LBB46_634:
	s_mov_b64 s[6:7], 0
.LBB46_635:
	s_andn2_b64 vcc, exec, s[6:7]
	s_cbranch_vccnz .LBB46_637
; %bb.636:
	v_cvt_f32_f64_e32 v3, s[8:9]
	v_cvt_f16_f32_e32 v3, v3
	global_store_dword v[0:1], v3, off
.LBB46_637:
	s_mov_b64 s[6:7], 0
.LBB46_638:
	s_andn2_b64 vcc, exec, s[6:7]
	s_cbranch_vccnz .LBB46_647
; %bb.639:
	v_mov_b32_e32 v3, 6
	v_cmp_lt_i16_sdwa s[12:13], s33, v3 src0_sel:BYTE_0 src1_sel:DWORD
	s_mov_b64 s[6:7], -1
	s_and_b64 vcc, exec, s[12:13]
	s_cbranch_vccnz .LBB46_645
; %bb.640:
	v_cmp_gt_i16_sdwa s[12:13], s33, v3 src0_sel:BYTE_0 src1_sel:DWORD
	s_and_b64 vcc, exec, s[12:13]
	s_cbranch_vccz .LBB46_642
; %bb.641:
	v_pk_mov_b32 v[4:5], s[8:9], s[8:9] op_sel:[0,1]
	global_store_dwordx2 v[0:1], v[4:5], off
	s_mov_b64 s[6:7], 0
.LBB46_642:
	s_andn2_b64 vcc, exec, s[6:7]
	s_cbranch_vccnz .LBB46_644
; %bb.643:
	v_cvt_f32_f64_e32 v3, s[8:9]
	global_store_dword v[0:1], v3, off
.LBB46_644:
	s_mov_b64 s[6:7], 0
.LBB46_645:
	s_andn2_b64 vcc, exec, s[6:7]
	s_cbranch_vccnz .LBB46_647
; %bb.646:
	v_cvt_f32_f64_e32 v3, s[8:9]
	v_cvt_f16_f32_e32 v3, v3
	global_store_short v[0:1], v3, off
.LBB46_647:
	s_mov_b64 s[6:7], 0
.LBB46_648:
	s_andn2_b64 vcc, exec, s[6:7]
	s_cbranch_vccnz .LBB46_664
; %bb.649:
	v_mov_b32_e32 v3, 2
	v_cmp_lt_i16_sdwa s[12:13], s33, v3 src0_sel:BYTE_0 src1_sel:DWORD
	s_mov_b64 s[6:7], -1
	s_and_b64 vcc, exec, s[12:13]
	s_cbranch_vccnz .LBB46_659
; %bb.650:
	v_mov_b32_e32 v3, 3
	v_cmp_lt_i16_sdwa s[12:13], s33, v3 src0_sel:BYTE_0 src1_sel:DWORD
	s_and_b64 vcc, exec, s[12:13]
	s_cbranch_vccnz .LBB46_656
; %bb.651:
	v_cmp_gt_i16_sdwa s[12:13], s33, v3 src0_sel:BYTE_0 src1_sel:DWORD
	s_and_b64 vcc, exec, s[12:13]
	s_cbranch_vccz .LBB46_653
; %bb.652:
	v_trunc_f64_e32 v[4:5], s[8:9]
	s_movk_i32 s6, 0xffe0
	v_ldexp_f64 v[6:7], v[4:5], s6
	v_floor_f64_e32 v[6:7], v[6:7]
	v_fmac_f64_e32 v[4:5], 0xc1f00000, v[6:7]
	v_cvt_i32_f64_e32 v9, v[6:7]
	v_cvt_u32_f64_e32 v8, v[4:5]
	global_store_dwordx2 v[0:1], v[8:9], off
	s_mov_b64 s[6:7], 0
.LBB46_653:
	s_andn2_b64 vcc, exec, s[6:7]
	s_cbranch_vccnz .LBB46_655
; %bb.654:
	v_cvt_i32_f64_e32 v3, s[8:9]
	global_store_dword v[0:1], v3, off
.LBB46_655:
	s_mov_b64 s[6:7], 0
.LBB46_656:
	s_andn2_b64 vcc, exec, s[6:7]
	s_cbranch_vccnz .LBB46_658
; %bb.657:
	v_cvt_i32_f64_e32 v3, s[8:9]
	global_store_short v[0:1], v3, off
.LBB46_658:
	s_mov_b64 s[6:7], 0
.LBB46_659:
	s_andn2_b64 vcc, exec, s[6:7]
	s_cbranch_vccnz .LBB46_664
; %bb.660:
	v_mov_b32_e32 v3, 0
	v_cmp_gt_i16_sdwa s[12:13], s33, v3 src0_sel:BYTE_0 src1_sel:DWORD
	s_mov_b64 s[6:7], -1
	s_and_b64 vcc, exec, s[12:13]
	s_cbranch_vccz .LBB46_662
; %bb.661:
	v_cvt_i32_f64_e32 v3, s[8:9]
	global_store_byte v[0:1], v3, off
	s_mov_b64 s[6:7], 0
.LBB46_662:
	s_andn2_b64 vcc, exec, s[6:7]
	s_cbranch_vccnz .LBB46_664
; %bb.663:
	v_trunc_f64_e32 v[4:5], s[8:9]
	s_movk_i32 s6, 0xffe0
	v_ldexp_f64 v[6:7], v[4:5], s6
	v_floor_f64_e32 v[6:7], v[6:7]
	v_fmac_f64_e32 v[4:5], 0xc1f00000, v[6:7]
	v_cvt_u32_f64_e32 v3, v[4:5]
	global_store_byte v[0:1], v3, off
.LBB46_664:
.LBB46_665:
	v_add_u32_e32 v2, s18, v2
	v_ashrrev_i32_e32 v1, 31, v2
	v_mov_b32_e32 v3, s11
	v_add_co_u32_e32 v0, vcc, s10, v2
	v_addc_co_u32_e32 v1, vcc, v3, v1, vcc
	v_mov_b32_e32 v3, 11
	v_cmp_lt_i16_sdwa s[6:7], s33, v3 src0_sel:BYTE_0 src1_sel:DWORD
	s_and_b64 vcc, exec, s[6:7]
	s_cbranch_vccnz .LBB46_672
; %bb.666:
	v_mov_b32_e32 v3, 25
	v_cmp_gt_i16_sdwa s[6:7], s33, v3 src0_sel:BYTE_0 src1_sel:DWORD
	s_mov_b64 s[16:17], -1
	s_mov_b64 s[12:13], 0
	s_and_b64 vcc, exec, s[6:7]
	s_mov_b64 s[14:15], 0
	s_mov_b64 s[6:7], 0
	s_cbranch_vccz .LBB46_737
; %bb.667:
	v_mov_b32_e32 v3, 28
	v_cmp_gt_i16_sdwa s[6:7], s33, v3 src0_sel:BYTE_0 src1_sel:DWORD
	s_and_b64 vcc, exec, s[6:7]
	s_cbranch_vccz .LBB46_704
; %bb.668:
	v_mov_b32_e32 v3, 43
	v_cmp_gt_i16_sdwa s[6:7], s33, v3 src0_sel:BYTE_0 src1_sel:DWORD
	s_and_b64 vcc, exec, s[6:7]
	;; [unrolled: 5-line block ×3, first 2 shown]
	s_cbranch_vccz .LBB46_707
; %bb.670:
	v_mov_b32_e32 v3, 46
	v_cmp_eq_u16_sdwa s[14:15], s33, v3 src0_sel:BYTE_0 src1_sel:DWORD
	s_mov_b64 s[6:7], -1
	s_mov_b64 s[16:17], 0
	s_and_b64 vcc, exec, s[14:15]
	s_mov_b64 s[14:15], 0
	s_cbranch_vccz .LBB46_708
; %bb.671:
	v_cvt_f32_f64_e32 v3, s[8:9]
	v_bfe_u32 v4, v3, 16, 1
	v_add_u32_e32 v4, v3, v4
	v_add_u32_e32 v4, 0x7fff, v4
	v_lshrrev_b32_e32 v4, 16, v4
	v_mov_b32_e32 v5, 0x7fc0
	v_cmp_o_f32_e32 vcc, v3, v3
	v_cndmask_b32_e32 v3, v5, v4, vcc
	global_store_dword v[0:1], v3, off
	s_mov_b64 s[6:7], 0
	s_mov_b64 s[14:15], -1
	s_branch .LBB46_708
.LBB46_672:
	s_mov_b64 s[14:15], 0
	s_cbranch_execnz .LBB46_801
.LBB46_673:
	s_andn2_b64 vcc, exec, s[14:15]
	s_cbranch_vccnz .LBB46_839
.LBB46_674:
	v_add_u32_e32 v0, s18, v2
	v_ashrrev_i32_e32 v1, 31, v0
	v_mov_b32_e32 v2, s11
	v_add_co_u32_e32 v0, vcc, s10, v0
	v_addc_co_u32_e32 v1, vcc, v2, v1, vcc
	v_mov_b32_e32 v2, 0xff
	v_and_b32_e32 v2, s33, v2
	v_cmp_gt_i16_e32 vcc, 11, v2
	s_cbranch_vccnz .LBB46_703
; %bb.675:
	v_cmp_lt_i16_e32 vcc, 25, v2
	s_mov_b64 s[12:13], -1
	s_mov_b64 s[10:11], 0
	s_mov_b64 s[6:7], 0
	s_cbranch_vccz .LBB46_751
; %bb.676:
	v_cmp_lt_i16_e32 vcc, 28, v2
	s_cbranch_vccz .LBB46_692
; %bb.677:
	v_cmp_lt_i16_e32 vcc, 43, v2
	;; [unrolled: 3-line block ×3, first 2 shown]
	s_cbranch_vccz .LBB46_682
; %bb.679:
	v_cmp_eq_u16_e32 vcc, 46, v2
	s_mov_b64 s[6:7], -1
	s_cbranch_vccz .LBB46_681
; %bb.680:
	v_cvt_f32_f64_e32 v3, s[8:9]
	v_bfe_u32 v4, v3, 16, 1
	v_add_u32_e32 v4, v3, v4
	v_add_u32_e32 v4, 0x7fff, v4
	v_lshrrev_b32_e32 v4, 16, v4
	v_mov_b32_e32 v5, 0x7fc0
	v_cmp_o_f32_e32 vcc, v3, v3
	v_cndmask_b32_e32 v3, v5, v4, vcc
	global_store_dword v[0:1], v3, off
	s_mov_b64 s[6:7], 0
.LBB46_681:
	s_mov_b64 s[12:13], 0
.LBB46_682:
	s_and_b64 vcc, exec, s[12:13]
	s_cbranch_vccz .LBB46_687
; %bb.683:
	v_cmp_eq_u16_e32 vcc, 44, v2
	s_mov_b64 s[6:7], -1
	s_cbranch_vccz .LBB46_687
; %bb.684:
	v_cvt_f32_f64_e32 v3, s[8:9]
	v_readfirstlane_b32 s6, v3
	s_bfe_u32 s7, s6, 0x80017
	s_cmpk_eq_i32 s7, 0xff
	v_mov_b32_e32 v4, 0xff
	s_cbranch_scc1 .LBB46_686
; %bb.685:
	s_bitcmp1_b32 s6, 22
	s_cselect_b64 s[12:13], -1, 0
	s_and_b32 s6, s6, 0x3fffff
	s_or_b32 s6, s7, s6
	s_cmp_lg_u32 s6, 0
	s_cselect_b64 s[6:7], -1, 0
	s_and_b64 s[6:7], s[12:13], s[6:7]
	v_lshrrev_b32_e32 v3, 23, v3
	v_cndmask_b32_e64 v4, 0, 1, s[6:7]
	v_add_u32_e32 v4, v3, v4
.LBB46_686:
	s_mov_b64 s[6:7], 0
	global_store_byte v[0:1], v4, off
.LBB46_687:
	s_mov_b64 s[12:13], 0
.LBB46_688:
	s_and_b64 vcc, exec, s[12:13]
	s_cbranch_vccz .LBB46_691
; %bb.689:
	v_cmp_eq_u16_e32 vcc, 29, v2
	s_mov_b64 s[6:7], -1
	s_cbranch_vccz .LBB46_691
; %bb.690:
	v_trunc_f64_e32 v[4:5], s[8:9]
	s_movk_i32 s6, 0xffe0
	v_ldexp_f64 v[6:7], v[4:5], s6
	v_floor_f64_e32 v[6:7], v[6:7]
	v_fmac_f64_e32 v[4:5], 0xc1f00000, v[6:7]
	v_cvt_u32_f64_e32 v9, v[6:7]
	v_cvt_u32_f64_e32 v8, v[4:5]
	global_store_dwordx2 v[0:1], v[8:9], off
	s_mov_b64 s[6:7], 0
.LBB46_691:
	s_mov_b64 s[12:13], 0
.LBB46_692:
	s_and_b64 vcc, exec, s[12:13]
	s_cbranch_vccz .LBB46_750
; %bb.693:
	v_cmp_gt_i16_e32 vcc, 27, v2
	s_mov_b64 s[12:13], -1
	s_cbranch_vccnz .LBB46_699
; %bb.694:
	v_cmp_lt_i16_e32 vcc, 27, v2
	v_cvt_u32_f64_e32 v3, s[8:9]
	s_cbranch_vccz .LBB46_696
; %bb.695:
	global_store_dword v[0:1], v3, off
	s_mov_b64 s[12:13], 0
.LBB46_696:
	s_andn2_b64 vcc, exec, s[12:13]
	s_cbranch_vccnz .LBB46_698
; %bb.697:
	global_store_short v[0:1], v3, off
.LBB46_698:
	s_mov_b64 s[12:13], 0
.LBB46_699:
	s_andn2_b64 vcc, exec, s[12:13]
	s_cbranch_vccnz .LBB46_750
; %bb.700:
	v_cvt_f32_f64_e32 v3, s[8:9]
	v_readfirstlane_b32 s16, v3
	s_and_b32 s12, s16, 0x7fffffff
	s_cmp_gt_u32 s12, 0x437fffff
	v_mov_b32_e32 v4, 0x80
	s_cbranch_scc1 .LBB46_749
; %bb.701:
	s_cmp_gt_u32 s12, 0x3bffffff
	s_cbranch_scc0 .LBB46_744
; %bb.702:
	s_bfe_u32 s12, s16, 0x10014
	s_add_i32 s12, s16, s12
	s_add_i32 s12, s12, 0x487ffff
	s_lshr_b32 s17, s12, 20
	s_mov_b64 s[14:15], 0
	s_mov_b64 s[12:13], -1
	s_branch .LBB46_745
.LBB46_703:
	s_mov_b64 s[10:11], 0
	s_mov_b64 s[6:7], -1
	s_branch .LBB46_840
.LBB46_704:
	s_mov_b64 s[6:7], 0
	s_branch .LBB46_718
.LBB46_705:
	s_mov_b64 s[6:7], 0
	s_branch .LBB46_714
.LBB46_706:
	s_trap 2
	s_or_b64 s[4:5], s[4:5], exec
	s_cbranch_execz .LBB46_625
	s_branch .LBB46_626
.LBB46_707:
	s_mov_b64 s[6:7], 0
.LBB46_708:
	s_and_b64 vcc, exec, s[16:17]
	s_cbranch_vccz .LBB46_713
; %bb.709:
	v_mov_b32_e32 v3, 44
	v_cmp_eq_u16_sdwa s[16:17], s33, v3 src0_sel:BYTE_0 src1_sel:DWORD
	s_mov_b64 s[6:7], -1
	s_and_b64 vcc, exec, s[16:17]
	s_cbranch_vccz .LBB46_713
; %bb.710:
	v_cvt_f32_f64_e32 v3, s[8:9]
	v_readfirstlane_b32 s6, v3
	s_bfe_u32 s7, s6, 0x80017
	s_cmpk_eq_i32 s7, 0xff
	v_mov_b32_e32 v4, 0xff
	s_cbranch_scc1 .LBB46_712
; %bb.711:
	s_bitcmp1_b32 s6, 22
	s_cselect_b64 s[14:15], -1, 0
	s_and_b32 s6, s6, 0x3fffff
	s_or_b32 s6, s7, s6
	s_cmp_lg_u32 s6, 0
	s_cselect_b64 s[6:7], -1, 0
	s_and_b64 s[6:7], s[14:15], s[6:7]
	v_lshrrev_b32_e32 v3, 23, v3
	v_cndmask_b32_e64 v4, 0, 1, s[6:7]
	v_add_u32_e32 v4, v3, v4
.LBB46_712:
	s_mov_b64 s[6:7], 0
	s_mov_b64 s[14:15], -1
	global_store_byte v[0:1], v4, off
.LBB46_713:
	s_mov_b64 s[16:17], 0
.LBB46_714:
	s_and_b64 vcc, exec, s[16:17]
	s_cbranch_vccz .LBB46_717
; %bb.715:
	v_mov_b32_e32 v3, 29
	v_cmp_eq_u16_sdwa s[16:17], s33, v3 src0_sel:BYTE_0 src1_sel:DWORD
	s_mov_b64 s[6:7], -1
	s_and_b64 vcc, exec, s[16:17]
	s_cbranch_vccz .LBB46_717
; %bb.716:
	v_trunc_f64_e32 v[4:5], s[8:9]
	s_movk_i32 s6, 0xffe0
	v_ldexp_f64 v[6:7], v[4:5], s6
	v_floor_f64_e32 v[6:7], v[6:7]
	v_fmac_f64_e32 v[4:5], 0xc1f00000, v[6:7]
	v_cvt_u32_f64_e32 v9, v[6:7]
	v_cvt_u32_f64_e32 v8, v[4:5]
	global_store_dwordx2 v[0:1], v[8:9], off
	s_mov_b64 s[6:7], 0
	s_mov_b64 s[14:15], -1
.LBB46_717:
	s_mov_b64 s[16:17], 0
.LBB46_718:
	s_and_b64 vcc, exec, s[16:17]
	s_cbranch_vccz .LBB46_736
; %bb.719:
	v_mov_b32_e32 v3, 27
	v_cmp_lt_i16_sdwa s[16:17], s33, v3 src0_sel:BYTE_0 src1_sel:DWORD
	s_mov_b64 s[14:15], -1
	s_and_b64 vcc, exec, s[16:17]
	s_cbranch_vccnz .LBB46_725
; %bb.720:
	v_cmp_gt_i16_sdwa s[16:17], s33, v3 src0_sel:BYTE_0 src1_sel:DWORD
	s_and_b64 vcc, exec, s[16:17]
	s_cbranch_vccz .LBB46_722
; %bb.721:
	v_cvt_u32_f64_e32 v3, s[8:9]
	s_mov_b64 s[14:15], 0
	global_store_dword v[0:1], v3, off
.LBB46_722:
	s_andn2_b64 vcc, exec, s[14:15]
	s_cbranch_vccnz .LBB46_724
; %bb.723:
	v_cvt_u32_f64_e32 v3, s[8:9]
	global_store_short v[0:1], v3, off
.LBB46_724:
	s_mov_b64 s[14:15], 0
.LBB46_725:
	s_andn2_b64 vcc, exec, s[14:15]
	s_cbranch_vccnz .LBB46_735
; %bb.726:
	v_cvt_f32_f64_e32 v3, s[8:9]
	v_readfirstlane_b32 s19, v3
	s_and_b32 s14, s19, 0x7fffffff
	s_cmp_gt_u32 s14, 0x437fffff
	v_mov_b32_e32 v4, 0x80
	s_cbranch_scc1 .LBB46_734
; %bb.727:
	s_cmp_gt_u32 s14, 0x3bffffff
	s_cbranch_scc0 .LBB46_729
; %bb.728:
	s_bfe_u32 s14, s19, 0x10014
	s_add_i32 s14, s19, s14
	s_add_i32 s14, s14, 0x487ffff
	s_lshr_b32 s20, s14, 20
	s_mov_b64 s[16:17], 0
	s_mov_b64 s[14:15], -1
	s_branch .LBB46_730
.LBB46_729:
	s_mov_b64 s[16:17], -1
	s_mov_b64 s[14:15], 0
                                        ; implicit-def: $sgpr20
.LBB46_730:
	s_andn2_b64 vcc, exec, s[16:17]
	v_mov_b32_e32 v3, s20
                                        ; implicit-def: $sgpr16
	s_cbranch_vccnz .LBB46_732
; %bb.731:
	v_mov_b32_e32 v3, 0x46000000
	v_add_f32_e64 v3, |s19|, v3
	v_and_b32_e32 v3, 0xff, v3
	s_mov_b32 s16, 0
	v_cmp_ne_u32_e64 s[14:15], 0, v3
.LBB46_732:
	s_andn2_b64 vcc, exec, s[14:15]
	v_mov_b32_e32 v4, s16
	s_cbranch_vccnz .LBB46_734
; %bb.733:
	s_lshr_b32 s14, s19, 24
	s_and_b32 s14, s14, 0x80
	v_or_b32_e32 v4, s14, v3
.LBB46_734:
	global_store_byte v[0:1], v4, off
.LBB46_735:
	s_mov_b64 s[14:15], -1
.LBB46_736:
	s_mov_b64 s[16:17], 0
.LBB46_737:
	s_and_b64 vcc, exec, s[16:17]
	s_cbranch_vccz .LBB46_797
; %bb.738:
	v_mov_b32_e32 v3, 22
	v_cmp_gt_i16_sdwa s[16:17], s33, v3 src0_sel:BYTE_0 src1_sel:DWORD
	s_mov_b64 s[12:13], -1
	s_and_b64 vcc, exec, s[16:17]
	s_cbranch_vccz .LBB46_790
; %bb.739:
	v_mov_b32_e32 v3, 24
	v_cmp_lt_i16_sdwa s[14:15], s33, v3 src0_sel:BYTE_0 src1_sel:DWORD
	s_and_b64 vcc, exec, s[14:15]
	s_cbranch_vccnz .LBB46_777
; %bb.740:
	v_cmp_gt_i16_sdwa s[14:15], s33, v3 src0_sel:BYTE_0 src1_sel:DWORD
	s_and_b64 vcc, exec, s[14:15]
	s_cbranch_vccz .LBB46_764
; %bb.741:
	v_cvt_f32_f64_e32 v3, s[8:9]
	v_readfirstlane_b32 s16, v3
	s_and_b32 s12, s16, 0x7fffffff
	s_cmp_gt_u32 s12, 0x477fffff
	v_mov_b32_e32 v4, 0x80
	s_cbranch_scc1 .LBB46_763
; %bb.742:
	s_cmp_gt_u32 s12, 0x37ffffff
	s_cbranch_scc0 .LBB46_758
; %bb.743:
	s_bfe_u32 s12, s16, 0x10015
	s_add_i32 s12, s16, s12
	s_add_i32 s12, s12, 0x88fffff
	s_lshr_b32 s17, s12, 21
	s_mov_b64 s[14:15], 0
	s_mov_b64 s[12:13], -1
	s_branch .LBB46_759
.LBB46_744:
	s_mov_b64 s[14:15], -1
	s_mov_b64 s[12:13], 0
                                        ; implicit-def: $sgpr17
.LBB46_745:
	s_andn2_b64 vcc, exec, s[14:15]
	v_mov_b32_e32 v3, s17
                                        ; implicit-def: $sgpr14
	s_cbranch_vccnz .LBB46_747
; %bb.746:
	v_mov_b32_e32 v3, 0x46000000
	v_add_f32_e64 v3, |s16|, v3
	v_and_b32_e32 v3, 0xff, v3
	s_mov_b32 s14, 0
	v_cmp_ne_u32_e64 s[12:13], 0, v3
.LBB46_747:
	s_andn2_b64 vcc, exec, s[12:13]
	v_mov_b32_e32 v4, s14
	s_cbranch_vccnz .LBB46_749
; %bb.748:
	s_lshr_b32 s12, s16, 24
	s_and_b32 s12, s12, 0x80
	v_or_b32_e32 v4, s12, v3
.LBB46_749:
	global_store_byte v[0:1], v4, off
.LBB46_750:
	s_mov_b64 s[12:13], 0
.LBB46_751:
	s_and_b64 vcc, exec, s[12:13]
	s_cbranch_vccz .LBB46_921
; %bb.752:
	v_cmp_lt_i16_e32 vcc, 22, v2
	s_mov_b64 s[10:11], -1
	s_cbranch_vccz .LBB46_914
; %bb.753:
	v_cmp_gt_i16_e32 vcc, 24, v2
	s_cbranch_vccnz .LBB46_901
; %bb.754:
	v_cmp_lt_i16_e32 vcc, 24, v2
	s_cbranch_vccz .LBB46_888
; %bb.755:
	v_cvt_f32_f64_e32 v3, s[8:9]
	v_readfirstlane_b32 s14, v3
	s_and_b32 s10, s14, 0x7fffffff
	s_cmp_gt_u32 s10, 0x477fffff
	v_mov_b32_e32 v4, 0x80
	s_cbranch_scc1 .LBB46_887
; %bb.756:
	s_cmp_gt_u32 s10, 0x37ffffff
	s_cbranch_scc0 .LBB46_882
; %bb.757:
	s_bfe_u32 s10, s14, 0x10015
	s_add_i32 s10, s14, s10
	s_add_i32 s10, s10, 0x88fffff
	s_lshr_b32 s15, s10, 21
	s_mov_b64 s[12:13], 0
	s_mov_b64 s[10:11], -1
	s_branch .LBB46_883
.LBB46_758:
	s_mov_b64 s[14:15], -1
	s_mov_b64 s[12:13], 0
                                        ; implicit-def: $sgpr17
.LBB46_759:
	s_andn2_b64 vcc, exec, s[14:15]
	v_mov_b32_e32 v3, s17
                                        ; implicit-def: $sgpr14
	s_cbranch_vccnz .LBB46_761
; %bb.760:
	v_mov_b32_e32 v3, 0x42800000
	v_add_f32_e64 v3, |s16|, v3
	v_and_b32_e32 v3, 0xff, v3
	s_mov_b32 s14, 0
	v_cmp_ne_u32_e64 s[12:13], 0, v3
.LBB46_761:
	s_andn2_b64 vcc, exec, s[12:13]
	v_mov_b32_e32 v4, s14
	s_cbranch_vccnz .LBB46_763
; %bb.762:
	s_lshr_b32 s12, s16, 24
	s_and_b32 s12, s12, 0x80
	v_or_b32_e32 v4, s12, v3
.LBB46_763:
	s_mov_b64 s[12:13], 0
	global_store_byte v[0:1], v4, off
.LBB46_764:
	s_and_b64 vcc, exec, s[12:13]
	s_cbranch_vccz .LBB46_776
; %bb.765:
	v_cvt_f32_f64_e32 v3, s[8:9]
	v_readfirstlane_b32 s14, v3
	s_and_b32 s15, s14, 0x7fffffff
	s_cmp_lt_u32 s15, 0x43f00000
	s_cbranch_scc0 .LBB46_768
; %bb.766:
	s_cmp_gt_u32 s15, 0x3c7fffff
	s_cbranch_scc0 .LBB46_769
; %bb.767:
	s_bfe_u32 s12, s14, 0x10014
	s_add_i32 s12, s14, s12
	s_add_i32 s12, s12, 0x407ffff
	s_lshr_b32 s13, s12, 20
	s_and_b32 s12, s12, 0xff00000
	s_cmp_lg_u32 s12, 0x7f00000
	s_cselect_b32 s16, s13, 0x7e
	s_mov_b64 s[12:13], 0
	s_branch .LBB46_770
.LBB46_768:
	s_mov_b64 s[12:13], -1
                                        ; implicit-def: $vgpr4
	s_branch .LBB46_773
.LBB46_769:
	s_mov_b64 s[12:13], -1
                                        ; implicit-def: $sgpr16
.LBB46_770:
	s_andn2_b64 vcc, exec, s[12:13]
	v_mov_b32_e32 v4, s16
	s_cbranch_vccnz .LBB46_772
; %bb.771:
	s_mov_b32 s12, 0x46800000
	v_add_f32_e64 v4, |v3|, s12
.LBB46_772:
	s_mov_b64 s[12:13], 0
.LBB46_773:
	s_andn2_b64 vcc, exec, s[12:13]
	s_cbranch_vccnz .LBB46_775
; %bb.774:
	s_cmp_gt_u32 s15, 0x7f800000
	s_movk_i32 s12, 0x7f
	s_cselect_b32 s12, s12, 0x7e
	v_mov_b32_e32 v4, s12
.LBB46_775:
	s_lshr_b32 s12, s14, 24
	s_and_b32 s12, s12, 0x80
	v_or_b32_e32 v3, s12, v4
	global_store_byte v[0:1], v3, off
.LBB46_776:
	s_mov_b64 s[12:13], 0
.LBB46_777:
	s_andn2_b64 vcc, exec, s[12:13]
	s_cbranch_vccnz .LBB46_789
; %bb.778:
	v_cvt_f32_f64_e32 v3, s[8:9]
	v_readfirstlane_b32 s14, v3
	s_and_b32 s15, s14, 0x7fffffff
	s_cmp_lt_u32 s15, 0x47800000
	s_cbranch_scc0 .LBB46_781
; %bb.779:
	s_cmp_gt_u32 s15, 0x387fffff
	s_cbranch_scc0 .LBB46_782
; %bb.780:
	s_bfe_u32 s12, s14, 0x10015
	s_add_i32 s12, s14, s12
	s_add_i32 s12, s12, 0x80fffff
	s_lshr_b32 s16, s12, 21
	s_mov_b64 s[12:13], 0
	s_branch .LBB46_783
.LBB46_781:
	s_mov_b64 s[12:13], -1
                                        ; implicit-def: $vgpr4
	s_branch .LBB46_786
.LBB46_782:
	s_mov_b64 s[12:13], -1
                                        ; implicit-def: $sgpr16
.LBB46_783:
	s_andn2_b64 vcc, exec, s[12:13]
	v_mov_b32_e32 v4, s16
	s_cbranch_vccnz .LBB46_785
; %bb.784:
	s_mov_b32 s12, 0x43000000
	v_add_f32_e64 v4, |v3|, s12
.LBB46_785:
	s_mov_b64 s[12:13], 0
.LBB46_786:
	s_andn2_b64 vcc, exec, s[12:13]
	s_cbranch_vccnz .LBB46_788
; %bb.787:
	s_cmp_gt_u32 s15, 0x7f800000
	s_movk_i32 s12, 0x7f
	s_cselect_b32 s12, s12, 0x7c
	v_mov_b32_e32 v4, s12
.LBB46_788:
	s_lshr_b32 s12, s14, 24
	s_and_b32 s12, s12, 0x80
	v_or_b32_e32 v3, s12, v4
	global_store_byte v[0:1], v3, off
.LBB46_789:
	s_mov_b64 s[12:13], 0
	s_mov_b64 s[14:15], -1
.LBB46_790:
	s_andn2_b64 vcc, exec, s[12:13]
	s_mov_b64 s[12:13], 0
	s_cbranch_vccnz .LBB46_797
; %bb.791:
	v_mov_b32_e32 v3, 14
	v_cmp_gt_i16_sdwa s[12:13], s33, v3 src0_sel:BYTE_0 src1_sel:DWORD
	s_mov_b64 s[16:17], -1
	s_and_b64 vcc, exec, s[12:13]
	s_cbranch_vccz .LBB46_795
; %bb.792:
	v_mov_b32_e32 v3, 15
	v_cmp_eq_u16_sdwa s[12:13], s33, v3 src0_sel:BYTE_0 src1_sel:DWORD
	s_mov_b64 s[6:7], -1
	s_and_b64 vcc, exec, s[12:13]
	s_cbranch_vccz .LBB46_794
; %bb.793:
	v_cvt_f32_f64_e32 v3, s[8:9]
	v_bfe_u32 v4, v3, 16, 1
	v_add_u32_e32 v4, v3, v4
	v_add_u32_e32 v4, 0x7fff, v4
	v_lshrrev_b32_e32 v4, 16, v4
	v_mov_b32_e32 v5, 0x7fc0
	v_cmp_o_f32_e32 vcc, v3, v3
	v_cndmask_b32_e32 v3, v5, v4, vcc
	global_store_short v[0:1], v3, off
	s_mov_b64 s[6:7], 0
	s_mov_b64 s[14:15], -1
.LBB46_794:
	s_mov_b64 s[16:17], 0
.LBB46_795:
	s_mov_b64 s[12:13], 0
	s_and_b64 vcc, exec, s[16:17]
	s_cbranch_vccz .LBB46_797
; %bb.796:
	v_mov_b32_e32 v3, 11
	v_cmp_ne_u16_sdwa s[6:7], s33, v3 src0_sel:BYTE_0 src1_sel:DWORD
	s_mov_b64 s[12:13], -1
.LBB46_797:
	s_and_b64 vcc, exec, s[6:7]
	s_cbranch_vccnz .LBB46_881
; %bb.798:
	s_andn2_b64 vcc, exec, s[12:13]
	s_cbranch_vccnz .LBB46_800
.LBB46_799:
	v_cmp_neq_f64_e64 s[6:7], s[8:9], 0
	v_cndmask_b32_e64 v3, 0, 1, s[6:7]
	s_mov_b64 s[14:15], -1
	global_store_byte v[0:1], v3, off
.LBB46_800:
	s_branch .LBB46_673
.LBB46_801:
	v_mov_b32_e32 v3, 5
	v_cmp_lt_i16_sdwa s[12:13], s33, v3 src0_sel:BYTE_0 src1_sel:DWORD
	s_mov_b64 s[6:7], -1
	s_and_b64 vcc, exec, s[12:13]
	s_cbranch_vccnz .LBB46_822
; %bb.802:
	v_mov_b32_e32 v3, 8
	v_cmp_lt_i16_sdwa s[12:13], s33, v3 src0_sel:BYTE_0 src1_sel:DWORD
	s_and_b64 vcc, exec, s[12:13]
	s_cbranch_vccnz .LBB46_812
; %bb.803:
	v_mov_b32_e32 v3, 9
	v_cmp_lt_i16_sdwa s[12:13], s33, v3 src0_sel:BYTE_0 src1_sel:DWORD
	s_and_b64 vcc, exec, s[12:13]
	s_cbranch_vccnz .LBB46_809
; %bb.804:
	v_cmp_gt_i16_sdwa s[12:13], s33, v3 src0_sel:BYTE_0 src1_sel:DWORD
	s_and_b64 vcc, exec, s[12:13]
	s_cbranch_vccz .LBB46_806
; %bb.805:
	v_mov_b32_e32 v6, 0
	v_mov_b32_e32 v4, s8
	;; [unrolled: 1-line block ×4, first 2 shown]
	global_store_dwordx4 v[0:1], v[4:7], off
	s_mov_b64 s[6:7], 0
.LBB46_806:
	s_andn2_b64 vcc, exec, s[6:7]
	s_cbranch_vccnz .LBB46_808
; %bb.807:
	v_cvt_f32_f64_e32 v4, s[8:9]
	v_mov_b32_e32 v5, 0
	global_store_dwordx2 v[0:1], v[4:5], off
.LBB46_808:
	s_mov_b64 s[6:7], 0
.LBB46_809:
	s_andn2_b64 vcc, exec, s[6:7]
	s_cbranch_vccnz .LBB46_811
; %bb.810:
	v_cvt_f32_f64_e32 v3, s[8:9]
	v_cvt_f16_f32_e32 v3, v3
	global_store_dword v[0:1], v3, off
.LBB46_811:
	s_mov_b64 s[6:7], 0
.LBB46_812:
	s_andn2_b64 vcc, exec, s[6:7]
	s_cbranch_vccnz .LBB46_821
; %bb.813:
	v_mov_b32_e32 v3, 6
	v_cmp_lt_i16_sdwa s[12:13], s33, v3 src0_sel:BYTE_0 src1_sel:DWORD
	s_mov_b64 s[6:7], -1
	s_and_b64 vcc, exec, s[12:13]
	s_cbranch_vccnz .LBB46_819
; %bb.814:
	v_cmp_gt_i16_sdwa s[12:13], s33, v3 src0_sel:BYTE_0 src1_sel:DWORD
	s_and_b64 vcc, exec, s[12:13]
	s_cbranch_vccz .LBB46_816
; %bb.815:
	v_pk_mov_b32 v[4:5], s[8:9], s[8:9] op_sel:[0,1]
	global_store_dwordx2 v[0:1], v[4:5], off
	s_mov_b64 s[6:7], 0
.LBB46_816:
	s_andn2_b64 vcc, exec, s[6:7]
	s_cbranch_vccnz .LBB46_818
; %bb.817:
	v_cvt_f32_f64_e32 v3, s[8:9]
	global_store_dword v[0:1], v3, off
.LBB46_818:
	s_mov_b64 s[6:7], 0
.LBB46_819:
	s_andn2_b64 vcc, exec, s[6:7]
	s_cbranch_vccnz .LBB46_821
; %bb.820:
	v_cvt_f32_f64_e32 v3, s[8:9]
	v_cvt_f16_f32_e32 v3, v3
	global_store_short v[0:1], v3, off
.LBB46_821:
	s_mov_b64 s[6:7], 0
.LBB46_822:
	s_andn2_b64 vcc, exec, s[6:7]
	s_cbranch_vccnz .LBB46_838
; %bb.823:
	v_mov_b32_e32 v3, 2
	v_cmp_lt_i16_sdwa s[12:13], s33, v3 src0_sel:BYTE_0 src1_sel:DWORD
	s_mov_b64 s[6:7], -1
	s_and_b64 vcc, exec, s[12:13]
	s_cbranch_vccnz .LBB46_833
; %bb.824:
	v_mov_b32_e32 v3, 3
	v_cmp_lt_i16_sdwa s[12:13], s33, v3 src0_sel:BYTE_0 src1_sel:DWORD
	s_and_b64 vcc, exec, s[12:13]
	s_cbranch_vccnz .LBB46_830
; %bb.825:
	v_cmp_gt_i16_sdwa s[12:13], s33, v3 src0_sel:BYTE_0 src1_sel:DWORD
	s_and_b64 vcc, exec, s[12:13]
	s_cbranch_vccz .LBB46_827
; %bb.826:
	v_trunc_f64_e32 v[4:5], s[8:9]
	s_movk_i32 s6, 0xffe0
	v_ldexp_f64 v[6:7], v[4:5], s6
	v_floor_f64_e32 v[6:7], v[6:7]
	v_fmac_f64_e32 v[4:5], 0xc1f00000, v[6:7]
	v_cvt_i32_f64_e32 v9, v[6:7]
	v_cvt_u32_f64_e32 v8, v[4:5]
	global_store_dwordx2 v[0:1], v[8:9], off
	s_mov_b64 s[6:7], 0
.LBB46_827:
	s_andn2_b64 vcc, exec, s[6:7]
	s_cbranch_vccnz .LBB46_829
; %bb.828:
	v_cvt_i32_f64_e32 v3, s[8:9]
	global_store_dword v[0:1], v3, off
.LBB46_829:
	s_mov_b64 s[6:7], 0
.LBB46_830:
	s_andn2_b64 vcc, exec, s[6:7]
	s_cbranch_vccnz .LBB46_832
; %bb.831:
	v_cvt_i32_f64_e32 v3, s[8:9]
	global_store_short v[0:1], v3, off
.LBB46_832:
	s_mov_b64 s[6:7], 0
.LBB46_833:
	s_andn2_b64 vcc, exec, s[6:7]
	s_cbranch_vccnz .LBB46_838
; %bb.834:
	v_mov_b32_e32 v3, 0
	v_cmp_gt_i16_sdwa s[12:13], s33, v3 src0_sel:BYTE_0 src1_sel:DWORD
	s_mov_b64 s[6:7], -1
	s_and_b64 vcc, exec, s[12:13]
	s_cbranch_vccz .LBB46_836
; %bb.835:
	v_cvt_i32_f64_e32 v3, s[8:9]
	global_store_byte v[0:1], v3, off
	s_mov_b64 s[6:7], 0
.LBB46_836:
	s_andn2_b64 vcc, exec, s[6:7]
	s_cbranch_vccnz .LBB46_838
; %bb.837:
	v_trunc_f64_e32 v[4:5], s[8:9]
	s_movk_i32 s6, 0xffe0
	v_ldexp_f64 v[6:7], v[4:5], s6
	v_floor_f64_e32 v[6:7], v[6:7]
	v_fmac_f64_e32 v[4:5], 0xc1f00000, v[6:7]
	v_cvt_u32_f64_e32 v3, v[4:5]
	global_store_byte v[0:1], v3, off
.LBB46_838:
	s_branch .LBB46_674
.LBB46_839:
	s_mov_b64 s[6:7], 0
	s_mov_b64 s[10:11], 0
                                        ; implicit-def: $vgpr2
                                        ; implicit-def: $vgpr0_vgpr1
.LBB46_840:
	s_andn2_b64 s[0:1], s[0:1], exec
	s_and_b64 s[4:5], s[4:5], exec
	s_and_b64 s[12:13], s[6:7], exec
	;; [unrolled: 1-line block ×3, first 2 shown]
	s_or_b64 s[0:1], s[0:1], s[4:5]
	s_or_b64 exec, exec, s[2:3]
	s_and_saveexec_b64 s[2:3], s[0:1]
	s_cbranch_execnz .LBB46_413
.LBB46_841:
	s_or_b64 exec, exec, s[2:3]
	s_and_saveexec_b64 s[0:1], s[6:7]
	s_xor_b64 s[0:1], exec, s[0:1]
	s_cbranch_execz .LBB46_414
.LBB46_842:
	v_cmp_neq_f64_e64 s[2:3], s[8:9], 0
	v_cndmask_b32_e64 v3, 0, 1, s[2:3]
	global_store_byte v[0:1], v3, off
	s_or_b64 exec, exec, s[0:1]
	s_and_saveexec_b64 s[0:1], s[12:13]
	s_cbranch_execz .LBB46_880
.LBB46_843:
	v_cmp_gt_i16_e32 vcc, 5, v2
	s_mov_b64 s[0:1], -1
	s_cbranch_vccnz .LBB46_864
; %bb.844:
	v_cmp_gt_i16_e32 vcc, 8, v2
	s_cbranch_vccnz .LBB46_854
; %bb.845:
	v_cmp_gt_i16_e32 vcc, 9, v2
	s_cbranch_vccnz .LBB46_851
; %bb.846:
	v_cmp_lt_i16_e32 vcc, 9, v2
	s_cbranch_vccz .LBB46_848
; %bb.847:
	v_mov_b32_e32 v6, 0
	v_mov_b32_e32 v4, s8
	v_mov_b32_e32 v5, s9
	v_mov_b32_e32 v7, v6
	global_store_dwordx4 v[0:1], v[4:7], off
	s_mov_b64 s[0:1], 0
.LBB46_848:
	s_andn2_b64 vcc, exec, s[0:1]
	s_cbranch_vccnz .LBB46_850
; %bb.849:
	v_cvt_f32_f64_e32 v4, s[8:9]
	v_mov_b32_e32 v5, 0
	global_store_dwordx2 v[0:1], v[4:5], off
.LBB46_850:
	s_mov_b64 s[0:1], 0
.LBB46_851:
	s_andn2_b64 vcc, exec, s[0:1]
	s_cbranch_vccnz .LBB46_853
; %bb.852:
	v_cvt_f32_f64_e32 v3, s[8:9]
	v_cvt_f16_f32_e32 v3, v3
	global_store_dword v[0:1], v3, off
.LBB46_853:
	s_mov_b64 s[0:1], 0
.LBB46_854:
	s_andn2_b64 vcc, exec, s[0:1]
	s_cbranch_vccnz .LBB46_863
; %bb.855:
	v_cmp_gt_i16_e32 vcc, 6, v2
	s_mov_b64 s[0:1], -1
	s_cbranch_vccnz .LBB46_861
; %bb.856:
	v_cmp_lt_i16_e32 vcc, 6, v2
	s_cbranch_vccz .LBB46_858
; %bb.857:
	v_pk_mov_b32 v[4:5], s[8:9], s[8:9] op_sel:[0,1]
	global_store_dwordx2 v[0:1], v[4:5], off
	s_mov_b64 s[0:1], 0
.LBB46_858:
	s_andn2_b64 vcc, exec, s[0:1]
	s_cbranch_vccnz .LBB46_860
; %bb.859:
	v_cvt_f32_f64_e32 v3, s[8:9]
	global_store_dword v[0:1], v3, off
.LBB46_860:
	s_mov_b64 s[0:1], 0
.LBB46_861:
	s_andn2_b64 vcc, exec, s[0:1]
	s_cbranch_vccnz .LBB46_863
; %bb.862:
	v_cvt_f32_f64_e32 v3, s[8:9]
	v_cvt_f16_f32_e32 v3, v3
	global_store_short v[0:1], v3, off
.LBB46_863:
	s_mov_b64 s[0:1], 0
.LBB46_864:
	s_andn2_b64 vcc, exec, s[0:1]
	s_cbranch_vccnz .LBB46_880
; %bb.865:
	v_cmp_gt_i16_e32 vcc, 2, v2
	s_mov_b64 s[0:1], -1
	s_cbranch_vccnz .LBB46_875
; %bb.866:
	v_cmp_gt_i16_e32 vcc, 3, v2
	s_cbranch_vccnz .LBB46_872
; %bb.867:
	v_cmp_lt_i16_e32 vcc, 3, v2
	s_cbranch_vccz .LBB46_869
; %bb.868:
	v_trunc_f64_e32 v[4:5], s[8:9]
	s_movk_i32 s0, 0xffe0
	v_ldexp_f64 v[6:7], v[4:5], s0
	v_floor_f64_e32 v[6:7], v[6:7]
	v_fmac_f64_e32 v[4:5], 0xc1f00000, v[6:7]
	v_cvt_i32_f64_e32 v9, v[6:7]
	v_cvt_u32_f64_e32 v8, v[4:5]
	global_store_dwordx2 v[0:1], v[8:9], off
	s_mov_b64 s[0:1], 0
.LBB46_869:
	s_andn2_b64 vcc, exec, s[0:1]
	s_cbranch_vccnz .LBB46_871
; %bb.870:
	v_cvt_i32_f64_e32 v3, s[8:9]
	global_store_dword v[0:1], v3, off
.LBB46_871:
	s_mov_b64 s[0:1], 0
.LBB46_872:
	s_andn2_b64 vcc, exec, s[0:1]
	s_cbranch_vccnz .LBB46_874
; %bb.873:
	v_cvt_i32_f64_e32 v3, s[8:9]
	global_store_short v[0:1], v3, off
.LBB46_874:
	s_mov_b64 s[0:1], 0
.LBB46_875:
	s_andn2_b64 vcc, exec, s[0:1]
	s_cbranch_vccnz .LBB46_880
; %bb.876:
	v_cmp_lt_i16_e32 vcc, 0, v2
	s_mov_b64 s[0:1], -1
	s_cbranch_vccz .LBB46_878
; %bb.877:
	v_cvt_i32_f64_e32 v2, s[8:9]
	global_store_byte v[0:1], v2, off
	s_mov_b64 s[0:1], 0
.LBB46_878:
	s_andn2_b64 vcc, exec, s[0:1]
	s_cbranch_vccnz .LBB46_880
; %bb.879:
	v_trunc_f64_e32 v[2:3], s[8:9]
	s_movk_i32 s0, 0xffe0
	v_ldexp_f64 v[4:5], v[2:3], s0
	v_floor_f64_e32 v[4:5], v[4:5]
	v_fmac_f64_e32 v[2:3], 0xc1f00000, v[4:5]
	v_cvt_u32_f64_e32 v2, v[2:3]
	global_store_byte v[0:1], v2, off
	s_endpgm
.LBB46_880:
	s_endpgm
.LBB46_881:
	s_trap 2
	s_or_b64 s[4:5], s[4:5], exec
	s_cbranch_execz .LBB46_799
	s_branch .LBB46_800
.LBB46_882:
	s_mov_b64 s[12:13], -1
	s_mov_b64 s[10:11], 0
                                        ; implicit-def: $sgpr15
.LBB46_883:
	s_andn2_b64 vcc, exec, s[12:13]
	v_mov_b32_e32 v3, s15
                                        ; implicit-def: $sgpr12
	s_cbranch_vccnz .LBB46_885
; %bb.884:
	v_mov_b32_e32 v3, 0x42800000
	v_add_f32_e64 v3, |s14|, v3
	v_and_b32_e32 v3, 0xff, v3
	s_mov_b32 s12, 0
	v_cmp_ne_u32_e64 s[10:11], 0, v3
.LBB46_885:
	s_andn2_b64 vcc, exec, s[10:11]
	v_mov_b32_e32 v4, s12
	s_cbranch_vccnz .LBB46_887
; %bb.886:
	s_lshr_b32 s10, s14, 24
	s_and_b32 s10, s10, 0x80
	v_or_b32_e32 v4, s10, v3
.LBB46_887:
	s_mov_b64 s[10:11], 0
	global_store_byte v[0:1], v4, off
.LBB46_888:
	s_and_b64 vcc, exec, s[10:11]
	s_cbranch_vccz .LBB46_900
; %bb.889:
	v_cvt_f32_f64_e32 v3, s[8:9]
	v_readfirstlane_b32 s12, v3
	s_and_b32 s13, s12, 0x7fffffff
	s_cmp_lt_u32 s13, 0x43f00000
	s_cbranch_scc0 .LBB46_892
; %bb.890:
	s_cmp_gt_u32 s13, 0x3c7fffff
	s_cbranch_scc0 .LBB46_893
; %bb.891:
	s_bfe_u32 s10, s12, 0x10014
	s_add_i32 s10, s12, s10
	s_add_i32 s10, s10, 0x407ffff
	s_lshr_b32 s11, s10, 20
	s_and_b32 s10, s10, 0xff00000
	s_cmp_lg_u32 s10, 0x7f00000
	s_cselect_b32 s14, s11, 0x7e
	s_mov_b64 s[10:11], 0
	s_branch .LBB46_894
.LBB46_892:
	s_mov_b64 s[10:11], -1
                                        ; implicit-def: $vgpr4
	s_branch .LBB46_897
.LBB46_893:
	s_mov_b64 s[10:11], -1
                                        ; implicit-def: $sgpr14
.LBB46_894:
	s_andn2_b64 vcc, exec, s[10:11]
	v_mov_b32_e32 v4, s14
	s_cbranch_vccnz .LBB46_896
; %bb.895:
	s_mov_b32 s10, 0x46800000
	v_add_f32_e64 v4, |v3|, s10
.LBB46_896:
	s_mov_b64 s[10:11], 0
.LBB46_897:
	s_andn2_b64 vcc, exec, s[10:11]
	s_cbranch_vccnz .LBB46_899
; %bb.898:
	s_cmp_gt_u32 s13, 0x7f800000
	s_movk_i32 s10, 0x7f
	s_cselect_b32 s10, s10, 0x7e
	v_mov_b32_e32 v4, s10
.LBB46_899:
	s_lshr_b32 s10, s12, 24
	s_and_b32 s10, s10, 0x80
	v_or_b32_e32 v3, s10, v4
	global_store_byte v[0:1], v3, off
.LBB46_900:
	s_mov_b64 s[10:11], 0
.LBB46_901:
	s_andn2_b64 vcc, exec, s[10:11]
	s_cbranch_vccnz .LBB46_913
; %bb.902:
	v_cvt_f32_f64_e32 v3, s[8:9]
	v_readfirstlane_b32 s12, v3
	s_and_b32 s13, s12, 0x7fffffff
	s_cmp_lt_u32 s13, 0x47800000
	s_cbranch_scc0 .LBB46_905
; %bb.903:
	s_cmp_gt_u32 s13, 0x387fffff
	s_cbranch_scc0 .LBB46_906
; %bb.904:
	s_bfe_u32 s10, s12, 0x10015
	s_add_i32 s10, s12, s10
	s_add_i32 s10, s10, 0x80fffff
	s_lshr_b32 s14, s10, 21
	s_mov_b64 s[10:11], 0
	s_branch .LBB46_907
.LBB46_905:
	s_mov_b64 s[10:11], -1
                                        ; implicit-def: $vgpr4
	s_branch .LBB46_910
.LBB46_906:
	s_mov_b64 s[10:11], -1
                                        ; implicit-def: $sgpr14
.LBB46_907:
	s_andn2_b64 vcc, exec, s[10:11]
	v_mov_b32_e32 v4, s14
	s_cbranch_vccnz .LBB46_909
; %bb.908:
	s_mov_b32 s10, 0x43000000
	v_add_f32_e64 v4, |v3|, s10
.LBB46_909:
	s_mov_b64 s[10:11], 0
.LBB46_910:
	s_andn2_b64 vcc, exec, s[10:11]
	s_cbranch_vccnz .LBB46_912
; %bb.911:
	s_cmp_gt_u32 s13, 0x7f800000
	s_movk_i32 s10, 0x7f
	s_cselect_b32 s10, s10, 0x7c
	v_mov_b32_e32 v4, s10
.LBB46_912:
	s_lshr_b32 s10, s12, 24
	s_and_b32 s10, s10, 0x80
	v_or_b32_e32 v3, s10, v4
	global_store_byte v[0:1], v3, off
.LBB46_913:
	s_mov_b64 s[10:11], 0
.LBB46_914:
	s_andn2_b64 vcc, exec, s[10:11]
	s_mov_b64 s[10:11], 0
	s_cbranch_vccnz .LBB46_921
; %bb.915:
	v_cmp_lt_i16_e32 vcc, 14, v2
	s_mov_b64 s[12:13], -1
	s_cbranch_vccz .LBB46_919
; %bb.916:
	v_cmp_eq_u16_e32 vcc, 15, v2
	s_mov_b64 s[6:7], -1
	s_cbranch_vccz .LBB46_918
; %bb.917:
	v_cvt_f32_f64_e32 v3, s[8:9]
	v_bfe_u32 v4, v3, 16, 1
	v_add_u32_e32 v4, v3, v4
	v_add_u32_e32 v4, 0x7fff, v4
	v_lshrrev_b32_e32 v4, 16, v4
	v_mov_b32_e32 v5, 0x7fc0
	v_cmp_o_f32_e32 vcc, v3, v3
	v_cndmask_b32_e32 v3, v5, v4, vcc
	global_store_short v[0:1], v3, off
	s_mov_b64 s[6:7], 0
.LBB46_918:
	s_mov_b64 s[12:13], 0
.LBB46_919:
	s_and_b64 vcc, exec, s[12:13]
	s_cbranch_vccz .LBB46_921
; %bb.920:
	v_cmp_ne_u16_e64 s[6:7], 11, v2
	s_mov_b64 s[10:11], -1
.LBB46_921:
	s_and_b64 vcc, exec, s[6:7]
	s_cbranch_vccnz .LBB46_923
.LBB46_922:
	s_mov_b64 s[6:7], 0
	s_branch .LBB46_840
.LBB46_923:
	s_mov_b64 s[10:11], 0
	s_or_b64 s[4:5], s[4:5], exec
	s_trap 2
	s_branch .LBB46_922
	.section	.rodata,"a",@progbits
	.p2align	6, 0x0
	.amdhsa_kernel _ZN2at6native32elementwise_kernel_manual_unrollILi128ELi4EZNS0_15gpu_kernel_implINS0_11FillFunctorIdEEEEvRNS_18TensorIteratorBaseERKT_EUlibE_EEviT1_
		.amdhsa_group_segment_fixed_size 0
		.amdhsa_private_segment_fixed_size 0
		.amdhsa_kernarg_size 40
		.amdhsa_user_sgpr_count 6
		.amdhsa_user_sgpr_private_segment_buffer 1
		.amdhsa_user_sgpr_dispatch_ptr 0
		.amdhsa_user_sgpr_queue_ptr 0
		.amdhsa_user_sgpr_kernarg_segment_ptr 1
		.amdhsa_user_sgpr_dispatch_id 0
		.amdhsa_user_sgpr_flat_scratch_init 0
		.amdhsa_user_sgpr_kernarg_preload_length 0
		.amdhsa_user_sgpr_kernarg_preload_offset 0
		.amdhsa_user_sgpr_private_segment_size 0
		.amdhsa_uses_dynamic_stack 0
		.amdhsa_system_sgpr_private_segment_wavefront_offset 0
		.amdhsa_system_sgpr_workgroup_id_x 1
		.amdhsa_system_sgpr_workgroup_id_y 0
		.amdhsa_system_sgpr_workgroup_id_z 0
		.amdhsa_system_sgpr_workgroup_info 0
		.amdhsa_system_vgpr_workitem_id 0
		.amdhsa_next_free_vgpr 22
		.amdhsa_next_free_sgpr 61
		.amdhsa_accum_offset 24
		.amdhsa_reserve_vcc 1
		.amdhsa_reserve_flat_scratch 0
		.amdhsa_float_round_mode_32 0
		.amdhsa_float_round_mode_16_64 0
		.amdhsa_float_denorm_mode_32 3
		.amdhsa_float_denorm_mode_16_64 3
		.amdhsa_dx10_clamp 1
		.amdhsa_ieee_mode 1
		.amdhsa_fp16_overflow 0
		.amdhsa_tg_split 0
		.amdhsa_exception_fp_ieee_invalid_op 0
		.amdhsa_exception_fp_denorm_src 0
		.amdhsa_exception_fp_ieee_div_zero 0
		.amdhsa_exception_fp_ieee_overflow 0
		.amdhsa_exception_fp_ieee_underflow 0
		.amdhsa_exception_fp_ieee_inexact 0
		.amdhsa_exception_int_div_zero 0
	.end_amdhsa_kernel
	.section	.text._ZN2at6native32elementwise_kernel_manual_unrollILi128ELi4EZNS0_15gpu_kernel_implINS0_11FillFunctorIdEEEEvRNS_18TensorIteratorBaseERKT_EUlibE_EEviT1_,"axG",@progbits,_ZN2at6native32elementwise_kernel_manual_unrollILi128ELi4EZNS0_15gpu_kernel_implINS0_11FillFunctorIdEEEEvRNS_18TensorIteratorBaseERKT_EUlibE_EEviT1_,comdat
.Lfunc_end46:
	.size	_ZN2at6native32elementwise_kernel_manual_unrollILi128ELi4EZNS0_15gpu_kernel_implINS0_11FillFunctorIdEEEEvRNS_18TensorIteratorBaseERKT_EUlibE_EEviT1_, .Lfunc_end46-_ZN2at6native32elementwise_kernel_manual_unrollILi128ELi4EZNS0_15gpu_kernel_implINS0_11FillFunctorIdEEEEvRNS_18TensorIteratorBaseERKT_EUlibE_EEviT1_
                                        ; -- End function
	.section	.AMDGPU.csdata,"",@progbits
; Kernel info:
; codeLenInByte = 14420
; NumSgprs: 65
; NumVgprs: 22
; NumAgprs: 0
; TotalNumVgprs: 22
; ScratchSize: 0
; MemoryBound: 0
; FloatMode: 240
; IeeeMode: 1
; LDSByteSize: 0 bytes/workgroup (compile time only)
; SGPRBlocks: 8
; VGPRBlocks: 2
; NumSGPRsForWavesPerEU: 65
; NumVGPRsForWavesPerEU: 22
; AccumOffset: 24
; Occupancy: 8
; WaveLimiterHint : 0
; COMPUTE_PGM_RSRC2:SCRATCH_EN: 0
; COMPUTE_PGM_RSRC2:USER_SGPR: 6
; COMPUTE_PGM_RSRC2:TRAP_HANDLER: 0
; COMPUTE_PGM_RSRC2:TGID_X_EN: 1
; COMPUTE_PGM_RSRC2:TGID_Y_EN: 0
; COMPUTE_PGM_RSRC2:TGID_Z_EN: 0
; COMPUTE_PGM_RSRC2:TIDIG_COMP_CNT: 0
; COMPUTE_PGM_RSRC3_GFX90A:ACCUM_OFFSET: 5
; COMPUTE_PGM_RSRC3_GFX90A:TG_SPLIT: 0
	.section	.text._ZN2at6native32elementwise_kernel_manual_unrollILi128ELi4EZNS0_15gpu_kernel_implINS0_11FillFunctorIdEEEEvRNS_18TensorIteratorBaseERKT_EUlibE0_EEviT1_,"axG",@progbits,_ZN2at6native32elementwise_kernel_manual_unrollILi128ELi4EZNS0_15gpu_kernel_implINS0_11FillFunctorIdEEEEvRNS_18TensorIteratorBaseERKT_EUlibE0_EEviT1_,comdat
	.protected	_ZN2at6native32elementwise_kernel_manual_unrollILi128ELi4EZNS0_15gpu_kernel_implINS0_11FillFunctorIdEEEEvRNS_18TensorIteratorBaseERKT_EUlibE0_EEviT1_ ; -- Begin function _ZN2at6native32elementwise_kernel_manual_unrollILi128ELi4EZNS0_15gpu_kernel_implINS0_11FillFunctorIdEEEEvRNS_18TensorIteratorBaseERKT_EUlibE0_EEviT1_
	.globl	_ZN2at6native32elementwise_kernel_manual_unrollILi128ELi4EZNS0_15gpu_kernel_implINS0_11FillFunctorIdEEEEvRNS_18TensorIteratorBaseERKT_EUlibE0_EEviT1_
	.p2align	8
	.type	_ZN2at6native32elementwise_kernel_manual_unrollILi128ELi4EZNS0_15gpu_kernel_implINS0_11FillFunctorIdEEEEvRNS_18TensorIteratorBaseERKT_EUlibE0_EEviT1_,@function
_ZN2at6native32elementwise_kernel_manual_unrollILi128ELi4EZNS0_15gpu_kernel_implINS0_11FillFunctorIdEEEEvRNS_18TensorIteratorBaseERKT_EUlibE0_EEviT1_: ; @_ZN2at6native32elementwise_kernel_manual_unrollILi128ELi4EZNS0_15gpu_kernel_implINS0_11FillFunctorIdEEEEvRNS_18TensorIteratorBaseERKT_EUlibE0_EEviT1_
; %bb.0:
	s_load_dword s90, s[4:5], 0x0
	s_load_dword s33, s[4:5], 0x8
	s_or_b32 s4, s4, 8
	v_lshl_or_b32 v10, s6, 9, v0
	v_or_b32_e32 v8, 0x180, v10
	s_waitcnt lgkmcnt(0)
	v_cmp_le_i32_e32 vcc, s90, v8
	s_add_i32 s80, s33, -1
	s_cmp_gt_u32 s80, 1
	s_cselect_b64 s[36:37], -1, 0
	s_mov_b64 s[34:35], 0
	s_mov_b64 s[6:7], 0
	s_and_saveexec_b64 s[0:1], vcc
	s_xor_b64 s[38:39], exec, s[0:1]
	s_cbranch_execz .LBB47_462
; %bb.1:
	s_load_dwordx2 s[56:57], s[4:5], 0xc4
	s_load_dwordx4 s[16:19], s[4:5], 0x108
	s_load_dwordx4 s[20:23], s[4:5], 0x4
	s_load_dwordx2 s[58:59], s[4:5], 0x14
	s_movk_i32 s0, 0xffe0
	s_cmp_lg_u32 s33, 0
	s_waitcnt lgkmcnt(0)
	v_trunc_f64_e32 v[0:1], s[18:19]
	v_ldexp_f64 v[2:3], v[0:1], s0
	v_floor_f64_e32 v[4:5], v[2:3]
	v_cvt_f32_f64_e32 v2, s[18:19]
	v_and_b32_e32 v7, 0x400000, v2
	s_cselect_b64 s[64:65], -1, 0
	s_add_u32 s62, s4, 0xc4
	v_bfe_u32 v6, v2, 23, 8
	s_movk_i32 s0, 0xff
	v_cmp_ne_u32_e32 vcc, 0, v7
	v_and_b32_e32 v7, 0x3fffff, v2
	s_addc_u32 s63, s5, 0
	s_min_u32 s91, s80, 15
	v_cmp_eq_u32_e64 s[6:7], s0, v6
	v_or_b32_e32 v6, v6, v7
	s_cmp_gt_u32 s33, 1
	v_cmp_ne_u32_e64 s[0:1], 0, v6
	v_readfirstlane_b32 s8, v2
	s_cselect_b64 s[60:61], -1, 0
	s_and_b64 s[0:1], vcc, s[0:1]
	s_and_b32 s9, s8, 0x7fffffff
	s_cmp_lt_u32 s9, 0x43800000
	s_cselect_b64 s[52:53], -1, 0
	s_cmp_gt_u32 s9, 0x3bffffff
	v_cndmask_b32_e64 v6, 0, 1, s[0:1]
	s_cselect_b64 s[2:3], -1, 0
	s_bfe_u32 s0, s8, 0x10014
	s_add_i32 s10, s8, s0
	s_add_i32 s0, s10, 0x487ffff
	s_lshr_b32 s88, s0, 20
	s_mov_b32 s0, 0x46000000
	v_add_f32_e64 v15, |v2|, s0
	v_readfirstlane_b32 s0, v15
	s_and_b32 s0, s0, 0xff
	s_cmp_lg_u32 s0, 0
	s_cselect_b64 s[54:55], -1, 0
	s_cmp_gt_u32 s9, 0x477fffff
	s_cselect_b64 s[40:41], -1, 0
	s_cmp_lt_u32 s9, 0x47800000
	s_movk_i32 s0, 0x80
	s_cselect_b64 s[48:49], -1, 0
	s_cmp_gt_u32 s9, 0x37ffffff
	v_and_b32_sdwa v12, v2, s0 dst_sel:DWORD dst_unused:UNUSED_PAD src0_sel:BYTE_3 src1_sel:DWORD
	s_cselect_b64 s[0:1], -1, 0
	s_bfe_u32 s11, s8, 0x10015
	s_add_i32 s8, s8, s11
	s_add_i32 s11, s8, 0x88fffff
	s_lshr_b32 s86, s11, 21
	s_mov_b32 s11, 0x42800000
	v_add_f32_e64 v14, |v2|, s11
	v_readfirstlane_b32 s11, v14
	s_and_b32 s11, s11, 0xff
	s_cmp_lg_u32 s11, 0
	s_cselect_b64 s[50:51], -1, 0
	s_cmp_gt_u32 s9, 0x43efffff
	s_cselect_b64 s[44:45], -1, 0
	s_cmp_lt_u32 s9, 0x3c800000
	s_cselect_b64 s[46:47], -1, 0
	s_add_i32 s10, s10, 0x407ffff
	s_lshr_b32 s11, s10, 20
	s_and_b32 s10, s10, 0xff00000
	s_cmp_lg_u32 s10, 0x7f00000
	s_cselect_b32 s84, s11, 0x7e
	s_cmp_lt_u32 s9, 0x38800000
	s_cselect_b64 s[42:43], -1, 0
	s_add_i32 s8, s8, 0x80fffff
	s_lshr_b32 s81, s8, 21
	v_lshrrev_b32_e32 v3, 23, v2
	s_mov_b32 s10, 0x46800000
	s_cmp_gt_u32 s9, 0x7f800000
	s_movk_i32 s8, 0x7f
	v_add_u32_e32 v17, v3, v6
	v_add_f32_e64 v3, |v2|, s10
	s_cselect_b32 s87, s8, 0x7e
	s_mov_b32 s8, 0x43000000
	v_readfirstlane_b32 s85, v3
	v_add_f32_e64 v3, |v2|, s8
	s_load_dword s89, s[4:5], 0x118
	v_readfirstlane_b32 s82, v3
	v_bfe_u32 v3, v2, 16, 1
	v_add_u32_e32 v3, v2, v3
	v_cvt_f16_f32_e32 v9, v2
	v_fmac_f64_e32 v[0:1], 0xc1f00000, v[4:5]
	s_movk_i32 s8, 0x7c
	v_add_u32_e32 v3, 0x7fff, v3
	v_cvt_u32_f64_e32 v0, v[0:1]
	s_cselect_b32 s83, 0x7f, s8
	v_lshrrev_b32_e32 v3, 16, v3
	v_mov_b32_e32 v6, 0x7fc0
	v_cmp_o_f32_e32 vcc, v2, v2
	v_cmp_neq_f64_e64 s[8:9], s[18:19], 0
	v_cvt_u32_f64_e32 v1, v[4:5]
	v_cvt_u32_f64_e32 v16, s[18:19]
	v_cndmask_b32_e32 v13, v6, v3, vcc
	s_mov_b64 s[72:73], 0
	v_cndmask_b32_e64 v11, 0, 1, s[8:9]
	v_cvt_i32_f64_e32 v5, v[4:5]
	v_mov_b32_e32 v4, v0
	v_cvt_i32_f64_e32 v8, s[18:19]
	v_cmp_gt_i32_e32 vcc, s90, v10
	s_mov_b64 s[10:11], -1
	s_mov_b64 s[66:67], 0
	s_and_saveexec_b64 s[68:69], vcc
	s_cbranch_execz .LBB47_114
; %bb.2:
	s_andn2_b64 vcc, exec, s[36:37]
	s_cbranch_vccnz .LBB47_7
; %bb.3:
	s_andn2_b64 vcc, exec, s[64:65]
	s_cbranch_vccnz .LBB47_8
; %bb.4:
	s_add_i32 s75, s91, 1
	s_mov_b32 s74, 0
	s_cmp_eq_u32 s80, 2
	v_mov_b32_e32 v6, 0
	s_cbranch_scc1 .LBB47_9
; %bb.5:
	s_and_b32 s74, s75, 28
	s_mov_b32 s76, 0
	v_mov_b32_e32 v6, 0
	s_mov_b64 s[66:67], s[4:5]
	s_mov_b64 s[70:71], s[62:63]
	v_mov_b32_e32 v3, v10
.LBB47_6:                               ; =>This Inner Loop Header: Depth=1
	s_load_dwordx8 s[8:15], s[66:67], 0x4
	s_load_dwordx4 s[24:27], s[66:67], 0x24
	s_load_dwordx4 s[28:31], s[70:71], 0x0
	s_add_u32 s66, s66, 48
	s_addc_u32 s67, s67, 0
	s_waitcnt lgkmcnt(0)
	v_mul_hi_u32 v7, s9, v3
	v_add_u32_e32 v7, v3, v7
	v_lshrrev_b32_e32 v7, s10, v7
	v_mul_lo_u32 v18, v7, s8
	v_mul_hi_u32 v19, s12, v7
	v_sub_u32_e32 v3, v3, v18
	v_add_u32_e32 v18, v7, v19
	v_lshrrev_b32_e32 v18, s13, v18
	v_mul_lo_u32 v19, v18, s11
	v_mul_hi_u32 v20, s15, v18
	v_sub_u32_e32 v7, v7, v19
	v_add_u32_e32 v19, v18, v20
	v_mul_lo_u32 v3, v3, s28
	v_mul_lo_u32 v7, v7, s29
	v_lshrrev_b32_e32 v19, s24, v19
	v_add3_u32 v6, v3, v6, v7
	v_mul_lo_u32 v3, v19, s14
	v_mul_hi_u32 v7, s26, v19
	v_sub_u32_e32 v3, v18, v3
	v_add_u32_e32 v7, v19, v7
	v_mul_lo_u32 v18, v3, s30
	v_lshrrev_b32_e32 v3, s27, v7
	s_add_i32 s76, s76, 4
	v_mul_lo_u32 v7, v3, s25
	s_add_u32 s70, s70, 16
	v_sub_u32_e32 v7, v19, v7
	s_addc_u32 s71, s71, 0
	v_mul_lo_u32 v7, v7, s31
	s_cmp_lg_u32 s74, s76
	v_add3_u32 v6, v18, v6, v7
	s_cbranch_scc1 .LBB47_6
	s_branch .LBB47_10
.LBB47_7:
                                        ; implicit-def: $vgpr6
	s_branch .LBB47_14
.LBB47_8:
	v_mov_b32_e32 v6, 0
	s_branch .LBB47_13
.LBB47_9:
	v_mov_b32_e32 v3, v10
.LBB47_10:
	s_and_b32 s12, s75, 3
	s_cmp_eq_u32 s12, 0
	s_cbranch_scc1 .LBB47_13
; %bb.11:
	s_lshl_b32 s8, s74, 2
	s_add_u32 s8, s8, s4
	s_addc_u32 s9, s5, 0
	s_add_u32 s8, s8, 0xc4
	s_addc_u32 s9, s9, 0
	s_mul_i32 s10, s74, 12
	s_add_u32 s10, s4, s10
	s_addc_u32 s11, s5, 0
.LBB47_12:                              ; =>This Inner Loop Header: Depth=1
	s_load_dwordx2 s[14:15], s[10:11], 0x4
	s_load_dword s13, s[10:11], 0xc
	s_load_dword s24, s[8:9], 0x0
	s_add_u32 s10, s10, 12
	s_addc_u32 s11, s11, 0
	s_waitcnt lgkmcnt(0)
	v_mul_hi_u32 v7, s15, v3
	v_add_u32_e32 v7, v3, v7
	v_lshrrev_b32_e32 v7, s13, v7
	s_add_u32 s8, s8, 4
	v_mul_lo_u32 v18, v7, s14
	s_addc_u32 s9, s9, 0
	s_add_i32 s12, s12, -1
	v_sub_u32_e32 v18, v3, v18
	s_cmp_lg_u32 s12, 0
	v_mov_b32_e32 v3, v7
	v_mad_u64_u32 v[6:7], s[14:15], v18, s24, v[6:7]
	s_cbranch_scc1 .LBB47_12
.LBB47_13:
	s_cbranch_execnz .LBB47_16
.LBB47_14:
	v_mul_hi_u32 v3, s21, v10
	v_add_u32_e32 v3, v10, v3
	v_lshrrev_b32_e32 v3, s22, v3
	v_mul_lo_u32 v6, v3, s20
	v_sub_u32_e32 v6, v10, v6
	s_andn2_b64 vcc, exec, s[60:61]
	v_mul_lo_u32 v6, v6, s56
	s_cbranch_vccnz .LBB47_16
; %bb.15:
	v_mul_hi_u32 v7, s58, v3
	v_add_u32_e32 v7, v3, v7
	v_lshrrev_b32_e32 v7, s59, v7
	v_mul_lo_u32 v7, v7, s23
	v_sub_u32_e32 v3, v3, v7
	v_mad_u64_u32 v[6:7], s[8:9], v3, s57, v[6:7]
.LBB47_16:
	v_mov_b32_e32 v3, s17
	v_add_co_u32_e32 v6, vcc, s16, v6
	v_addc_co_u32_e32 v7, vcc, 0, v3, vcc
	v_mov_b32_e32 v3, 11
	s_waitcnt lgkmcnt(0)
	v_cmp_lt_i16_sdwa s[8:9], s89, v3 src0_sel:BYTE_0 src1_sel:DWORD
	s_and_b64 vcc, exec, s[8:9]
	s_cbranch_vccnz .LBB47_23
; %bb.17:
	v_mov_b32_e32 v3, 25
	v_cmp_gt_i16_sdwa s[8:9], s89, v3 src0_sel:BYTE_0 src1_sel:DWORD
	s_and_b64 vcc, exec, s[8:9]
	s_cbranch_vccz .LBB47_26
; %bb.18:
	v_mov_b32_e32 v3, 28
	v_cmp_gt_i16_sdwa s[8:9], s89, v3 src0_sel:BYTE_0 src1_sel:DWORD
	s_and_b64 vcc, exec, s[8:9]
	s_cbranch_vccz .LBB47_27
	;; [unrolled: 5-line block ×4, first 2 shown]
; %bb.21:
	v_mov_b32_e32 v3, 46
	v_cmp_eq_u16_sdwa s[10:11], s89, v3 src0_sel:BYTE_0 src1_sel:DWORD
	s_mov_b64 s[12:13], 0
	s_mov_b64 s[8:9], -1
	s_and_b64 vcc, exec, s[10:11]
	s_mov_b64 s[10:11], 0
	s_cbranch_vccz .LBB47_30
; %bb.22:
	global_store_dword v[6:7], v13, off
	s_mov_b64 s[10:11], -1
	s_mov_b64 s[8:9], 0
	s_branch .LBB47_30
.LBB47_23:
	s_mov_b64 s[8:9], 0
	s_mov_b64 s[10:11], 0
	s_cbranch_execnz .LBB47_74
.LBB47_24:
	s_andn2_b64 vcc, exec, s[10:11]
	s_cbranch_vccnz .LBB47_112
.LBB47_25:
	v_add_u32_e32 v10, 0x80, v10
	s_mov_b64 s[10:11], -1
	s_branch .LBB47_113
.LBB47_26:
	s_mov_b64 s[8:9], 0
	s_mov_b64 s[10:11], 0
	s_cbranch_execnz .LBB47_52
	s_branch .LBB47_73
.LBB47_27:
	s_mov_b64 s[12:13], -1
	s_mov_b64 s[8:9], 0
	s_mov_b64 s[10:11], 0
	s_branch .LBB47_38
.LBB47_28:
	s_mov_b64 s[12:13], -1
	s_mov_b64 s[8:9], 0
	s_mov_b64 s[10:11], 0
	s_branch .LBB47_34
.LBB47_29:
	s_mov_b64 s[12:13], -1
	s_mov_b64 s[8:9], 0
	s_mov_b64 s[10:11], 0
.LBB47_30:
	s_and_b64 vcc, exec, s[12:13]
	s_cbranch_vccz .LBB47_33
; %bb.31:
	v_mov_b32_e32 v3, 44
	v_cmp_eq_u16_sdwa s[12:13], s89, v3 src0_sel:BYTE_0 src1_sel:DWORD
	s_mov_b64 s[8:9], -1
	s_and_b64 vcc, exec, s[12:13]
	s_cbranch_vccz .LBB47_33
; %bb.32:
	v_mov_b32_e32 v3, 0xff
	v_cndmask_b32_e64 v3, v17, v3, s[6:7]
	global_store_byte v[6:7], v3, off
	s_mov_b64 s[10:11], -1
	s_mov_b64 s[8:9], 0
.LBB47_33:
	s_mov_b64 s[12:13], 0
.LBB47_34:
	s_and_b64 vcc, exec, s[12:13]
	s_cbranch_vccz .LBB47_37
; %bb.35:
	v_mov_b32_e32 v3, 29
	v_cmp_eq_u16_sdwa s[12:13], s89, v3 src0_sel:BYTE_0 src1_sel:DWORD
	s_mov_b64 s[8:9], -1
	s_and_b64 vcc, exec, s[12:13]
	s_cbranch_vccz .LBB47_37
; %bb.36:
	global_store_dwordx2 v[6:7], v[0:1], off
	s_mov_b64 s[10:11], -1
	s_mov_b64 s[8:9], 0
.LBB47_37:
	s_mov_b64 s[12:13], 0
.LBB47_38:
	s_and_b64 vcc, exec, s[12:13]
	s_cbranch_vccz .LBB47_51
; %bb.39:
	v_mov_b32_e32 v3, 27
	v_cmp_lt_i16_sdwa s[12:13], s89, v3 src0_sel:BYTE_0 src1_sel:DWORD
	s_mov_b64 s[10:11], -1
	s_and_b64 vcc, exec, s[12:13]
	s_cbranch_vccnz .LBB47_45
; %bb.40:
	v_cmp_gt_i16_sdwa s[12:13], s89, v3 src0_sel:BYTE_0 src1_sel:DWORD
	s_and_b64 vcc, exec, s[12:13]
	s_cbranch_vccz .LBB47_42
; %bb.41:
	s_mov_b64 s[10:11], 0
	global_store_dword v[6:7], v16, off
.LBB47_42:
	s_andn2_b64 vcc, exec, s[10:11]
	s_cbranch_vccnz .LBB47_44
; %bb.43:
	global_store_short v[6:7], v16, off
.LBB47_44:
	s_mov_b64 s[10:11], 0
.LBB47_45:
	s_andn2_b64 vcc, exec, s[10:11]
	s_cbranch_vccnz .LBB47_50
; %bb.46:
	s_andn2_b64 vcc, exec, s[52:53]
	v_mov_b32_e32 v3, 0x80
	s_cbranch_vccnz .LBB47_49
; %bb.47:
	s_or_b64 s[10:11], s[2:3], s[54:55]
	s_andn2_b64 vcc, exec, s[10:11]
	v_mov_b32_e32 v3, 0
	s_cbranch_vccnz .LBB47_49
; %bb.48:
	v_mov_b32_e32 v3, s88
	v_cndmask_b32_e64 v3, v15, v3, s[2:3]
	v_or_b32_e32 v3, v3, v12
.LBB47_49:
	global_store_byte v[6:7], v3, off
.LBB47_50:
	s_mov_b64 s[10:11], -1
.LBB47_51:
	s_branch .LBB47_73
.LBB47_52:
	v_mov_b32_e32 v3, 22
	v_cmp_gt_i16_sdwa s[14:15], s89, v3 src0_sel:BYTE_0 src1_sel:DWORD
	s_mov_b64 s[12:13], -1
	s_and_b64 vcc, exec, s[14:15]
	s_cbranch_vccz .LBB47_65
; %bb.53:
	v_mov_b32_e32 v3, 24
	v_cmp_lt_i16_sdwa s[12:13], s89, v3 src0_sel:BYTE_0 src1_sel:DWORD
	s_mov_b64 s[10:11], -1
	s_and_b64 vcc, exec, s[12:13]
	s_cbranch_vccnz .LBB47_62
; %bb.54:
	v_cmp_gt_i16_sdwa s[12:13], s89, v3 src0_sel:BYTE_0 src1_sel:DWORD
	s_and_b64 vcc, exec, s[12:13]
	s_cbranch_vccz .LBB47_59
; %bb.55:
	s_andn2_b64 vcc, exec, s[48:49]
	v_mov_b32_e32 v3, 0x80
	s_cbranch_vccnz .LBB47_58
; %bb.56:
	s_or_b64 s[10:11], s[0:1], s[50:51]
	s_andn2_b64 vcc, exec, s[10:11]
	v_mov_b32_e32 v3, 0
	s_cbranch_vccnz .LBB47_58
; %bb.57:
	v_mov_b32_e32 v3, s86
	v_cndmask_b32_e64 v3, v14, v3, s[0:1]
	v_or_b32_e32 v3, v3, v12
.LBB47_58:
	s_mov_b64 s[10:11], 0
	global_store_byte v[6:7], v3, off
.LBB47_59:
	s_and_b64 vcc, exec, s[10:11]
	s_cbranch_vccz .LBB47_61
; %bb.60:
	s_and_b64 s[10:11], s[46:47], exec
	s_cselect_b32 s12, s85, s84
	s_and_b64 s[10:11], s[44:45], exec
	s_cselect_b32 s10, s87, s12
	v_or_b32_e32 v3, s10, v12
	global_store_byte v[6:7], v3, off
.LBB47_61:
	s_mov_b64 s[10:11], 0
.LBB47_62:
	s_andn2_b64 vcc, exec, s[10:11]
	s_cbranch_vccnz .LBB47_64
; %bb.63:
	s_and_b64 s[10:11], s[42:43], exec
	s_cselect_b32 s12, s82, s81
	s_and_b64 s[10:11], s[40:41], exec
	s_cselect_b32 s10, s83, s12
	v_or_b32_e32 v3, s10, v12
	global_store_byte v[6:7], v3, off
.LBB47_64:
	s_mov_b64 s[12:13], 0
	s_mov_b64 s[10:11], -1
.LBB47_65:
	s_andn2_b64 vcc, exec, s[12:13]
	s_cbranch_vccnz .LBB47_73
; %bb.66:
	v_mov_b32_e32 v3, 14
	v_cmp_gt_i16_sdwa s[14:15], s89, v3 src0_sel:BYTE_0 src1_sel:DWORD
	s_mov_b64 s[12:13], -1
	s_and_b64 vcc, exec, s[14:15]
	s_cbranch_vccz .LBB47_70
; %bb.67:
	v_mov_b32_e32 v3, 15
	v_cmp_eq_u16_sdwa s[12:13], s89, v3 src0_sel:BYTE_0 src1_sel:DWORD
	s_mov_b64 s[8:9], -1
	s_and_b64 vcc, exec, s[12:13]
	s_cbranch_vccz .LBB47_69
; %bb.68:
	global_store_short v[6:7], v13, off
	s_mov_b64 s[10:11], -1
	s_mov_b64 s[8:9], 0
.LBB47_69:
	s_mov_b64 s[12:13], 0
.LBB47_70:
	s_and_b64 vcc, exec, s[12:13]
	s_cbranch_vccz .LBB47_73
; %bb.71:
	v_mov_b32_e32 v3, 11
	v_cmp_eq_u16_sdwa s[12:13], s89, v3 src0_sel:BYTE_0 src1_sel:DWORD
	s_mov_b64 s[8:9], -1
	s_and_b64 vcc, exec, s[12:13]
	s_cbranch_vccz .LBB47_73
; %bb.72:
	s_mov_b64 s[10:11], -1
	s_mov_b64 s[8:9], 0
	global_store_byte v[6:7], v11, off
.LBB47_73:
	s_branch .LBB47_24
.LBB47_74:
	v_mov_b32_e32 v3, 5
	v_cmp_lt_i16_sdwa s[12:13], s89, v3 src0_sel:BYTE_0 src1_sel:DWORD
	s_mov_b64 s[10:11], -1
	s_and_b64 vcc, exec, s[12:13]
	s_cbranch_vccnz .LBB47_95
; %bb.75:
	v_mov_b32_e32 v3, 8
	v_cmp_lt_i16_sdwa s[12:13], s89, v3 src0_sel:BYTE_0 src1_sel:DWORD
	s_and_b64 vcc, exec, s[12:13]
	s_cbranch_vccnz .LBB47_85
; %bb.76:
	v_mov_b32_e32 v3, 9
	v_cmp_lt_i16_sdwa s[12:13], s89, v3 src0_sel:BYTE_0 src1_sel:DWORD
	s_and_b64 vcc, exec, s[12:13]
	s_cbranch_vccnz .LBB47_82
; %bb.77:
	v_cmp_gt_i16_sdwa s[12:13], s89, v3 src0_sel:BYTE_0 src1_sel:DWORD
	s_and_b64 vcc, exec, s[12:13]
	s_cbranch_vccz .LBB47_79
; %bb.78:
	v_mov_b32_e32 v20, 0
	v_mov_b32_e32 v18, s18
	v_mov_b32_e32 v19, s19
	v_mov_b32_e32 v21, v20
	global_store_dwordx4 v[6:7], v[18:21], off
	s_mov_b64 s[10:11], 0
.LBB47_79:
	s_andn2_b64 vcc, exec, s[10:11]
	s_cbranch_vccnz .LBB47_81
; %bb.80:
	v_mov_b32_e32 v3, 0
	global_store_dwordx2 v[6:7], v[2:3], off
.LBB47_81:
	s_mov_b64 s[10:11], 0
.LBB47_82:
	s_andn2_b64 vcc, exec, s[10:11]
	s_cbranch_vccnz .LBB47_84
; %bb.83:
	global_store_dword v[6:7], v9, off
.LBB47_84:
	s_mov_b64 s[10:11], 0
.LBB47_85:
	s_andn2_b64 vcc, exec, s[10:11]
	s_cbranch_vccnz .LBB47_94
; %bb.86:
	v_mov_b32_e32 v3, 6
	v_cmp_lt_i16_sdwa s[12:13], s89, v3 src0_sel:BYTE_0 src1_sel:DWORD
	s_mov_b64 s[10:11], -1
	s_and_b64 vcc, exec, s[12:13]
	s_cbranch_vccnz .LBB47_92
; %bb.87:
	v_cmp_gt_i16_sdwa s[12:13], s89, v3 src0_sel:BYTE_0 src1_sel:DWORD
	s_and_b64 vcc, exec, s[12:13]
	s_cbranch_vccz .LBB47_89
; %bb.88:
	v_pk_mov_b32 v[18:19], s[18:19], s[18:19] op_sel:[0,1]
	global_store_dwordx2 v[6:7], v[18:19], off
	s_mov_b64 s[10:11], 0
.LBB47_89:
	s_andn2_b64 vcc, exec, s[10:11]
	s_cbranch_vccnz .LBB47_91
; %bb.90:
	global_store_dword v[6:7], v2, off
.LBB47_91:
	s_mov_b64 s[10:11], 0
.LBB47_92:
	s_andn2_b64 vcc, exec, s[10:11]
	s_cbranch_vccnz .LBB47_94
; %bb.93:
	global_store_short v[6:7], v9, off
.LBB47_94:
	s_mov_b64 s[10:11], 0
.LBB47_95:
	s_andn2_b64 vcc, exec, s[10:11]
	s_cbranch_vccnz .LBB47_111
; %bb.96:
	v_mov_b32_e32 v3, 2
	v_cmp_lt_i16_sdwa s[12:13], s89, v3 src0_sel:BYTE_0 src1_sel:DWORD
	s_mov_b64 s[10:11], -1
	s_and_b64 vcc, exec, s[12:13]
	s_cbranch_vccnz .LBB47_106
; %bb.97:
	v_mov_b32_e32 v3, 3
	v_cmp_lt_i16_sdwa s[12:13], s89, v3 src0_sel:BYTE_0 src1_sel:DWORD
	s_and_b64 vcc, exec, s[12:13]
	s_cbranch_vccnz .LBB47_103
; %bb.98:
	v_cmp_gt_i16_sdwa s[12:13], s89, v3 src0_sel:BYTE_0 src1_sel:DWORD
	s_and_b64 vcc, exec, s[12:13]
	s_cbranch_vccz .LBB47_100
; %bb.99:
	global_store_dwordx2 v[6:7], v[4:5], off
	s_mov_b64 s[10:11], 0
.LBB47_100:
	s_andn2_b64 vcc, exec, s[10:11]
	s_cbranch_vccnz .LBB47_102
; %bb.101:
	global_store_dword v[6:7], v8, off
.LBB47_102:
	s_mov_b64 s[10:11], 0
.LBB47_103:
	s_andn2_b64 vcc, exec, s[10:11]
	s_cbranch_vccnz .LBB47_105
; %bb.104:
	global_store_short v[6:7], v8, off
.LBB47_105:
	s_mov_b64 s[10:11], 0
.LBB47_106:
	s_andn2_b64 vcc, exec, s[10:11]
	s_cbranch_vccnz .LBB47_111
; %bb.107:
	v_mov_b32_e32 v3, 0
	v_cmp_gt_i16_sdwa s[12:13], s89, v3 src0_sel:BYTE_0 src1_sel:DWORD
	s_mov_b64 s[10:11], -1
	s_and_b64 vcc, exec, s[12:13]
	s_cbranch_vccz .LBB47_109
; %bb.108:
	global_store_byte v[6:7], v8, off
	s_mov_b64 s[10:11], 0
.LBB47_109:
	s_andn2_b64 vcc, exec, s[10:11]
	s_cbranch_vccnz .LBB47_111
; %bb.110:
	global_store_byte v[6:7], v0, off
.LBB47_111:
	s_branch .LBB47_25
.LBB47_112:
	s_mov_b64 s[10:11], 0
                                        ; implicit-def: $vgpr10
.LBB47_113:
	s_and_b64 s[66:67], s[8:9], exec
	s_orn2_b64 s[10:11], s[10:11], exec
.LBB47_114:
	s_or_b64 exec, exec, s[68:69]
	s_mov_b64 s[8:9], 0
                                        ; implicit-def: $vgpr18
                                        ; implicit-def: $vgpr6_vgpr7
	s_and_saveexec_b64 s[68:69], s[10:11]
	s_cbranch_execz .LBB47_121
; %bb.115:
	v_cmp_gt_i32_e32 vcc, s90, v10
	s_mov_b64 s[8:9], -1
	s_mov_b64 s[70:71], s[66:67]
	s_and_saveexec_b64 s[72:73], vcc
	s_cbranch_execz .LBB47_232
; %bb.116:
	s_andn2_b64 vcc, exec, s[36:37]
	s_cbranch_vccnz .LBB47_124
; %bb.117:
	s_andn2_b64 vcc, exec, s[64:65]
	s_cbranch_vccnz .LBB47_125
; %bb.118:
	s_add_i32 s77, s91, 1
	s_mov_b32 s76, 0
	s_cmp_eq_u32 s80, 2
	v_mov_b32_e32 v6, 0
	s_cbranch_scc1 .LBB47_126
; %bb.119:
	s_and_b32 s76, s77, 28
	s_mov_b32 s78, 0
	v_mov_b32_e32 v6, 0
	s_mov_b64 s[70:71], s[4:5]
	s_mov_b64 s[74:75], s[62:63]
	v_mov_b32_e32 v3, v10
.LBB47_120:                             ; =>This Inner Loop Header: Depth=1
	s_load_dwordx8 s[8:15], s[70:71], 0x4
	s_load_dwordx4 s[24:27], s[70:71], 0x24
	s_load_dwordx4 s[28:31], s[74:75], 0x0
	s_add_u32 s70, s70, 48
	s_addc_u32 s71, s71, 0
	s_waitcnt lgkmcnt(0)
	v_mul_hi_u32 v7, s9, v3
	v_add_u32_e32 v7, v3, v7
	v_lshrrev_b32_e32 v7, s10, v7
	v_mul_lo_u32 v18, v7, s8
	v_mul_hi_u32 v19, s12, v7
	v_sub_u32_e32 v3, v3, v18
	v_add_u32_e32 v18, v7, v19
	v_lshrrev_b32_e32 v18, s13, v18
	v_mul_lo_u32 v19, v18, s11
	v_mul_hi_u32 v20, s15, v18
	v_sub_u32_e32 v7, v7, v19
	v_add_u32_e32 v19, v18, v20
	v_mul_lo_u32 v3, v3, s28
	v_mul_lo_u32 v7, v7, s29
	v_lshrrev_b32_e32 v19, s24, v19
	v_add3_u32 v6, v3, v6, v7
	v_mul_lo_u32 v3, v19, s14
	v_mul_hi_u32 v7, s26, v19
	v_sub_u32_e32 v3, v18, v3
	v_add_u32_e32 v7, v19, v7
	v_mul_lo_u32 v18, v3, s30
	v_lshrrev_b32_e32 v3, s27, v7
	s_add_i32 s78, s78, 4
	v_mul_lo_u32 v7, v3, s25
	s_add_u32 s74, s74, 16
	v_sub_u32_e32 v7, v19, v7
	s_addc_u32 s75, s75, 0
	v_mul_lo_u32 v7, v7, s31
	s_cmp_eq_u32 s76, s78
	v_add3_u32 v6, v18, v6, v7
	s_cbranch_scc0 .LBB47_120
	s_branch .LBB47_127
.LBB47_121:
	s_or_b64 exec, exec, s[68:69]
	s_mov_b64 s[0:1], 0
	s_and_saveexec_b64 s[2:3], s[66:67]
	s_cbranch_execnz .LBB47_422
.LBB47_122:
	s_or_b64 exec, exec, s[2:3]
	s_and_saveexec_b64 s[2:3], s[72:73]
	s_xor_b64 s[2:3], exec, s[2:3]
	s_cbranch_execz .LBB47_423
.LBB47_123:
	global_store_byte v[6:7], v11, off
	s_or_b64 exec, exec, s[2:3]
	s_and_saveexec_b64 s[2:3], s[8:9]
	s_xor_b64 s[2:3], exec, s[2:3]
	s_cbranch_execz .LBB47_461
	s_branch .LBB47_424
.LBB47_124:
                                        ; implicit-def: $vgpr6
	s_andn2_b64 vcc, exec, s[8:9]
	s_cbranch_vccz .LBB47_131
	s_branch .LBB47_133
.LBB47_125:
	v_mov_b32_e32 v6, 0
	s_branch .LBB47_130
.LBB47_126:
	v_mov_b32_e32 v3, v10
.LBB47_127:
	s_and_b32 s12, s77, 3
	s_cmp_eq_u32 s12, 0
	s_cbranch_scc1 .LBB47_130
; %bb.128:
	s_lshl_b32 s8, s76, 2
	s_add_u32 s8, s8, s4
	s_addc_u32 s9, s5, 0
	s_add_u32 s8, s8, 0xc4
	s_addc_u32 s9, s9, 0
	s_mul_i32 s10, s76, 12
	s_add_u32 s10, s4, s10
	s_addc_u32 s11, s5, 0
.LBB47_129:                             ; =>This Inner Loop Header: Depth=1
	s_load_dwordx2 s[14:15], s[10:11], 0x4
	s_load_dword s13, s[10:11], 0xc
	s_load_dword s24, s[8:9], 0x0
	s_add_u32 s10, s10, 12
	s_addc_u32 s11, s11, 0
	s_waitcnt lgkmcnt(0)
	v_mul_hi_u32 v7, s15, v3
	v_add_u32_e32 v7, v3, v7
	v_lshrrev_b32_e32 v7, s13, v7
	s_add_u32 s8, s8, 4
	v_mul_lo_u32 v18, v7, s14
	s_addc_u32 s9, s9, 0
	s_add_i32 s12, s12, -1
	v_sub_u32_e32 v18, v3, v18
	s_cmp_lg_u32 s12, 0
	v_mov_b32_e32 v3, v7
	v_mad_u64_u32 v[6:7], s[14:15], v18, s24, v[6:7]
	s_cbranch_scc1 .LBB47_129
.LBB47_130:
	s_cbranch_execnz .LBB47_133
.LBB47_131:
	v_mul_hi_u32 v3, s21, v10
	v_add_u32_e32 v3, v10, v3
	v_lshrrev_b32_e32 v3, s22, v3
	v_mul_lo_u32 v6, v3, s20
	v_sub_u32_e32 v6, v10, v6
	s_andn2_b64 vcc, exec, s[60:61]
	v_mul_lo_u32 v6, v6, s56
	s_cbranch_vccnz .LBB47_133
; %bb.132:
	v_mul_hi_u32 v7, s58, v3
	v_add_u32_e32 v7, v3, v7
	v_lshrrev_b32_e32 v7, s59, v7
	v_mul_lo_u32 v7, v7, s23
	v_sub_u32_e32 v3, v3, v7
	v_mad_u64_u32 v[6:7], s[8:9], v3, s57, v[6:7]
.LBB47_133:
	v_mov_b32_e32 v3, s17
	v_add_co_u32_e32 v6, vcc, s16, v6
	v_addc_co_u32_e32 v7, vcc, 0, v3, vcc
	v_mov_b32_e32 v3, 11
	s_waitcnt lgkmcnt(0)
	v_cmp_lt_i16_sdwa s[8:9], s89, v3 src0_sel:BYTE_0 src1_sel:DWORD
	s_and_b64 vcc, exec, s[8:9]
	s_cbranch_vccnz .LBB47_140
; %bb.134:
	v_mov_b32_e32 v3, 25
	v_cmp_gt_i16_sdwa s[8:9], s89, v3 src0_sel:BYTE_0 src1_sel:DWORD
	s_and_b64 vcc, exec, s[8:9]
	s_cbranch_vccz .LBB47_143
; %bb.135:
	v_mov_b32_e32 v3, 28
	v_cmp_gt_i16_sdwa s[8:9], s89, v3 src0_sel:BYTE_0 src1_sel:DWORD
	s_and_b64 vcc, exec, s[8:9]
	s_cbranch_vccz .LBB47_144
	;; [unrolled: 5-line block ×4, first 2 shown]
; %bb.138:
	v_mov_b32_e32 v3, 46
	v_cmp_eq_u16_sdwa s[10:11], s89, v3 src0_sel:BYTE_0 src1_sel:DWORD
	s_mov_b64 s[12:13], 0
	s_mov_b64 s[8:9], -1
	s_and_b64 vcc, exec, s[10:11]
	s_mov_b64 s[10:11], 0
	s_cbranch_vccz .LBB47_147
; %bb.139:
	global_store_dword v[6:7], v13, off
	s_mov_b64 s[10:11], -1
	s_mov_b64 s[8:9], 0
	s_branch .LBB47_147
.LBB47_140:
	s_mov_b64 s[10:11], 0
	s_mov_b64 s[8:9], s[66:67]
	s_cbranch_execnz .LBB47_192
.LBB47_141:
	s_andn2_b64 vcc, exec, s[10:11]
	s_cbranch_vccnz .LBB47_230
.LBB47_142:
	v_add_u32_e32 v10, 0x80, v10
	s_mov_b64 s[10:11], -1
	s_branch .LBB47_231
.LBB47_143:
	s_mov_b64 s[12:13], -1
	s_mov_b64 s[10:11], 0
	s_mov_b64 s[8:9], s[66:67]
	s_branch .LBB47_169
.LBB47_144:
	s_mov_b64 s[12:13], -1
	s_mov_b64 s[10:11], 0
	s_mov_b64 s[8:9], s[66:67]
	s_branch .LBB47_155
.LBB47_145:
	s_mov_b64 s[12:13], -1
	s_mov_b64 s[10:11], 0
	s_mov_b64 s[8:9], s[66:67]
	s_branch .LBB47_151
.LBB47_146:
	s_mov_b64 s[12:13], -1
	s_mov_b64 s[10:11], 0
	s_mov_b64 s[8:9], s[66:67]
.LBB47_147:
	s_and_b64 vcc, exec, s[12:13]
	s_cbranch_vccz .LBB47_150
; %bb.148:
	v_mov_b32_e32 v3, 44
	v_cmp_eq_u16_sdwa s[12:13], s89, v3 src0_sel:BYTE_0 src1_sel:DWORD
	s_mov_b64 s[8:9], -1
	s_and_b64 vcc, exec, s[12:13]
	s_cbranch_vccz .LBB47_150
; %bb.149:
	v_mov_b32_e32 v3, 0xff
	v_cndmask_b32_e64 v3, v17, v3, s[6:7]
	s_mov_b64 s[10:11], -1
	s_mov_b64 s[8:9], 0
	global_store_byte v[6:7], v3, off
.LBB47_150:
	s_mov_b64 s[12:13], 0
.LBB47_151:
	s_and_b64 vcc, exec, s[12:13]
	s_cbranch_vccz .LBB47_154
; %bb.152:
	v_mov_b32_e32 v3, 29
	v_cmp_eq_u16_sdwa s[12:13], s89, v3 src0_sel:BYTE_0 src1_sel:DWORD
	s_mov_b64 s[8:9], -1
	s_and_b64 vcc, exec, s[12:13]
	s_cbranch_vccz .LBB47_154
; %bb.153:
	global_store_dwordx2 v[6:7], v[0:1], off
	s_mov_b64 s[10:11], -1
	s_mov_b64 s[8:9], 0
.LBB47_154:
	s_mov_b64 s[12:13], 0
.LBB47_155:
	s_and_b64 vcc, exec, s[12:13]
	s_cbranch_vccz .LBB47_168
; %bb.156:
	v_mov_b32_e32 v3, 27
	v_cmp_lt_i16_sdwa s[12:13], s89, v3 src0_sel:BYTE_0 src1_sel:DWORD
	s_mov_b64 s[10:11], -1
	s_and_b64 vcc, exec, s[12:13]
	s_cbranch_vccnz .LBB47_162
; %bb.157:
	v_cmp_gt_i16_sdwa s[12:13], s89, v3 src0_sel:BYTE_0 src1_sel:DWORD
	s_and_b64 vcc, exec, s[12:13]
	s_cbranch_vccz .LBB47_159
; %bb.158:
	s_mov_b64 s[10:11], 0
	global_store_dword v[6:7], v16, off
.LBB47_159:
	s_andn2_b64 vcc, exec, s[10:11]
	s_cbranch_vccnz .LBB47_161
; %bb.160:
	global_store_short v[6:7], v16, off
.LBB47_161:
	s_mov_b64 s[10:11], 0
.LBB47_162:
	s_andn2_b64 vcc, exec, s[10:11]
	s_cbranch_vccnz .LBB47_167
; %bb.163:
	s_andn2_b64 vcc, exec, s[52:53]
	v_mov_b32_e32 v3, 0x80
	s_cbranch_vccnz .LBB47_166
; %bb.164:
	s_or_b64 s[10:11], s[2:3], s[54:55]
	s_andn2_b64 vcc, exec, s[10:11]
	v_mov_b32_e32 v3, 0
	s_cbranch_vccnz .LBB47_166
; %bb.165:
	v_mov_b32_e32 v3, s88
	v_cndmask_b32_e64 v3, v15, v3, s[2:3]
	v_or_b32_e32 v3, v3, v12
.LBB47_166:
	global_store_byte v[6:7], v3, off
.LBB47_167:
	s_mov_b64 s[10:11], -1
.LBB47_168:
	s_mov_b64 s[12:13], 0
.LBB47_169:
	s_and_b64 vcc, exec, s[12:13]
	s_cbranch_vccz .LBB47_191
; %bb.170:
	v_mov_b32_e32 v3, 22
	v_cmp_gt_i16_sdwa s[14:15], s89, v3 src0_sel:BYTE_0 src1_sel:DWORD
	s_mov_b64 s[12:13], -1
	s_and_b64 vcc, exec, s[14:15]
	s_cbranch_vccz .LBB47_183
; %bb.171:
	v_mov_b32_e32 v3, 24
	v_cmp_lt_i16_sdwa s[12:13], s89, v3 src0_sel:BYTE_0 src1_sel:DWORD
	s_mov_b64 s[10:11], -1
	s_and_b64 vcc, exec, s[12:13]
	s_cbranch_vccnz .LBB47_180
; %bb.172:
	v_cmp_gt_i16_sdwa s[12:13], s89, v3 src0_sel:BYTE_0 src1_sel:DWORD
	s_and_b64 vcc, exec, s[12:13]
	s_cbranch_vccz .LBB47_177
; %bb.173:
	s_andn2_b64 vcc, exec, s[48:49]
	v_mov_b32_e32 v3, 0x80
	s_cbranch_vccnz .LBB47_176
; %bb.174:
	s_or_b64 s[10:11], s[0:1], s[50:51]
	s_andn2_b64 vcc, exec, s[10:11]
	v_mov_b32_e32 v3, 0
	s_cbranch_vccnz .LBB47_176
; %bb.175:
	v_mov_b32_e32 v3, s86
	v_cndmask_b32_e64 v3, v14, v3, s[0:1]
	v_or_b32_e32 v3, v3, v12
.LBB47_176:
	s_mov_b64 s[10:11], 0
	global_store_byte v[6:7], v3, off
.LBB47_177:
	s_and_b64 vcc, exec, s[10:11]
	s_cbranch_vccz .LBB47_179
; %bb.178:
	s_and_b64 s[10:11], s[46:47], exec
	s_cselect_b32 s12, s85, s84
	s_and_b64 s[10:11], s[44:45], exec
	s_cselect_b32 s10, s87, s12
	v_or_b32_e32 v3, s10, v12
	global_store_byte v[6:7], v3, off
.LBB47_179:
	s_mov_b64 s[10:11], 0
.LBB47_180:
	s_andn2_b64 vcc, exec, s[10:11]
	s_cbranch_vccnz .LBB47_182
; %bb.181:
	s_and_b64 s[10:11], s[42:43], exec
	s_cselect_b32 s12, s82, s81
	s_and_b64 s[10:11], s[40:41], exec
	s_cselect_b32 s10, s83, s12
	v_or_b32_e32 v3, s10, v12
	global_store_byte v[6:7], v3, off
.LBB47_182:
	s_mov_b64 s[12:13], 0
	s_mov_b64 s[10:11], -1
.LBB47_183:
	s_andn2_b64 vcc, exec, s[12:13]
	s_cbranch_vccnz .LBB47_191
; %bb.184:
	v_mov_b32_e32 v3, 14
	v_cmp_gt_i16_sdwa s[14:15], s89, v3 src0_sel:BYTE_0 src1_sel:DWORD
	s_mov_b64 s[12:13], -1
	s_and_b64 vcc, exec, s[14:15]
	s_cbranch_vccz .LBB47_188
; %bb.185:
	v_mov_b32_e32 v3, 15
	v_cmp_eq_u16_sdwa s[12:13], s89, v3 src0_sel:BYTE_0 src1_sel:DWORD
	s_mov_b64 s[8:9], -1
	s_and_b64 vcc, exec, s[12:13]
	s_cbranch_vccz .LBB47_187
; %bb.186:
	global_store_short v[6:7], v13, off
	s_mov_b64 s[10:11], -1
	s_mov_b64 s[8:9], 0
.LBB47_187:
	s_mov_b64 s[12:13], 0
.LBB47_188:
	s_and_b64 vcc, exec, s[12:13]
	s_cbranch_vccz .LBB47_191
; %bb.189:
	v_mov_b32_e32 v3, 11
	v_cmp_eq_u16_sdwa s[12:13], s89, v3 src0_sel:BYTE_0 src1_sel:DWORD
	s_mov_b64 s[8:9], -1
	s_and_b64 vcc, exec, s[12:13]
	s_cbranch_vccz .LBB47_191
; %bb.190:
	s_mov_b64 s[10:11], -1
	s_mov_b64 s[8:9], 0
	global_store_byte v[6:7], v11, off
.LBB47_191:
	s_branch .LBB47_141
.LBB47_192:
	v_mov_b32_e32 v3, 5
	v_cmp_lt_i16_sdwa s[12:13], s89, v3 src0_sel:BYTE_0 src1_sel:DWORD
	s_mov_b64 s[10:11], -1
	s_and_b64 vcc, exec, s[12:13]
	s_cbranch_vccnz .LBB47_213
; %bb.193:
	v_mov_b32_e32 v3, 8
	v_cmp_lt_i16_sdwa s[12:13], s89, v3 src0_sel:BYTE_0 src1_sel:DWORD
	s_and_b64 vcc, exec, s[12:13]
	s_cbranch_vccnz .LBB47_203
; %bb.194:
	v_mov_b32_e32 v3, 9
	v_cmp_lt_i16_sdwa s[12:13], s89, v3 src0_sel:BYTE_0 src1_sel:DWORD
	s_and_b64 vcc, exec, s[12:13]
	s_cbranch_vccnz .LBB47_200
; %bb.195:
	v_cmp_gt_i16_sdwa s[12:13], s89, v3 src0_sel:BYTE_0 src1_sel:DWORD
	s_and_b64 vcc, exec, s[12:13]
	s_cbranch_vccz .LBB47_197
; %bb.196:
	v_mov_b32_e32 v20, 0
	v_mov_b32_e32 v18, s18
	;; [unrolled: 1-line block ×4, first 2 shown]
	s_mov_b64 s[10:11], 0
	global_store_dwordx4 v[6:7], v[18:21], off
.LBB47_197:
	s_andn2_b64 vcc, exec, s[10:11]
	s_cbranch_vccnz .LBB47_199
; %bb.198:
	v_mov_b32_e32 v3, 0
	global_store_dwordx2 v[6:7], v[2:3], off
.LBB47_199:
	s_mov_b64 s[10:11], 0
.LBB47_200:
	s_andn2_b64 vcc, exec, s[10:11]
	s_cbranch_vccnz .LBB47_202
; %bb.201:
	global_store_dword v[6:7], v9, off
.LBB47_202:
	s_mov_b64 s[10:11], 0
.LBB47_203:
	s_andn2_b64 vcc, exec, s[10:11]
	s_cbranch_vccnz .LBB47_212
; %bb.204:
	v_mov_b32_e32 v3, 6
	v_cmp_lt_i16_sdwa s[12:13], s89, v3 src0_sel:BYTE_0 src1_sel:DWORD
	s_mov_b64 s[10:11], -1
	s_and_b64 vcc, exec, s[12:13]
	s_cbranch_vccnz .LBB47_210
; %bb.205:
	v_cmp_gt_i16_sdwa s[12:13], s89, v3 src0_sel:BYTE_0 src1_sel:DWORD
	s_and_b64 vcc, exec, s[12:13]
	s_cbranch_vccz .LBB47_207
; %bb.206:
	v_pk_mov_b32 v[18:19], s[18:19], s[18:19] op_sel:[0,1]
	s_mov_b64 s[10:11], 0
	global_store_dwordx2 v[6:7], v[18:19], off
.LBB47_207:
	s_andn2_b64 vcc, exec, s[10:11]
	s_cbranch_vccnz .LBB47_209
; %bb.208:
	global_store_dword v[6:7], v2, off
.LBB47_209:
	s_mov_b64 s[10:11], 0
.LBB47_210:
	s_andn2_b64 vcc, exec, s[10:11]
	s_cbranch_vccnz .LBB47_212
; %bb.211:
	global_store_short v[6:7], v9, off
.LBB47_212:
	s_mov_b64 s[10:11], 0
.LBB47_213:
	s_andn2_b64 vcc, exec, s[10:11]
	s_cbranch_vccnz .LBB47_229
; %bb.214:
	v_mov_b32_e32 v3, 2
	v_cmp_lt_i16_sdwa s[12:13], s89, v3 src0_sel:BYTE_0 src1_sel:DWORD
	s_mov_b64 s[10:11], -1
	s_and_b64 vcc, exec, s[12:13]
	s_cbranch_vccnz .LBB47_224
; %bb.215:
	v_mov_b32_e32 v3, 3
	v_cmp_lt_i16_sdwa s[12:13], s89, v3 src0_sel:BYTE_0 src1_sel:DWORD
	s_and_b64 vcc, exec, s[12:13]
	s_cbranch_vccnz .LBB47_221
; %bb.216:
	v_cmp_gt_i16_sdwa s[12:13], s89, v3 src0_sel:BYTE_0 src1_sel:DWORD
	s_and_b64 vcc, exec, s[12:13]
	s_cbranch_vccz .LBB47_218
; %bb.217:
	s_mov_b64 s[10:11], 0
	global_store_dwordx2 v[6:7], v[4:5], off
.LBB47_218:
	s_andn2_b64 vcc, exec, s[10:11]
	s_cbranch_vccnz .LBB47_220
; %bb.219:
	global_store_dword v[6:7], v8, off
.LBB47_220:
	s_mov_b64 s[10:11], 0
.LBB47_221:
	s_andn2_b64 vcc, exec, s[10:11]
	s_cbranch_vccnz .LBB47_223
; %bb.222:
	global_store_short v[6:7], v8, off
.LBB47_223:
	s_mov_b64 s[10:11], 0
.LBB47_224:
	s_andn2_b64 vcc, exec, s[10:11]
	s_cbranch_vccnz .LBB47_229
; %bb.225:
	v_mov_b32_e32 v3, 0
	v_cmp_gt_i16_sdwa s[12:13], s89, v3 src0_sel:BYTE_0 src1_sel:DWORD
	s_mov_b64 s[10:11], -1
	s_and_b64 vcc, exec, s[12:13]
	s_cbranch_vccz .LBB47_227
; %bb.226:
	s_mov_b64 s[10:11], 0
	global_store_byte v[6:7], v8, off
.LBB47_227:
	s_andn2_b64 vcc, exec, s[10:11]
	s_cbranch_vccnz .LBB47_229
; %bb.228:
	global_store_byte v[6:7], v0, off
.LBB47_229:
	s_branch .LBB47_142
.LBB47_230:
	s_mov_b64 s[10:11], 0
                                        ; implicit-def: $vgpr10
.LBB47_231:
	s_andn2_b64 s[12:13], s[66:67], exec
	s_and_b64 s[8:9], s[8:9], exec
	s_or_b64 s[70:71], s[12:13], s[8:9]
	s_orn2_b64 s[8:9], s[10:11], exec
.LBB47_232:
	s_or_b64 exec, exec, s[72:73]
	s_mov_b64 s[10:11], 0
	s_mov_b64 s[12:13], 0
                                        ; implicit-def: $vgpr18
                                        ; implicit-def: $vgpr6_vgpr7
	s_and_saveexec_b64 s[72:73], s[8:9]
	s_cbranch_execz .LBB47_421
; %bb.233:
	v_cmp_gt_i32_e32 vcc, s90, v10
	s_mov_b64 s[10:11], -1
	s_mov_b64 s[76:77], s[70:71]
	s_and_saveexec_b64 s[74:75], vcc
	s_cbranch_execz .LBB47_349
; %bb.234:
	s_andn2_b64 vcc, exec, s[36:37]
	s_cbranch_vccnz .LBB47_239
; %bb.235:
	s_andn2_b64 vcc, exec, s[64:65]
	s_cbranch_vccnz .LBB47_240
; %bb.236:
	s_add_i32 s93, s91, 1
	s_mov_b32 s92, 0
	s_cmp_eq_u32 s80, 2
	v_mov_b32_e32 v6, 0
	s_cbranch_scc1 .LBB47_241
; %bb.237:
	s_and_b32 s92, s93, 28
	s_mov_b32 s94, 0
	v_mov_b32_e32 v6, 0
	s_mov_b64 s[76:77], s[4:5]
	s_mov_b64 s[78:79], s[62:63]
	v_mov_b32_e32 v3, v10
.LBB47_238:                             ; =>This Inner Loop Header: Depth=1
	s_load_dwordx8 s[8:15], s[76:77], 0x4
	s_load_dwordx4 s[24:27], s[76:77], 0x24
	s_load_dwordx4 s[28:31], s[78:79], 0x0
	s_add_u32 s76, s76, 48
	s_addc_u32 s77, s77, 0
	s_waitcnt lgkmcnt(0)
	v_mul_hi_u32 v7, s9, v3
	v_add_u32_e32 v7, v3, v7
	v_lshrrev_b32_e32 v7, s10, v7
	v_mul_lo_u32 v18, v7, s8
	v_mul_hi_u32 v19, s12, v7
	v_sub_u32_e32 v3, v3, v18
	v_add_u32_e32 v18, v7, v19
	v_lshrrev_b32_e32 v18, s13, v18
	v_mul_lo_u32 v19, v18, s11
	v_mul_hi_u32 v20, s15, v18
	v_sub_u32_e32 v7, v7, v19
	v_add_u32_e32 v19, v18, v20
	v_mul_lo_u32 v3, v3, s28
	v_mul_lo_u32 v7, v7, s29
	v_lshrrev_b32_e32 v19, s24, v19
	v_add3_u32 v6, v3, v6, v7
	v_mul_lo_u32 v3, v19, s14
	v_mul_hi_u32 v7, s26, v19
	v_sub_u32_e32 v3, v18, v3
	v_add_u32_e32 v7, v19, v7
	v_mul_lo_u32 v18, v3, s30
	v_lshrrev_b32_e32 v3, s27, v7
	s_add_i32 s94, s94, 4
	v_mul_lo_u32 v7, v3, s25
	s_add_u32 s78, s78, 16
	v_sub_u32_e32 v7, v19, v7
	s_addc_u32 s79, s79, 0
	v_mul_lo_u32 v7, v7, s31
	s_cmp_eq_u32 s92, s94
	v_add3_u32 v6, v18, v6, v7
	s_cbranch_scc0 .LBB47_238
	s_branch .LBB47_242
.LBB47_239:
	s_mov_b64 s[8:9], -1
                                        ; implicit-def: $vgpr6
	s_branch .LBB47_246
.LBB47_240:
	v_mov_b32_e32 v6, 0
	s_branch .LBB47_245
.LBB47_241:
	v_mov_b32_e32 v3, v10
.LBB47_242:
	s_and_b32 s12, s93, 3
	s_cmp_eq_u32 s12, 0
	s_cbranch_scc1 .LBB47_245
; %bb.243:
	s_lshl_b32 s8, s92, 2
	s_add_u32 s8, s8, s4
	s_addc_u32 s9, s5, 0
	s_add_u32 s8, s8, 0xc4
	s_addc_u32 s9, s9, 0
	s_mul_i32 s10, s92, 12
	s_add_u32 s10, s4, s10
	s_addc_u32 s11, s5, 0
.LBB47_244:                             ; =>This Inner Loop Header: Depth=1
	s_load_dwordx2 s[14:15], s[10:11], 0x4
	s_load_dword s13, s[10:11], 0xc
	s_load_dword s24, s[8:9], 0x0
	s_add_u32 s10, s10, 12
	s_addc_u32 s11, s11, 0
	s_waitcnt lgkmcnt(0)
	v_mul_hi_u32 v7, s15, v3
	v_add_u32_e32 v7, v3, v7
	v_lshrrev_b32_e32 v7, s13, v7
	s_add_u32 s8, s8, 4
	v_mul_lo_u32 v18, v7, s14
	s_addc_u32 s9, s9, 0
	s_add_i32 s12, s12, -1
	v_sub_u32_e32 v18, v3, v18
	s_cmp_lg_u32 s12, 0
	v_mov_b32_e32 v3, v7
	v_mad_u64_u32 v[6:7], s[14:15], v18, s24, v[6:7]
	s_cbranch_scc1 .LBB47_244
.LBB47_245:
	s_mov_b64 s[8:9], 0
.LBB47_246:
	s_andn2_b64 vcc, exec, s[8:9]
	s_cbranch_vccnz .LBB47_249
; %bb.247:
	v_mul_hi_u32 v3, s21, v10
	v_add_u32_e32 v3, v10, v3
	v_lshrrev_b32_e32 v3, s22, v3
	v_mul_lo_u32 v6, v3, s20
	v_sub_u32_e32 v6, v10, v6
	s_andn2_b64 vcc, exec, s[60:61]
	v_mul_lo_u32 v6, v6, s56
	s_cbranch_vccnz .LBB47_249
; %bb.248:
	v_mul_hi_u32 v7, s58, v3
	v_add_u32_e32 v7, v3, v7
	v_lshrrev_b32_e32 v7, s59, v7
	v_mul_lo_u32 v7, v7, s23
	v_sub_u32_e32 v3, v3, v7
	v_mad_u64_u32 v[6:7], s[8:9], v3, s57, v[6:7]
.LBB47_249:
	v_mov_b32_e32 v3, s17
	v_add_co_u32_e32 v6, vcc, s16, v6
	v_addc_co_u32_e32 v7, vcc, 0, v3, vcc
	v_mov_b32_e32 v3, 11
	s_waitcnt lgkmcnt(0)
	v_cmp_lt_i16_sdwa s[8:9], s89, v3 src0_sel:BYTE_0 src1_sel:DWORD
	s_and_b64 vcc, exec, s[8:9]
	s_cbranch_vccnz .LBB47_256
; %bb.250:
	v_mov_b32_e32 v3, 25
	v_cmp_gt_i16_sdwa s[8:9], s89, v3 src0_sel:BYTE_0 src1_sel:DWORD
	s_and_b64 vcc, exec, s[8:9]
	s_cbranch_vccz .LBB47_257
; %bb.251:
	v_mov_b32_e32 v3, 28
	v_cmp_gt_i16_sdwa s[8:9], s89, v3 src0_sel:BYTE_0 src1_sel:DWORD
	s_and_b64 vcc, exec, s[8:9]
	s_cbranch_vccz .LBB47_258
	;; [unrolled: 5-line block ×4, first 2 shown]
; %bb.254:
	v_mov_b32_e32 v3, 46
	v_cmp_eq_u16_sdwa s[10:11], s89, v3 src0_sel:BYTE_0 src1_sel:DWORD
	s_mov_b64 s[12:13], 0
	s_mov_b64 s[8:9], -1
	s_and_b64 vcc, exec, s[10:11]
	s_mov_b64 s[10:11], 0
	s_cbranch_vccz .LBB47_261
; %bb.255:
	global_store_dword v[6:7], v13, off
	s_mov_b64 s[10:11], -1
	s_mov_b64 s[8:9], 0
	s_branch .LBB47_261
.LBB47_256:
	s_mov_b64 s[12:13], -1
	s_mov_b64 s[10:11], 0
	s_mov_b64 s[8:9], s[70:71]
	s_branch .LBB47_306
.LBB47_257:
	s_mov_b64 s[12:13], -1
	s_mov_b64 s[10:11], 0
	s_mov_b64 s[8:9], s[70:71]
	s_branch .LBB47_283
.LBB47_258:
	s_mov_b64 s[12:13], -1
	s_mov_b64 s[10:11], 0
	s_mov_b64 s[8:9], s[70:71]
	s_branch .LBB47_269
.LBB47_259:
	s_mov_b64 s[12:13], -1
	s_mov_b64 s[10:11], 0
	s_mov_b64 s[8:9], s[70:71]
	s_branch .LBB47_265
.LBB47_260:
	s_mov_b64 s[12:13], -1
	s_mov_b64 s[10:11], 0
	s_mov_b64 s[8:9], s[70:71]
.LBB47_261:
	s_and_b64 vcc, exec, s[12:13]
	s_cbranch_vccz .LBB47_264
; %bb.262:
	v_mov_b32_e32 v3, 44
	v_cmp_eq_u16_sdwa s[12:13], s89, v3 src0_sel:BYTE_0 src1_sel:DWORD
	s_mov_b64 s[8:9], -1
	s_and_b64 vcc, exec, s[12:13]
	s_cbranch_vccz .LBB47_264
; %bb.263:
	v_mov_b32_e32 v3, 0xff
	v_cndmask_b32_e64 v3, v17, v3, s[6:7]
	s_mov_b64 s[10:11], -1
	s_mov_b64 s[8:9], 0
	global_store_byte v[6:7], v3, off
.LBB47_264:
	s_mov_b64 s[12:13], 0
.LBB47_265:
	s_and_b64 vcc, exec, s[12:13]
	s_cbranch_vccz .LBB47_268
; %bb.266:
	v_mov_b32_e32 v3, 29
	v_cmp_eq_u16_sdwa s[12:13], s89, v3 src0_sel:BYTE_0 src1_sel:DWORD
	s_mov_b64 s[8:9], -1
	s_and_b64 vcc, exec, s[12:13]
	s_cbranch_vccz .LBB47_268
; %bb.267:
	global_store_dwordx2 v[6:7], v[0:1], off
	s_mov_b64 s[10:11], -1
	s_mov_b64 s[8:9], 0
.LBB47_268:
	s_mov_b64 s[12:13], 0
.LBB47_269:
	s_and_b64 vcc, exec, s[12:13]
	s_cbranch_vccz .LBB47_282
; %bb.270:
	v_mov_b32_e32 v3, 27
	v_cmp_lt_i16_sdwa s[12:13], s89, v3 src0_sel:BYTE_0 src1_sel:DWORD
	s_mov_b64 s[10:11], -1
	s_and_b64 vcc, exec, s[12:13]
	s_cbranch_vccnz .LBB47_276
; %bb.271:
	v_cmp_gt_i16_sdwa s[12:13], s89, v3 src0_sel:BYTE_0 src1_sel:DWORD
	s_and_b64 vcc, exec, s[12:13]
	s_cbranch_vccz .LBB47_273
; %bb.272:
	s_mov_b64 s[10:11], 0
	global_store_dword v[6:7], v16, off
.LBB47_273:
	s_andn2_b64 vcc, exec, s[10:11]
	s_cbranch_vccnz .LBB47_275
; %bb.274:
	global_store_short v[6:7], v16, off
.LBB47_275:
	s_mov_b64 s[10:11], 0
.LBB47_276:
	s_andn2_b64 vcc, exec, s[10:11]
	s_cbranch_vccnz .LBB47_281
; %bb.277:
	s_andn2_b64 vcc, exec, s[52:53]
	v_mov_b32_e32 v3, 0x80
	s_cbranch_vccnz .LBB47_280
; %bb.278:
	s_or_b64 s[10:11], s[2:3], s[54:55]
	s_andn2_b64 vcc, exec, s[10:11]
	v_mov_b32_e32 v3, 0
	s_cbranch_vccnz .LBB47_280
; %bb.279:
	v_mov_b32_e32 v3, s88
	v_cndmask_b32_e64 v3, v15, v3, s[2:3]
	v_or_b32_e32 v3, v3, v12
.LBB47_280:
	global_store_byte v[6:7], v3, off
.LBB47_281:
	s_mov_b64 s[10:11], -1
.LBB47_282:
	s_mov_b64 s[12:13], 0
.LBB47_283:
	s_and_b64 vcc, exec, s[12:13]
	s_cbranch_vccz .LBB47_305
; %bb.284:
	v_mov_b32_e32 v3, 22
	v_cmp_gt_i16_sdwa s[14:15], s89, v3 src0_sel:BYTE_0 src1_sel:DWORD
	s_mov_b64 s[12:13], -1
	s_and_b64 vcc, exec, s[14:15]
	s_cbranch_vccz .LBB47_297
; %bb.285:
	v_mov_b32_e32 v3, 24
	v_cmp_lt_i16_sdwa s[12:13], s89, v3 src0_sel:BYTE_0 src1_sel:DWORD
	s_mov_b64 s[10:11], -1
	s_and_b64 vcc, exec, s[12:13]
	s_cbranch_vccnz .LBB47_294
; %bb.286:
	v_cmp_gt_i16_sdwa s[12:13], s89, v3 src0_sel:BYTE_0 src1_sel:DWORD
	s_and_b64 vcc, exec, s[12:13]
	s_cbranch_vccz .LBB47_291
; %bb.287:
	s_andn2_b64 vcc, exec, s[48:49]
	v_mov_b32_e32 v3, 0x80
	s_cbranch_vccnz .LBB47_290
; %bb.288:
	s_or_b64 s[10:11], s[0:1], s[50:51]
	s_andn2_b64 vcc, exec, s[10:11]
	v_mov_b32_e32 v3, 0
	s_cbranch_vccnz .LBB47_290
; %bb.289:
	v_mov_b32_e32 v3, s86
	v_cndmask_b32_e64 v3, v14, v3, s[0:1]
	v_or_b32_e32 v3, v3, v12
.LBB47_290:
	s_mov_b64 s[10:11], 0
	global_store_byte v[6:7], v3, off
.LBB47_291:
	s_and_b64 vcc, exec, s[10:11]
	s_cbranch_vccz .LBB47_293
; %bb.292:
	s_and_b64 s[10:11], s[46:47], exec
	s_cselect_b32 s12, s85, s84
	s_and_b64 s[10:11], s[44:45], exec
	s_cselect_b32 s10, s87, s12
	v_or_b32_e32 v3, s10, v12
	global_store_byte v[6:7], v3, off
.LBB47_293:
	s_mov_b64 s[10:11], 0
.LBB47_294:
	s_andn2_b64 vcc, exec, s[10:11]
	s_cbranch_vccnz .LBB47_296
; %bb.295:
	s_and_b64 s[10:11], s[42:43], exec
	s_cselect_b32 s12, s82, s81
	s_and_b64 s[10:11], s[40:41], exec
	s_cselect_b32 s10, s83, s12
	v_or_b32_e32 v3, s10, v12
	global_store_byte v[6:7], v3, off
.LBB47_296:
	s_mov_b64 s[12:13], 0
	s_mov_b64 s[10:11], -1
.LBB47_297:
	s_andn2_b64 vcc, exec, s[12:13]
	s_cbranch_vccnz .LBB47_305
; %bb.298:
	v_mov_b32_e32 v3, 14
	v_cmp_gt_i16_sdwa s[14:15], s89, v3 src0_sel:BYTE_0 src1_sel:DWORD
	s_mov_b64 s[12:13], -1
	s_and_b64 vcc, exec, s[14:15]
	s_cbranch_vccz .LBB47_302
; %bb.299:
	v_mov_b32_e32 v3, 15
	v_cmp_eq_u16_sdwa s[12:13], s89, v3 src0_sel:BYTE_0 src1_sel:DWORD
	s_mov_b64 s[8:9], -1
	s_and_b64 vcc, exec, s[12:13]
	s_cbranch_vccz .LBB47_301
; %bb.300:
	global_store_short v[6:7], v13, off
	s_mov_b64 s[10:11], -1
	s_mov_b64 s[8:9], 0
.LBB47_301:
	s_mov_b64 s[12:13], 0
.LBB47_302:
	s_and_b64 vcc, exec, s[12:13]
	s_cbranch_vccz .LBB47_305
; %bb.303:
	v_mov_b32_e32 v3, 11
	v_cmp_eq_u16_sdwa s[12:13], s89, v3 src0_sel:BYTE_0 src1_sel:DWORD
	s_mov_b64 s[8:9], -1
	s_and_b64 vcc, exec, s[12:13]
	s_cbranch_vccz .LBB47_305
; %bb.304:
	s_mov_b64 s[10:11], -1
	s_mov_b64 s[8:9], 0
	global_store_byte v[6:7], v11, off
.LBB47_305:
	s_mov_b64 s[12:13], 0
.LBB47_306:
	s_and_b64 vcc, exec, s[12:13]
	s_cbranch_vccz .LBB47_345
; %bb.307:
	v_mov_b32_e32 v3, 5
	v_cmp_lt_i16_sdwa s[12:13], s89, v3 src0_sel:BYTE_0 src1_sel:DWORD
	s_mov_b64 s[10:11], -1
	s_and_b64 vcc, exec, s[12:13]
	s_cbranch_vccnz .LBB47_328
; %bb.308:
	v_mov_b32_e32 v3, 8
	v_cmp_lt_i16_sdwa s[12:13], s89, v3 src0_sel:BYTE_0 src1_sel:DWORD
	s_and_b64 vcc, exec, s[12:13]
	s_cbranch_vccnz .LBB47_318
; %bb.309:
	v_mov_b32_e32 v3, 9
	v_cmp_lt_i16_sdwa s[12:13], s89, v3 src0_sel:BYTE_0 src1_sel:DWORD
	s_and_b64 vcc, exec, s[12:13]
	s_cbranch_vccnz .LBB47_315
; %bb.310:
	v_cmp_gt_i16_sdwa s[12:13], s89, v3 src0_sel:BYTE_0 src1_sel:DWORD
	s_and_b64 vcc, exec, s[12:13]
	s_cbranch_vccz .LBB47_312
; %bb.311:
	v_mov_b32_e32 v20, 0
	v_mov_b32_e32 v18, s18
	;; [unrolled: 1-line block ×4, first 2 shown]
	s_mov_b64 s[10:11], 0
	global_store_dwordx4 v[6:7], v[18:21], off
.LBB47_312:
	s_andn2_b64 vcc, exec, s[10:11]
	s_cbranch_vccnz .LBB47_314
; %bb.313:
	v_mov_b32_e32 v3, 0
	global_store_dwordx2 v[6:7], v[2:3], off
.LBB47_314:
	s_mov_b64 s[10:11], 0
.LBB47_315:
	s_andn2_b64 vcc, exec, s[10:11]
	s_cbranch_vccnz .LBB47_317
; %bb.316:
	global_store_dword v[6:7], v9, off
.LBB47_317:
	s_mov_b64 s[10:11], 0
.LBB47_318:
	s_andn2_b64 vcc, exec, s[10:11]
	s_cbranch_vccnz .LBB47_327
; %bb.319:
	v_mov_b32_e32 v3, 6
	v_cmp_lt_i16_sdwa s[12:13], s89, v3 src0_sel:BYTE_0 src1_sel:DWORD
	s_mov_b64 s[10:11], -1
	s_and_b64 vcc, exec, s[12:13]
	s_cbranch_vccnz .LBB47_325
; %bb.320:
	v_cmp_gt_i16_sdwa s[12:13], s89, v3 src0_sel:BYTE_0 src1_sel:DWORD
	s_and_b64 vcc, exec, s[12:13]
	s_cbranch_vccz .LBB47_322
; %bb.321:
	v_pk_mov_b32 v[18:19], s[18:19], s[18:19] op_sel:[0,1]
	s_mov_b64 s[10:11], 0
	global_store_dwordx2 v[6:7], v[18:19], off
.LBB47_322:
	s_andn2_b64 vcc, exec, s[10:11]
	s_cbranch_vccnz .LBB47_324
; %bb.323:
	global_store_dword v[6:7], v2, off
.LBB47_324:
	s_mov_b64 s[10:11], 0
.LBB47_325:
	s_andn2_b64 vcc, exec, s[10:11]
	s_cbranch_vccnz .LBB47_327
; %bb.326:
	global_store_short v[6:7], v9, off
.LBB47_327:
	s_mov_b64 s[10:11], 0
.LBB47_328:
	s_andn2_b64 vcc, exec, s[10:11]
	s_cbranch_vccnz .LBB47_344
; %bb.329:
	v_mov_b32_e32 v3, 2
	v_cmp_lt_i16_sdwa s[12:13], s89, v3 src0_sel:BYTE_0 src1_sel:DWORD
	s_mov_b64 s[10:11], -1
	s_and_b64 vcc, exec, s[12:13]
	s_cbranch_vccnz .LBB47_339
; %bb.330:
	v_mov_b32_e32 v3, 3
	v_cmp_lt_i16_sdwa s[12:13], s89, v3 src0_sel:BYTE_0 src1_sel:DWORD
	s_and_b64 vcc, exec, s[12:13]
	s_cbranch_vccnz .LBB47_336
; %bb.331:
	v_cmp_gt_i16_sdwa s[12:13], s89, v3 src0_sel:BYTE_0 src1_sel:DWORD
	s_and_b64 vcc, exec, s[12:13]
	s_cbranch_vccz .LBB47_333
; %bb.332:
	s_mov_b64 s[10:11], 0
	global_store_dwordx2 v[6:7], v[4:5], off
.LBB47_333:
	s_andn2_b64 vcc, exec, s[10:11]
	s_cbranch_vccnz .LBB47_335
; %bb.334:
	global_store_dword v[6:7], v8, off
.LBB47_335:
	s_mov_b64 s[10:11], 0
.LBB47_336:
	s_andn2_b64 vcc, exec, s[10:11]
	s_cbranch_vccnz .LBB47_338
; %bb.337:
	global_store_short v[6:7], v8, off
.LBB47_338:
	s_mov_b64 s[10:11], 0
.LBB47_339:
	s_andn2_b64 vcc, exec, s[10:11]
	s_cbranch_vccnz .LBB47_344
; %bb.340:
	v_mov_b32_e32 v3, 0
	v_cmp_gt_i16_sdwa s[12:13], s89, v3 src0_sel:BYTE_0 src1_sel:DWORD
	s_mov_b64 s[10:11], -1
	s_and_b64 vcc, exec, s[12:13]
	s_cbranch_vccz .LBB47_342
; %bb.341:
	s_mov_b64 s[10:11], 0
	global_store_byte v[6:7], v8, off
.LBB47_342:
	s_andn2_b64 vcc, exec, s[10:11]
	s_cbranch_vccnz .LBB47_344
; %bb.343:
	global_store_byte v[6:7], v0, off
.LBB47_344:
	s_mov_b64 s[10:11], -1
.LBB47_345:
	s_andn2_b64 vcc, exec, s[10:11]
	s_cbranch_vccnz .LBB47_347
; %bb.346:
	v_add_u32_e32 v10, 0x80, v10
	s_mov_b64 s[10:11], -1
	s_branch .LBB47_348
.LBB47_347:
	s_mov_b64 s[10:11], 0
                                        ; implicit-def: $vgpr10
.LBB47_348:
	s_andn2_b64 s[12:13], s[70:71], exec
	s_and_b64 s[8:9], s[8:9], exec
	s_or_b64 s[76:77], s[12:13], s[8:9]
	s_orn2_b64 s[10:11], s[10:11], exec
.LBB47_349:
	s_or_b64 exec, exec, s[74:75]
	s_mov_b64 s[8:9], 0
	s_mov_b64 s[14:15], 0
                                        ; implicit-def: $vgpr18
                                        ; implicit-def: $vgpr6_vgpr7
	s_and_saveexec_b64 s[74:75], s[10:11]
	s_cbranch_execz .LBB47_420
; %bb.350:
	v_cmp_gt_i32_e32 vcc, s90, v10
	s_mov_b64 s[10:11], 0
	s_mov_b64 s[12:13], s[76:77]
                                        ; implicit-def: $vgpr18
                                        ; implicit-def: $vgpr6_vgpr7
	s_and_saveexec_b64 s[78:79], vcc
	s_cbranch_execz .LBB47_419
; %bb.351:
	s_andn2_b64 vcc, exec, s[36:37]
	s_cbranch_vccnz .LBB47_356
; %bb.352:
	s_andn2_b64 vcc, exec, s[64:65]
	s_cbranch_vccnz .LBB47_357
; %bb.353:
	s_add_i32 s91, s91, 1
	s_mov_b32 s90, 0
	s_cmp_eq_u32 s80, 2
	v_mov_b32_e32 v6, 0
	s_cbranch_scc1 .LBB47_358
; %bb.354:
	s_and_b32 s90, s91, 28
	s_mov_b32 s92, 0
	v_mov_b32_e32 v6, 0
	s_mov_b64 s[64:65], s[4:5]
	v_mov_b32_e32 v3, v10
.LBB47_355:                             ; =>This Inner Loop Header: Depth=1
	s_load_dwordx8 s[8:15], s[64:65], 0x4
	s_load_dwordx4 s[24:27], s[64:65], 0x24
	s_load_dwordx4 s[28:31], s[62:63], 0x0
	s_add_u32 s64, s64, 48
	s_addc_u32 s65, s65, 0
	s_waitcnt lgkmcnt(0)
	v_mul_hi_u32 v7, s9, v3
	v_add_u32_e32 v7, v3, v7
	v_lshrrev_b32_e32 v7, s10, v7
	v_mul_lo_u32 v18, v7, s8
	v_mul_hi_u32 v19, s12, v7
	v_sub_u32_e32 v3, v3, v18
	v_add_u32_e32 v18, v7, v19
	v_lshrrev_b32_e32 v18, s13, v18
	v_mul_lo_u32 v19, v18, s11
	v_mul_hi_u32 v20, s15, v18
	v_sub_u32_e32 v7, v7, v19
	v_add_u32_e32 v19, v18, v20
	v_mul_lo_u32 v3, v3, s28
	v_mul_lo_u32 v7, v7, s29
	v_lshrrev_b32_e32 v19, s24, v19
	v_add3_u32 v6, v3, v6, v7
	v_mul_lo_u32 v3, v19, s14
	v_mul_hi_u32 v7, s26, v19
	v_sub_u32_e32 v3, v18, v3
	v_add_u32_e32 v7, v19, v7
	v_mul_lo_u32 v18, v3, s30
	v_lshrrev_b32_e32 v3, s27, v7
	s_add_i32 s92, s92, 4
	v_mul_lo_u32 v7, v3, s25
	s_add_u32 s62, s62, 16
	v_sub_u32_e32 v7, v19, v7
	s_addc_u32 s63, s63, 0
	v_mul_lo_u32 v7, v7, s31
	s_cmp_eq_u32 s90, s92
	v_add3_u32 v6, v18, v6, v7
	s_cbranch_scc0 .LBB47_355
	s_branch .LBB47_359
.LBB47_356:
	s_mov_b64 s[8:9], -1
                                        ; implicit-def: $vgpr6
	s_branch .LBB47_363
.LBB47_357:
	v_mov_b32_e32 v6, 0
	s_branch .LBB47_362
.LBB47_358:
	v_mov_b32_e32 v3, v10
.LBB47_359:
	s_and_b32 s12, s91, 3
	s_cmp_eq_u32 s12, 0
	s_cbranch_scc1 .LBB47_362
; %bb.360:
	s_lshl_b32 s8, s90, 2
	s_add_u32 s8, s8, s4
	s_addc_u32 s9, s5, 0
	s_add_u32 s8, s8, 0xc4
	s_addc_u32 s9, s9, 0
	s_mul_i32 s10, s90, 12
	s_add_u32 s10, s4, s10
	s_addc_u32 s11, s5, 0
.LBB47_361:                             ; =>This Inner Loop Header: Depth=1
	s_load_dwordx2 s[14:15], s[10:11], 0x4
	s_load_dword s13, s[10:11], 0xc
	s_load_dword s24, s[8:9], 0x0
	s_add_u32 s10, s10, 12
	s_addc_u32 s11, s11, 0
	s_waitcnt lgkmcnt(0)
	v_mul_hi_u32 v7, s15, v3
	v_add_u32_e32 v7, v3, v7
	v_lshrrev_b32_e32 v7, s13, v7
	s_add_u32 s8, s8, 4
	v_mul_lo_u32 v18, v7, s14
	s_addc_u32 s9, s9, 0
	s_add_i32 s12, s12, -1
	v_sub_u32_e32 v18, v3, v18
	s_cmp_lg_u32 s12, 0
	v_mov_b32_e32 v3, v7
	v_mad_u64_u32 v[6:7], s[14:15], v18, s24, v[6:7]
	s_cbranch_scc1 .LBB47_361
.LBB47_362:
	s_mov_b64 s[8:9], 0
.LBB47_363:
	s_andn2_b64 vcc, exec, s[8:9]
	s_cbranch_vccnz .LBB47_366
; %bb.364:
	v_mul_hi_u32 v3, s21, v10
	v_add_u32_e32 v3, v10, v3
	v_lshrrev_b32_e32 v3, s22, v3
	v_mul_lo_u32 v6, v3, s20
	v_sub_u32_e32 v6, v10, v6
	s_andn2_b64 vcc, exec, s[60:61]
	v_mul_lo_u32 v6, v6, s56
	s_cbranch_vccnz .LBB47_366
; %bb.365:
	v_mul_hi_u32 v7, s58, v3
	v_add_u32_e32 v7, v3, v7
	v_lshrrev_b32_e32 v7, s59, v7
	v_mul_lo_u32 v7, v7, s23
	v_sub_u32_e32 v3, v3, v7
	v_mad_u64_u32 v[6:7], s[8:9], v3, s57, v[6:7]
.LBB47_366:
	v_mov_b32_e32 v3, s17
	v_add_co_u32_e32 v6, vcc, s16, v6
	v_addc_co_u32_e32 v7, vcc, 0, v3, vcc
	v_mov_b32_e32 v3, 0xff
	s_waitcnt lgkmcnt(0)
	v_and_b32_e32 v18, s89, v3
	v_cmp_gt_i16_e32 vcc, 11, v18
	s_cbranch_vccnz .LBB47_416
; %bb.367:
	v_cmp_lt_i16_e32 vcc, 25, v18
	s_mov_b64 s[10:11], -1
	s_mov_b64 s[8:9], s[76:77]
	s_cbranch_vccz .LBB47_395
; %bb.368:
	v_cmp_lt_i16_e32 vcc, 28, v18
	s_mov_b64 s[8:9], s[76:77]
	s_cbranch_vccz .LBB47_382
; %bb.369:
	v_cmp_lt_i16_e32 vcc, 43, v18
	;; [unrolled: 4-line block ×3, first 2 shown]
	s_mov_b64 s[8:9], s[76:77]
	s_cbranch_vccz .LBB47_374
; %bb.371:
	v_cmp_eq_u16_e32 vcc, 46, v18
	s_mov_b64 s[8:9], -1
	s_cbranch_vccz .LBB47_373
; %bb.372:
	global_store_dword v[6:7], v13, off
	s_mov_b64 s[8:9], 0
.LBB47_373:
	s_mov_b64 s[10:11], 0
.LBB47_374:
	s_and_b64 vcc, exec, s[10:11]
	s_cbranch_vccz .LBB47_377
; %bb.375:
	v_cmp_eq_u16_e32 vcc, 44, v18
	s_mov_b64 s[8:9], -1
	s_cbranch_vccz .LBB47_377
; %bb.376:
	v_mov_b32_e32 v3, 0xff
	v_cndmask_b32_e64 v3, v17, v3, s[6:7]
	global_store_byte v[6:7], v3, off
	s_mov_b64 s[8:9], 0
.LBB47_377:
	s_mov_b64 s[10:11], 0
.LBB47_378:
	s_and_b64 vcc, exec, s[10:11]
	s_cbranch_vccz .LBB47_381
; %bb.379:
	v_cmp_eq_u16_e32 vcc, 29, v18
	s_mov_b64 s[8:9], -1
	s_cbranch_vccz .LBB47_381
; %bb.380:
	global_store_dwordx2 v[6:7], v[0:1], off
	s_mov_b64 s[8:9], 0
.LBB47_381:
	s_mov_b64 s[10:11], 0
.LBB47_382:
	s_and_b64 vcc, exec, s[10:11]
	s_cbranch_vccz .LBB47_394
; %bb.383:
	v_cmp_gt_i16_e32 vcc, 27, v18
	s_mov_b64 s[6:7], -1
	s_cbranch_vccnz .LBB47_389
; %bb.384:
	v_cmp_lt_i16_e32 vcc, 27, v18
	s_cbranch_vccz .LBB47_386
; %bb.385:
	s_mov_b64 s[6:7], 0
	global_store_dword v[6:7], v16, off
.LBB47_386:
	s_andn2_b64 vcc, exec, s[6:7]
	s_cbranch_vccnz .LBB47_388
; %bb.387:
	global_store_short v[6:7], v16, off
.LBB47_388:
	s_mov_b64 s[6:7], 0
.LBB47_389:
	s_andn2_b64 vcc, exec, s[6:7]
	s_cbranch_vccnz .LBB47_394
; %bb.390:
	s_andn2_b64 vcc, exec, s[52:53]
	v_mov_b32_e32 v1, 0x80
	s_cbranch_vccnz .LBB47_393
; %bb.391:
	s_or_b64 s[6:7], s[2:3], s[54:55]
	s_andn2_b64 vcc, exec, s[6:7]
	v_mov_b32_e32 v1, 0
	s_cbranch_vccnz .LBB47_393
; %bb.392:
	v_mov_b32_e32 v1, s88
	v_cndmask_b32_e64 v1, v15, v1, s[2:3]
	v_or_b32_e32 v1, v1, v12
.LBB47_393:
	global_store_byte v[6:7], v1, off
.LBB47_394:
	s_mov_b64 s[10:11], 0
.LBB47_395:
	s_mov_b64 s[2:3], 0
	s_and_b64 vcc, exec, s[10:11]
	s_cbranch_vccz .LBB47_417
; %bb.396:
	v_cmp_lt_i16_e32 vcc, 22, v18
	s_mov_b64 s[6:7], -1
	s_cbranch_vccz .LBB47_409
; %bb.397:
	v_cmp_gt_i16_e32 vcc, 24, v18
	s_cbranch_vccnz .LBB47_406
; %bb.398:
	v_cmp_lt_i16_e32 vcc, 24, v18
	s_cbranch_vccz .LBB47_403
; %bb.399:
	s_andn2_b64 vcc, exec, s[48:49]
	v_mov_b32_e32 v1, 0x80
	s_cbranch_vccnz .LBB47_402
; %bb.400:
	s_or_b64 s[6:7], s[0:1], s[50:51]
	s_andn2_b64 vcc, exec, s[6:7]
	v_mov_b32_e32 v1, 0
	s_cbranch_vccnz .LBB47_402
; %bb.401:
	v_mov_b32_e32 v1, s86
	v_cndmask_b32_e64 v1, v14, v1, s[0:1]
	v_or_b32_e32 v1, v1, v12
.LBB47_402:
	s_mov_b64 s[6:7], 0
	global_store_byte v[6:7], v1, off
.LBB47_403:
	s_and_b64 vcc, exec, s[6:7]
	s_cbranch_vccz .LBB47_405
; %bb.404:
	s_and_b64 s[0:1], s[46:47], exec
	s_cselect_b32 s6, s85, s84
	s_and_b64 s[0:1], s[44:45], exec
	s_cselect_b32 s0, s87, s6
	v_or_b32_e32 v1, s0, v12
	global_store_byte v[6:7], v1, off
.LBB47_405:
	s_mov_b64 s[6:7], 0
.LBB47_406:
	s_andn2_b64 vcc, exec, s[6:7]
	s_cbranch_vccnz .LBB47_408
; %bb.407:
	s_and_b64 s[0:1], s[42:43], exec
	s_cselect_b32 s6, s82, s81
	s_and_b64 s[0:1], s[40:41], exec
	s_cselect_b32 s0, s83, s6
	v_or_b32_e32 v1, s0, v12
	global_store_byte v[6:7], v1, off
.LBB47_408:
	s_mov_b64 s[6:7], 0
.LBB47_409:
	s_andn2_b64 vcc, exec, s[6:7]
	s_mov_b64 s[0:1], 0
	s_cbranch_vccnz .LBB47_418
; %bb.410:
	v_cmp_lt_i16_e32 vcc, 14, v18
	s_mov_b64 s[6:7], -1
	s_cbranch_vccz .LBB47_414
; %bb.411:
	v_cmp_eq_u16_e32 vcc, 15, v18
	s_mov_b64 s[8:9], -1
	s_cbranch_vccz .LBB47_413
; %bb.412:
	global_store_short v[6:7], v13, off
	s_mov_b64 s[8:9], 0
.LBB47_413:
	s_mov_b64 s[6:7], 0
.LBB47_414:
	s_and_b64 vcc, exec, s[6:7]
	s_cbranch_vccz .LBB47_418
; %bb.415:
	v_cmp_ne_u16_e32 vcc, 11, v18
	s_andn2_b64 s[6:7], s[8:9], exec
	s_and_b64 s[8:9], vcc, exec
	s_mov_b64 s[0:1], -1
	s_or_b64 s[8:9], s[6:7], s[8:9]
	s_branch .LBB47_418
.LBB47_416:
	s_mov_b64 s[0:1], 0
	s_mov_b64 s[2:3], -1
	s_mov_b64 s[8:9], s[76:77]
	s_branch .LBB47_418
.LBB47_417:
	s_mov_b64 s[0:1], 0
.LBB47_418:
	s_and_b64 s[14:15], s[2:3], exec
	s_and_b64 s[10:11], s[0:1], exec
	s_andn2_b64 s[0:1], s[76:77], exec
	s_and_b64 s[2:3], s[8:9], exec
	s_or_b64 s[12:13], s[0:1], s[2:3]
.LBB47_419:
	s_or_b64 exec, exec, s[78:79]
	s_andn2_b64 s[0:1], s[76:77], exec
	s_and_b64 s[2:3], s[12:13], exec
	s_and_b64 s[14:15], s[14:15], exec
	;; [unrolled: 1-line block ×3, first 2 shown]
	s_or_b64 s[76:77], s[0:1], s[2:3]
.LBB47_420:
	s_or_b64 exec, exec, s[74:75]
	s_andn2_b64 s[0:1], s[70:71], exec
	s_and_b64 s[2:3], s[76:77], exec
	s_and_b64 s[12:13], s[14:15], exec
	;; [unrolled: 1-line block ×3, first 2 shown]
	s_or_b64 s[70:71], s[0:1], s[2:3]
.LBB47_421:
	s_or_b64 exec, exec, s[72:73]
	s_andn2_b64 s[0:1], s[66:67], exec
	s_and_b64 s[2:3], s[70:71], exec
	s_and_b64 s[8:9], s[12:13], exec
	;; [unrolled: 1-line block ×3, first 2 shown]
	s_or_b64 s[66:67], s[0:1], s[2:3]
	s_or_b64 exec, exec, s[68:69]
	s_mov_b64 s[0:1], 0
	s_and_saveexec_b64 s[2:3], s[66:67]
	s_cbranch_execz .LBB47_122
.LBB47_422:
	s_mov_b64 s[0:1], exec
	s_andn2_b64 s[72:73], s[72:73], exec
	s_trap 2
	s_or_b64 exec, exec, s[2:3]
	s_and_saveexec_b64 s[2:3], s[72:73]
	s_xor_b64 s[2:3], exec, s[2:3]
	s_cbranch_execnz .LBB47_123
.LBB47_423:
	s_or_b64 exec, exec, s[2:3]
	s_and_saveexec_b64 s[2:3], s[8:9]
	s_xor_b64 s[2:3], exec, s[2:3]
	s_cbranch_execz .LBB47_461
.LBB47_424:
	v_cmp_gt_i16_e32 vcc, 5, v18
	s_mov_b64 s[6:7], -1
	s_cbranch_vccnz .LBB47_445
; %bb.425:
	v_cmp_gt_i16_e32 vcc, 8, v18
	s_cbranch_vccnz .LBB47_435
; %bb.426:
	v_cmp_gt_i16_e32 vcc, 9, v18
	s_cbranch_vccnz .LBB47_432
; %bb.427:
	v_cmp_lt_i16_e32 vcc, 9, v18
	s_cbranch_vccz .LBB47_429
; %bb.428:
	v_mov_b32_e32 v12, 0
	v_mov_b32_e32 v10, s18
	;; [unrolled: 1-line block ×4, first 2 shown]
	s_mov_b64 s[6:7], 0
	global_store_dwordx4 v[6:7], v[10:13], off
.LBB47_429:
	s_andn2_b64 vcc, exec, s[6:7]
	s_cbranch_vccnz .LBB47_431
; %bb.430:
	v_mov_b32_e32 v3, 0
	global_store_dwordx2 v[6:7], v[2:3], off
.LBB47_431:
	s_mov_b64 s[6:7], 0
.LBB47_432:
	s_andn2_b64 vcc, exec, s[6:7]
	s_cbranch_vccnz .LBB47_434
; %bb.433:
	global_store_dword v[6:7], v9, off
.LBB47_434:
	s_mov_b64 s[6:7], 0
.LBB47_435:
	s_andn2_b64 vcc, exec, s[6:7]
	s_cbranch_vccnz .LBB47_444
; %bb.436:
	v_cmp_gt_i16_e32 vcc, 6, v18
	s_mov_b64 s[6:7], -1
	s_cbranch_vccnz .LBB47_442
; %bb.437:
	v_cmp_lt_i16_e32 vcc, 6, v18
	s_cbranch_vccz .LBB47_439
; %bb.438:
	v_pk_mov_b32 v[10:11], s[18:19], s[18:19] op_sel:[0,1]
	s_mov_b64 s[6:7], 0
	global_store_dwordx2 v[6:7], v[10:11], off
.LBB47_439:
	s_andn2_b64 vcc, exec, s[6:7]
	s_cbranch_vccnz .LBB47_441
; %bb.440:
	global_store_dword v[6:7], v2, off
.LBB47_441:
	s_mov_b64 s[6:7], 0
.LBB47_442:
	s_andn2_b64 vcc, exec, s[6:7]
	s_cbranch_vccnz .LBB47_444
; %bb.443:
	global_store_short v[6:7], v9, off
.LBB47_444:
	s_mov_b64 s[6:7], 0
.LBB47_445:
	s_andn2_b64 vcc, exec, s[6:7]
	s_cbranch_vccnz .LBB47_461
; %bb.446:
	v_cmp_gt_i16_e32 vcc, 2, v18
	s_mov_b64 s[6:7], -1
	s_cbranch_vccnz .LBB47_456
; %bb.447:
	v_cmp_gt_i16_e32 vcc, 3, v18
	s_cbranch_vccnz .LBB47_453
; %bb.448:
	v_cmp_lt_i16_e32 vcc, 3, v18
	s_cbranch_vccz .LBB47_450
; %bb.449:
	s_mov_b64 s[6:7], 0
	global_store_dwordx2 v[6:7], v[4:5], off
.LBB47_450:
	s_andn2_b64 vcc, exec, s[6:7]
	s_cbranch_vccnz .LBB47_452
; %bb.451:
	global_store_dword v[6:7], v8, off
.LBB47_452:
	s_mov_b64 s[6:7], 0
.LBB47_453:
	s_andn2_b64 vcc, exec, s[6:7]
	s_cbranch_vccnz .LBB47_455
; %bb.454:
	global_store_short v[6:7], v8, off
.LBB47_455:
	s_mov_b64 s[6:7], 0
.LBB47_456:
	s_andn2_b64 vcc, exec, s[6:7]
	s_cbranch_vccnz .LBB47_461
; %bb.457:
	v_cmp_lt_i16_e32 vcc, 0, v18
	s_mov_b64 s[6:7], -1
	s_cbranch_vccz .LBB47_459
; %bb.458:
	s_mov_b64 s[6:7], 0
	global_store_byte v[6:7], v8, off
.LBB47_459:
	s_andn2_b64 vcc, exec, s[6:7]
	s_cbranch_vccnz .LBB47_461
; %bb.460:
	global_store_byte v[6:7], v0, off
.LBB47_461:
	s_or_b64 exec, exec, s[2:3]
	s_and_b64 s[6:7], s[0:1], exec
                                        ; implicit-def: $vgpr8
                                        ; implicit-def: $vgpr10
.LBB47_462:
	s_or_saveexec_b64 s[24:25], s[38:39]
	s_mov_b64 s[0:1], 0
                                        ; implicit-def: $sgpr18
                                        ; implicit-def: $vgpr0_vgpr1
                                        ; implicit-def: $sgpr2_sgpr3
	s_xor_b64 exec, exec, s[24:25]
	s_cbranch_execz .LBB47_951
; %bb.463:
	v_cndmask_b32_e64 v0, 0, 1, s[36:37]
	v_cmp_ne_u32_e64 s[0:1], 1, v0
	s_andn2_b64 vcc, exec, s[36:37]
	s_cbranch_vccnz .LBB47_469
; %bb.464:
	s_mov_b32 s28, 0
	s_cmp_eq_u32 s33, 0
	v_mov_b32_e32 v6, 0
	s_cbranch_scc1 .LBB47_473
; %bb.465:
	s_min_u32 s29, s80, 15
	s_add_i32 s29, s29, 1
	s_cmp_eq_u32 s80, 2
	v_mov_b32_e32 v6, 0
	s_cbranch_scc1 .LBB47_470
; %bb.466:
	s_add_u32 s2, s4, 0xc4
	s_addc_u32 s3, s5, 0
	s_and_b32 s28, s29, 28
	s_mov_b32 s30, 0
	v_mov_b32_e32 v6, 0
	s_mov_b64 s[26:27], s[4:5]
	v_mov_b32_e32 v0, v10
.LBB47_467:                             ; =>This Inner Loop Header: Depth=1
	s_load_dwordx8 s[8:15], s[26:27], 0x4
	s_load_dwordx4 s[16:19], s[26:27], 0x24
	s_load_dwordx4 s[20:23], s[2:3], 0x0
	s_add_u32 s26, s26, 48
	s_addc_u32 s27, s27, 0
	s_waitcnt lgkmcnt(0)
	v_mul_hi_u32 v1, s9, v0
	v_add_u32_e32 v1, v0, v1
	v_lshrrev_b32_e32 v1, s10, v1
	v_mul_lo_u32 v2, v1, s8
	v_mul_hi_u32 v3, s12, v1
	v_sub_u32_e32 v0, v0, v2
	v_add_u32_e32 v2, v1, v3
	v_lshrrev_b32_e32 v2, s13, v2
	v_mul_lo_u32 v3, v2, s11
	v_mul_hi_u32 v4, s15, v2
	v_sub_u32_e32 v1, v1, v3
	v_add_u32_e32 v3, v2, v4
	v_mul_lo_u32 v0, v0, s20
	v_mul_lo_u32 v1, v1, s21
	v_lshrrev_b32_e32 v3, s16, v3
	v_add3_u32 v1, v0, v6, v1
	v_mul_lo_u32 v0, v3, s14
	v_mul_hi_u32 v4, s18, v3
	v_sub_u32_e32 v0, v2, v0
	v_add_u32_e32 v2, v3, v4
	v_mul_lo_u32 v4, v0, s22
	v_lshrrev_b32_e32 v0, s19, v2
	s_add_i32 s30, s30, 4
	v_mul_lo_u32 v2, v0, s17
	s_add_u32 s2, s2, 16
	v_sub_u32_e32 v2, v3, v2
	s_addc_u32 s3, s3, 0
	v_mul_lo_u32 v2, v2, s23
	s_cmp_lg_u32 s28, s30
	v_add3_u32 v6, v4, v1, v2
	s_cbranch_scc1 .LBB47_467
; %bb.468:
	s_and_b32 s10, s29, 3
	s_cmp_eq_u32 s10, 0
	s_cbranch_scc0 .LBB47_471
	s_branch .LBB47_473
.LBB47_469:
                                        ; implicit-def: $vgpr6
	s_branch .LBB47_474
.LBB47_470:
	v_mov_b32_e32 v0, v10
	s_and_b32 s10, s29, 3
	s_cmp_eq_u32 s10, 0
	s_cbranch_scc1 .LBB47_473
.LBB47_471:
	s_lshl_b32 s2, s28, 2
	s_add_u32 s2, s2, s4
	s_addc_u32 s3, 0, s5
	s_add_u32 s2, s2, 0xc4
	s_addc_u32 s3, s3, 0
	s_mul_i32 s8, s28, 12
	s_add_u32 s8, s4, s8
	s_addc_u32 s9, 0, s5
.LBB47_472:                             ; =>This Inner Loop Header: Depth=1
	s_load_dwordx2 s[12:13], s[8:9], 0x4
	s_load_dword s11, s[8:9], 0xc
	s_load_dword s14, s[2:3], 0x0
	s_add_u32 s8, s8, 12
	s_addc_u32 s9, s9, 0
	s_waitcnt lgkmcnt(0)
	v_mul_hi_u32 v1, s13, v0
	v_add_u32_e32 v1, v0, v1
	v_lshrrev_b32_e32 v1, s11, v1
	s_add_u32 s2, s2, 4
	v_mul_lo_u32 v2, v1, s12
	s_addc_u32 s3, s3, 0
	s_add_i32 s10, s10, -1
	v_sub_u32_e32 v2, v0, v2
	s_cmp_lg_u32 s10, 0
	v_mov_b32_e32 v0, v1
	v_mad_u64_u32 v[6:7], s[12:13], v2, s14, v[6:7]
	s_cbranch_scc1 .LBB47_472
.LBB47_473:
	s_cbranch_execnz .LBB47_476
.LBB47_474:
	s_load_dwordx4 s[8:11], s[4:5], 0x4
	s_load_dword s2, s[4:5], 0xc4
	s_cmp_lt_u32 s33, 2
	s_waitcnt lgkmcnt(0)
	v_mul_hi_u32 v0, s9, v10
	v_add_u32_e32 v0, v10, v0
	v_lshrrev_b32_e32 v0, s10, v0
	v_mul_lo_u32 v1, v0, s8
	v_sub_u32_e32 v1, v10, v1
	v_mul_lo_u32 v6, v1, s2
	s_cbranch_scc1 .LBB47_476
; %bb.475:
	s_load_dwordx4 s[8:11], s[4:5], 0x10
	s_load_dword s2, s[4:5], 0xc8
	s_waitcnt lgkmcnt(0)
	v_mul_hi_u32 v1, s9, v0
	v_add_u32_e32 v1, v0, v1
	v_lshrrev_b32_e32 v1, s10, v1
	v_mul_lo_u32 v1, v1, s8
	v_sub_u32_e32 v0, v0, v1
	v_mad_u64_u32 v[6:7], s[2:3], v0, s2, v[6:7]
.LBB47_476:
	s_and_b64 vcc, exec, s[0:1]
	v_add_u32_e32 v0, 0x80, v10
	s_cbranch_vccnz .LBB47_482
; %bb.477:
	s_mov_b32 s28, 0
	s_cmp_eq_u32 s33, 0
	v_mov_b32_e32 v4, 0
	s_cbranch_scc1 .LBB47_486
; %bb.478:
	s_min_u32 s29, s80, 15
	s_add_i32 s29, s29, 1
	s_cmp_eq_u32 s80, 2
	v_mov_b32_e32 v4, 0
	s_cbranch_scc1 .LBB47_483
; %bb.479:
	s_add_u32 s2, s4, 0xc4
	s_addc_u32 s3, s5, 0
	s_and_b32 s28, s29, 28
	s_mov_b32 s30, 0
	v_mov_b32_e32 v4, 0
	s_mov_b64 s[26:27], s[4:5]
	v_mov_b32_e32 v1, v0
.LBB47_480:                             ; =>This Inner Loop Header: Depth=1
	s_load_dwordx8 s[8:15], s[26:27], 0x4
	s_load_dwordx4 s[16:19], s[26:27], 0x24
	s_load_dwordx4 s[20:23], s[2:3], 0x0
	s_add_u32 s26, s26, 48
	s_addc_u32 s27, s27, 0
	s_waitcnt lgkmcnt(0)
	v_mul_hi_u32 v2, s9, v1
	v_add_u32_e32 v2, v1, v2
	v_lshrrev_b32_e32 v2, s10, v2
	v_mul_lo_u32 v3, v2, s8
	v_mul_hi_u32 v5, s12, v2
	v_sub_u32_e32 v1, v1, v3
	v_add_u32_e32 v3, v2, v5
	v_lshrrev_b32_e32 v3, s13, v3
	v_mul_lo_u32 v5, v3, s11
	v_mul_hi_u32 v7, s15, v3
	v_sub_u32_e32 v2, v2, v5
	v_add_u32_e32 v5, v3, v7
	v_mul_lo_u32 v1, v1, s20
	v_mul_lo_u32 v2, v2, s21
	v_lshrrev_b32_e32 v5, s16, v5
	v_add3_u32 v2, v1, v4, v2
	v_mul_lo_u32 v1, v5, s14
	v_mul_hi_u32 v4, s18, v5
	v_sub_u32_e32 v1, v3, v1
	v_add_u32_e32 v3, v5, v4
	v_mul_lo_u32 v4, v1, s22
	v_lshrrev_b32_e32 v1, s19, v3
	s_add_i32 s30, s30, 4
	v_mul_lo_u32 v3, v1, s17
	s_add_u32 s2, s2, 16
	v_sub_u32_e32 v3, v5, v3
	s_addc_u32 s3, s3, 0
	v_mul_lo_u32 v3, v3, s23
	s_cmp_lg_u32 s28, s30
	v_add3_u32 v4, v4, v2, v3
	s_cbranch_scc1 .LBB47_480
; %bb.481:
	s_and_b32 s10, s29, 3
	s_cmp_eq_u32 s10, 0
	s_cbranch_scc0 .LBB47_484
	s_branch .LBB47_486
.LBB47_482:
                                        ; implicit-def: $vgpr4
	s_branch .LBB47_487
.LBB47_483:
	v_mov_b32_e32 v1, v0
	s_and_b32 s10, s29, 3
	s_cmp_eq_u32 s10, 0
	s_cbranch_scc1 .LBB47_486
.LBB47_484:
	s_lshl_b32 s2, s28, 2
	s_add_u32 s2, s2, s4
	s_addc_u32 s3, 0, s5
	s_add_u32 s2, s2, 0xc4
	s_addc_u32 s3, s3, 0
	s_mul_i32 s8, s28, 12
	s_add_u32 s8, s4, s8
	s_addc_u32 s9, 0, s5
.LBB47_485:                             ; =>This Inner Loop Header: Depth=1
	s_load_dwordx2 s[12:13], s[8:9], 0x4
	s_load_dword s11, s[8:9], 0xc
	s_load_dword s14, s[2:3], 0x0
	s_add_u32 s8, s8, 12
	s_addc_u32 s9, s9, 0
	s_waitcnt lgkmcnt(0)
	v_mul_hi_u32 v2, s13, v1
	v_add_u32_e32 v2, v1, v2
	v_lshrrev_b32_e32 v2, s11, v2
	s_add_u32 s2, s2, 4
	v_mul_lo_u32 v3, v2, s12
	s_addc_u32 s3, s3, 0
	s_add_i32 s10, s10, -1
	v_sub_u32_e32 v3, v1, v3
	s_cmp_lg_u32 s10, 0
	v_mov_b32_e32 v1, v2
	v_mad_u64_u32 v[4:5], s[12:13], v3, s14, v[4:5]
	s_cbranch_scc1 .LBB47_485
.LBB47_486:
	s_cbranch_execnz .LBB47_489
.LBB47_487:
	s_load_dwordx4 s[8:11], s[4:5], 0x4
	s_load_dword s2, s[4:5], 0xc4
	s_cmp_lt_u32 s33, 2
	s_waitcnt lgkmcnt(0)
	v_mul_hi_u32 v1, s9, v0
	v_add_u32_e32 v1, v0, v1
	v_lshrrev_b32_e32 v1, s10, v1
	v_mul_lo_u32 v2, v1, s8
	v_sub_u32_e32 v0, v0, v2
	v_mul_lo_u32 v4, v0, s2
	s_cbranch_scc1 .LBB47_489
; %bb.488:
	s_load_dwordx4 s[8:11], s[4:5], 0x10
	s_load_dword s2, s[4:5], 0xc8
	s_waitcnt lgkmcnt(0)
	v_mul_hi_u32 v0, s9, v1
	v_add_u32_e32 v0, v1, v0
	v_lshrrev_b32_e32 v0, s10, v0
	v_mul_lo_u32 v0, v0, s8
	v_sub_u32_e32 v0, v1, v0
	v_mad_u64_u32 v[4:5], s[2:3], v0, s2, v[4:5]
.LBB47_489:
	s_and_b64 vcc, exec, s[0:1]
	v_add_u32_e32 v0, 0x100, v10
	s_cbranch_vccnz .LBB47_495
; %bb.490:
	s_mov_b32 s28, 0
	s_cmp_eq_u32 s33, 0
	v_mov_b32_e32 v2, 0
	s_cbranch_scc1 .LBB47_499
; %bb.491:
	s_min_u32 s29, s80, 15
	s_add_i32 s29, s29, 1
	s_cmp_eq_u32 s80, 2
	v_mov_b32_e32 v2, 0
	s_cbranch_scc1 .LBB47_496
; %bb.492:
	s_add_u32 s2, s4, 0xc4
	s_addc_u32 s3, s5, 0
	s_and_b32 s28, s29, 28
	s_mov_b32 s30, 0
	v_mov_b32_e32 v2, 0
	s_mov_b64 s[26:27], s[4:5]
	v_mov_b32_e32 v1, v0
.LBB47_493:                             ; =>This Inner Loop Header: Depth=1
	s_load_dwordx8 s[8:15], s[26:27], 0x4
	s_load_dwordx4 s[16:19], s[26:27], 0x24
	s_load_dwordx4 s[20:23], s[2:3], 0x0
	s_add_u32 s26, s26, 48
	s_addc_u32 s27, s27, 0
	s_waitcnt lgkmcnt(0)
	v_mul_hi_u32 v3, s9, v1
	v_add_u32_e32 v3, v1, v3
	v_lshrrev_b32_e32 v3, s10, v3
	v_mul_lo_u32 v5, v3, s8
	v_mul_hi_u32 v7, s12, v3
	v_sub_u32_e32 v1, v1, v5
	v_add_u32_e32 v5, v3, v7
	v_lshrrev_b32_e32 v5, s13, v5
	v_mul_lo_u32 v7, v5, s11
	v_mul_hi_u32 v9, s15, v5
	v_sub_u32_e32 v3, v3, v7
	v_add_u32_e32 v7, v5, v9
	v_mul_lo_u32 v1, v1, s20
	v_mul_lo_u32 v3, v3, s21
	v_lshrrev_b32_e32 v7, s16, v7
	v_add3_u32 v2, v1, v2, v3
	v_mul_lo_u32 v1, v7, s14
	v_mul_hi_u32 v3, s18, v7
	v_sub_u32_e32 v1, v5, v1
	v_add_u32_e32 v3, v7, v3
	v_mul_lo_u32 v5, v1, s22
	v_lshrrev_b32_e32 v1, s19, v3
	s_add_i32 s30, s30, 4
	v_mul_lo_u32 v3, v1, s17
	s_add_u32 s2, s2, 16
	v_sub_u32_e32 v3, v7, v3
	s_addc_u32 s3, s3, 0
	v_mul_lo_u32 v3, v3, s23
	s_cmp_lg_u32 s28, s30
	v_add3_u32 v2, v5, v2, v3
	s_cbranch_scc1 .LBB47_493
; %bb.494:
	s_and_b32 s10, s29, 3
	s_cmp_eq_u32 s10, 0
	s_cbranch_scc0 .LBB47_497
	s_branch .LBB47_499
.LBB47_495:
                                        ; implicit-def: $vgpr2
	s_branch .LBB47_500
.LBB47_496:
	v_mov_b32_e32 v1, v0
	s_and_b32 s10, s29, 3
	s_cmp_eq_u32 s10, 0
	s_cbranch_scc1 .LBB47_499
.LBB47_497:
	s_lshl_b32 s2, s28, 2
	s_add_u32 s2, s2, s4
	s_addc_u32 s3, 0, s5
	s_add_u32 s2, s2, 0xc4
	s_addc_u32 s3, s3, 0
	s_mul_i32 s8, s28, 12
	s_add_u32 s8, s4, s8
	s_addc_u32 s9, 0, s5
.LBB47_498:                             ; =>This Inner Loop Header: Depth=1
	s_load_dwordx2 s[12:13], s[8:9], 0x4
	s_load_dword s11, s[8:9], 0xc
	s_load_dword s14, s[2:3], 0x0
	s_add_u32 s8, s8, 12
	s_addc_u32 s9, s9, 0
	s_waitcnt lgkmcnt(0)
	v_mul_hi_u32 v3, s13, v1
	v_add_u32_e32 v3, v1, v3
	v_lshrrev_b32_e32 v3, s11, v3
	s_add_u32 s2, s2, 4
	v_mul_lo_u32 v5, v3, s12
	s_addc_u32 s3, s3, 0
	s_add_i32 s10, s10, -1
	v_sub_u32_e32 v5, v1, v5
	s_cmp_lg_u32 s10, 0
	v_mov_b32_e32 v1, v3
	v_mad_u64_u32 v[2:3], s[12:13], v5, s14, v[2:3]
	s_cbranch_scc1 .LBB47_498
.LBB47_499:
	s_cbranch_execnz .LBB47_502
.LBB47_500:
	s_load_dwordx4 s[8:11], s[4:5], 0x4
	s_load_dword s2, s[4:5], 0xc4
	s_cmp_lt_u32 s33, 2
	s_waitcnt lgkmcnt(0)
	v_mul_hi_u32 v1, s9, v0
	v_add_u32_e32 v1, v0, v1
	v_lshrrev_b32_e32 v1, s10, v1
	v_mul_lo_u32 v2, v1, s8
	v_sub_u32_e32 v0, v0, v2
	v_mul_lo_u32 v2, v0, s2
	s_cbranch_scc1 .LBB47_502
; %bb.501:
	s_load_dwordx4 s[8:11], s[4:5], 0x10
	s_load_dword s2, s[4:5], 0xc8
	s_waitcnt lgkmcnt(0)
	v_mul_hi_u32 v0, s9, v1
	v_add_u32_e32 v0, v1, v0
	v_lshrrev_b32_e32 v0, s10, v0
	v_mul_lo_u32 v0, v0, s8
	v_sub_u32_e32 v0, v1, v0
	v_mad_u64_u32 v[2:3], s[2:3], v0, s2, v[2:3]
.LBB47_502:
	s_and_b64 vcc, exec, s[0:1]
	s_cbranch_vccnz .LBB47_508
; %bb.503:
	s_mov_b32 s26, 0
	s_cmp_eq_u32 s33, 0
	v_mov_b32_e32 v0, 0
	s_cbranch_scc1 .LBB47_512
; %bb.504:
	s_min_u32 s27, s80, 15
	s_add_i32 s27, s27, 1
	s_cmp_eq_u32 s80, 2
	v_mov_b32_e32 v0, 0
	s_cbranch_scc1 .LBB47_509
; %bb.505:
	s_add_u32 s20, s4, 0xc4
	s_addc_u32 s21, s5, 0
	s_and_b32 s26, s27, 28
	s_mov_b32 s28, 0
	v_mov_b32_e32 v0, 0
	s_mov_b64 s[22:23], s[4:5]
	v_mov_b32_e32 v3, v8
.LBB47_506:                             ; =>This Inner Loop Header: Depth=1
	s_load_dwordx8 s[8:15], s[22:23], 0x4
	s_load_dwordx4 s[0:3], s[22:23], 0x24
	s_load_dwordx4 s[16:19], s[20:21], 0x0
	s_add_u32 s22, s22, 48
	s_addc_u32 s23, s23, 0
	s_waitcnt lgkmcnt(0)
	v_mul_hi_u32 v1, s9, v3
	v_add_u32_e32 v1, v3, v1
	v_lshrrev_b32_e32 v1, s10, v1
	v_mul_lo_u32 v5, v1, s8
	v_mul_hi_u32 v7, s12, v1
	v_sub_u32_e32 v3, v3, v5
	v_add_u32_e32 v5, v1, v7
	v_lshrrev_b32_e32 v5, s13, v5
	v_mul_lo_u32 v7, v5, s11
	v_mul_hi_u32 v9, s15, v5
	v_sub_u32_e32 v1, v1, v7
	v_add_u32_e32 v7, v5, v9
	v_mul_lo_u32 v3, v3, s16
	v_mul_lo_u32 v1, v1, s17
	v_lshrrev_b32_e32 v7, s0, v7
	v_add3_u32 v0, v3, v0, v1
	v_mul_hi_u32 v3, s2, v7
	v_add_u32_e32 v3, v7, v3
	v_mul_lo_u32 v1, v7, s14
	v_lshrrev_b32_e32 v3, s3, v3
	s_add_i32 s28, s28, 4
	v_sub_u32_e32 v1, v5, v1
	v_mul_lo_u32 v5, v3, s1
	s_add_u32 s20, s20, 16
	v_sub_u32_e32 v5, v7, v5
	s_addc_u32 s21, s21, 0
	v_mul_lo_u32 v1, v1, s18
	v_mul_lo_u32 v5, v5, s19
	s_cmp_lg_u32 s26, s28
	v_add3_u32 v0, v1, v0, v5
	s_cbranch_scc1 .LBB47_506
; %bb.507:
	s_and_b32 s8, s27, 3
	s_cmp_eq_u32 s8, 0
	s_cbranch_scc0 .LBB47_510
	s_branch .LBB47_512
.LBB47_508:
                                        ; implicit-def: $vgpr0
	s_branch .LBB47_513
.LBB47_509:
	v_mov_b32_e32 v3, v8
	s_and_b32 s8, s27, 3
	s_cmp_eq_u32 s8, 0
	s_cbranch_scc1 .LBB47_512
.LBB47_510:
	s_lshl_b32 s0, s26, 2
	s_add_u32 s0, s0, s4
	s_addc_u32 s1, 0, s5
	s_add_u32 s0, s0, 0xc4
	s_addc_u32 s1, s1, 0
	s_mul_i32 s2, s26, 12
	s_add_u32 s2, s4, s2
	s_addc_u32 s3, 0, s5
.LBB47_511:                             ; =>This Inner Loop Header: Depth=1
	s_load_dwordx2 s[10:11], s[2:3], 0x4
	s_load_dword s9, s[2:3], 0xc
	s_load_dword s12, s[0:1], 0x0
	s_add_u32 s2, s2, 12
	s_addc_u32 s3, s3, 0
	s_waitcnt lgkmcnt(0)
	v_mul_hi_u32 v1, s11, v3
	v_add_u32_e32 v1, v3, v1
	v_lshrrev_b32_e32 v1, s9, v1
	s_add_u32 s0, s0, 4
	v_mul_lo_u32 v5, v1, s10
	s_addc_u32 s1, s1, 0
	s_add_i32 s8, s8, -1
	v_sub_u32_e32 v5, v3, v5
	s_cmp_lg_u32 s8, 0
	v_mov_b32_e32 v3, v1
	v_mad_u64_u32 v[0:1], s[10:11], v5, s12, v[0:1]
	s_cbranch_scc1 .LBB47_511
.LBB47_512:
	s_cbranch_execnz .LBB47_515
.LBB47_513:
	s_load_dwordx4 s[0:3], s[4:5], 0x4
	s_waitcnt lgkmcnt(0)
	s_load_dword s3, s[4:5], 0xc4
	s_cmp_lt_u32 s33, 2
	v_mul_hi_u32 v0, s1, v8
	v_add_u32_e32 v0, v8, v0
	v_lshrrev_b32_e32 v1, s2, v0
	v_mul_lo_u32 v0, v1, s0
	v_sub_u32_e32 v0, v8, v0
	s_waitcnt lgkmcnt(0)
	v_mul_lo_u32 v0, v0, s3
	s_cbranch_scc1 .LBB47_515
; %bb.514:
	s_load_dwordx4 s[0:3], s[4:5], 0x10
	s_waitcnt lgkmcnt(0)
	s_load_dword s3, s[4:5], 0xc8
	v_mul_hi_u32 v3, s1, v1
	v_add_u32_e32 v3, v1, v3
	v_lshrrev_b32_e32 v3, s2, v3
	v_mul_lo_u32 v3, v3, s0
	v_sub_u32_e32 v1, v1, v3
	s_waitcnt lgkmcnt(0)
	v_mad_u64_u32 v[0:1], s[0:1], v1, s3, v[0:1]
.LBB47_515:
	s_load_dwordx4 s[0:3], s[4:5], 0x108
	s_load_dword s8, s[4:5], 0x118
	s_waitcnt lgkmcnt(0)
	v_mov_b32_e32 v1, s1
	v_add_co_u32_e32 v6, vcc, s0, v6
	s_and_b32 s18, s8, 0xff
	v_addc_co_u32_e32 v7, vcc, 0, v1, vcc
	v_cmp_lt_i16_e64 s[8:9], s18, 11
	s_and_b64 vcc, exec, s[8:9]
	s_cbranch_vccnz .LBB47_522
; %bb.516:
	v_cmp_gt_i16_e64 s[4:5], s18, 25
	s_mov_b64 s[14:15], -1
	s_mov_b64 s[10:11], 0
	s_and_b64 vcc, exec, s[4:5]
	s_mov_b64 s[12:13], 0
	s_mov_b64 s[4:5], 0
	s_cbranch_vccz .LBB47_554
; %bb.517:
	v_cmp_gt_i16_e64 s[4:5], s18, 28
	s_and_b64 vcc, exec, s[4:5]
	s_cbranch_vccz .LBB47_524
; %bb.518:
	v_cmp_gt_i16_e64 s[4:5], s18, 43
	s_and_b64 vcc, exec, s[4:5]
	;; [unrolled: 4-line block ×3, first 2 shown]
	s_cbranch_vccz .LBB47_526
; %bb.520:
	v_cmp_eq_u16_e64 s[12:13], s18, 46
	s_mov_b64 s[4:5], -1
	s_mov_b64 s[14:15], 0
	s_and_b64 vcc, exec, s[12:13]
	s_mov_b64 s[12:13], 0
	s_cbranch_vccz .LBB47_527
; %bb.521:
	v_cvt_f32_f64_e32 v1, s[2:3]
	v_bfe_u32 v3, v1, 16, 1
	v_add_u32_e32 v3, v1, v3
	v_add_u32_e32 v3, 0x7fff, v3
	v_lshrrev_b32_e32 v3, 16, v3
	v_mov_b32_e32 v5, 0x7fc0
	v_cmp_o_f32_e32 vcc, v1, v1
	v_cndmask_b32_e32 v1, v5, v3, vcc
	global_store_dword v[6:7], v1, off
	s_mov_b64 s[4:5], 0
	s_mov_b64 s[12:13], -1
	s_branch .LBB47_527
.LBB47_522:
	s_mov_b64 s[12:13], 0
	s_mov_b64 s[4:5], s[6:7]
	s_cbranch_execnz .LBB47_604
.LBB47_523:
	s_andn2_b64 vcc, exec, s[12:13]
	s_cbranch_vccz .LBB47_642
	s_branch .LBB47_949
.LBB47_524:
	s_mov_b64 s[4:5], 0
	s_and_b64 vcc, exec, s[14:15]
	s_cbranch_vccz .LBB47_553
	s_branch .LBB47_536
.LBB47_525:
	s_mov_b64 s[4:5], 0
	s_and_b64 vcc, exec, s[14:15]
	s_cbranch_vccnz .LBB47_533
	s_branch .LBB47_535
.LBB47_526:
	s_mov_b64 s[4:5], 0
.LBB47_527:
	s_and_b64 vcc, exec, s[14:15]
	s_cbranch_vccz .LBB47_532
; %bb.528:
	v_cmp_eq_u16_e64 s[14:15], s18, 44
	s_mov_b64 s[4:5], -1
	s_and_b64 vcc, exec, s[14:15]
	s_cbranch_vccz .LBB47_532
; %bb.529:
	v_cvt_f32_f64_e32 v1, s[2:3]
	v_readfirstlane_b32 s4, v1
	s_bfe_u32 s5, s4, 0x80017
	s_cmpk_eq_i32 s5, 0xff
	v_mov_b32_e32 v3, 0xff
	s_cbranch_scc1 .LBB47_531
; %bb.530:
	s_bitcmp1_b32 s4, 22
	s_cselect_b64 s[12:13], -1, 0
	s_and_b32 s4, s4, 0x3fffff
	s_or_b32 s4, s5, s4
	s_cmp_lg_u32 s4, 0
	s_cselect_b64 s[4:5], -1, 0
	s_and_b64 s[4:5], s[12:13], s[4:5]
	v_lshrrev_b32_e32 v1, 23, v1
	v_cndmask_b32_e64 v3, 0, 1, s[4:5]
	v_add_u32_e32 v3, v1, v3
.LBB47_531:
	s_mov_b64 s[4:5], 0
	s_mov_b64 s[12:13], -1
	global_store_byte v[6:7], v3, off
.LBB47_532:
	s_branch .LBB47_535
.LBB47_533:
	v_cmp_eq_u16_e64 s[14:15], s18, 29
	s_mov_b64 s[4:5], -1
	s_and_b64 vcc, exec, s[14:15]
	s_cbranch_vccz .LBB47_535
; %bb.534:
	v_trunc_f64_e32 v[8:9], s[2:3]
	s_movk_i32 s4, 0xffe0
	v_ldexp_f64 v[10:11], v[8:9], s4
	v_floor_f64_e32 v[10:11], v[10:11]
	v_fmac_f64_e32 v[8:9], 0xc1f00000, v[10:11]
	v_cvt_u32_f64_e32 v13, v[10:11]
	v_cvt_u32_f64_e32 v12, v[8:9]
	global_store_dwordx2 v[6:7], v[12:13], off
	s_mov_b64 s[4:5], 0
	s_mov_b64 s[12:13], -1
.LBB47_535:
	s_branch .LBB47_553
.LBB47_536:
	v_cmp_lt_i16_e64 s[14:15], s18, 27
	s_mov_b64 s[12:13], -1
	s_and_b64 vcc, exec, s[14:15]
	s_cbranch_vccnz .LBB47_542
; %bb.537:
	v_cmp_gt_i16_e64 s[14:15], s18, 27
	s_and_b64 vcc, exec, s[14:15]
	s_cbranch_vccz .LBB47_539
; %bb.538:
	v_cvt_u32_f64_e32 v1, s[2:3]
	s_mov_b64 s[12:13], 0
	global_store_dword v[6:7], v1, off
.LBB47_539:
	s_andn2_b64 vcc, exec, s[12:13]
	s_cbranch_vccnz .LBB47_541
; %bb.540:
	v_cvt_u32_f64_e32 v1, s[2:3]
	global_store_short v[6:7], v1, off
.LBB47_541:
	s_mov_b64 s[12:13], 0
.LBB47_542:
	s_andn2_b64 vcc, exec, s[12:13]
	s_cbranch_vccnz .LBB47_552
; %bb.543:
	v_cvt_f32_f64_e32 v1, s[2:3]
	v_readfirstlane_b32 s16, v1
	s_and_b32 s12, s16, 0x7fffffff
	s_cmp_gt_u32 s12, 0x437fffff
	v_mov_b32_e32 v3, 0x80
	s_cbranch_scc1 .LBB47_551
; %bb.544:
	s_cmp_gt_u32 s12, 0x3bffffff
	s_cbranch_scc0 .LBB47_546
; %bb.545:
	s_bfe_u32 s12, s16, 0x10014
	s_add_i32 s12, s16, s12
	s_add_i32 s12, s12, 0x487ffff
	s_lshr_b32 s17, s12, 20
	s_mov_b64 s[14:15], 0
	s_mov_b64 s[12:13], -1
	s_branch .LBB47_547
.LBB47_546:
	s_mov_b64 s[14:15], -1
	s_mov_b64 s[12:13], 0
                                        ; implicit-def: $sgpr17
.LBB47_547:
	s_andn2_b64 vcc, exec, s[14:15]
	v_mov_b32_e32 v1, s17
                                        ; implicit-def: $sgpr14
	s_cbranch_vccnz .LBB47_549
; %bb.548:
	v_mov_b32_e32 v1, 0x46000000
	v_add_f32_e64 v1, |s16|, v1
	v_and_b32_e32 v1, 0xff, v1
	s_mov_b32 s14, 0
	v_cmp_ne_u32_e64 s[12:13], 0, v1
.LBB47_549:
	s_andn2_b64 vcc, exec, s[12:13]
	v_mov_b32_e32 v3, s14
	s_cbranch_vccnz .LBB47_551
; %bb.550:
	s_lshr_b32 s12, s16, 24
	s_and_b32 s12, s12, 0x80
	v_or_b32_e32 v3, s12, v1
.LBB47_551:
	global_store_byte v[6:7], v3, off
.LBB47_552:
	s_mov_b64 s[12:13], -1
.LBB47_553:
	s_mov_b64 s[14:15], 0
.LBB47_554:
	s_and_b64 vcc, exec, s[14:15]
	s_cbranch_vccz .LBB47_600
; %bb.555:
	v_cmp_gt_i16_e64 s[14:15], s18, 22
	s_mov_b64 s[10:11], -1
	s_and_b64 vcc, exec, s[14:15]
	s_cbranch_vccz .LBB47_593
; %bb.556:
	v_cmp_lt_i16_e64 s[12:13], s18, 24
	s_and_b64 vcc, exec, s[12:13]
	s_cbranch_vccnz .LBB47_580
; %bb.557:
	v_cmp_gt_i16_e64 s[12:13], s18, 24
	s_and_b64 vcc, exec, s[12:13]
	s_cbranch_vccz .LBB47_567
; %bb.558:
	v_cvt_f32_f64_e32 v1, s[2:3]
	v_readfirstlane_b32 s14, v1
	s_and_b32 s10, s14, 0x7fffffff
	s_cmp_gt_u32 s10, 0x477fffff
	v_mov_b32_e32 v3, 0x80
	s_cbranch_scc1 .LBB47_566
; %bb.559:
	s_cmp_gt_u32 s10, 0x37ffffff
	s_cbranch_scc0 .LBB47_561
; %bb.560:
	s_bfe_u32 s10, s14, 0x10015
	s_add_i32 s10, s14, s10
	s_add_i32 s10, s10, 0x88fffff
	s_lshr_b32 s15, s10, 21
	s_mov_b64 s[12:13], 0
	s_mov_b64 s[10:11], -1
	s_branch .LBB47_562
.LBB47_561:
	s_mov_b64 s[12:13], -1
	s_mov_b64 s[10:11], 0
                                        ; implicit-def: $sgpr15
.LBB47_562:
	s_andn2_b64 vcc, exec, s[12:13]
	v_mov_b32_e32 v1, s15
                                        ; implicit-def: $sgpr12
	s_cbranch_vccnz .LBB47_564
; %bb.563:
	v_mov_b32_e32 v1, 0x42800000
	v_add_f32_e64 v1, |s14|, v1
	v_and_b32_e32 v1, 0xff, v1
	s_mov_b32 s12, 0
	v_cmp_ne_u32_e64 s[10:11], 0, v1
.LBB47_564:
	s_andn2_b64 vcc, exec, s[10:11]
	v_mov_b32_e32 v3, s12
	s_cbranch_vccnz .LBB47_566
; %bb.565:
	s_lshr_b32 s10, s14, 24
	s_and_b32 s10, s10, 0x80
	v_or_b32_e32 v3, s10, v1
.LBB47_566:
	s_mov_b64 s[10:11], 0
	global_store_byte v[6:7], v3, off
.LBB47_567:
	s_and_b64 vcc, exec, s[10:11]
	s_cbranch_vccz .LBB47_579
; %bb.568:
	v_cvt_f32_f64_e32 v1, s[2:3]
	v_readfirstlane_b32 s12, v1
	s_and_b32 s13, s12, 0x7fffffff
	s_cmp_lt_u32 s13, 0x43f00000
	s_cbranch_scc0 .LBB47_571
; %bb.569:
	s_cmp_gt_u32 s13, 0x3c7fffff
	s_cbranch_scc0 .LBB47_572
; %bb.570:
	s_bfe_u32 s10, s12, 0x10014
	s_add_i32 s10, s12, s10
	s_add_i32 s10, s10, 0x407ffff
	s_lshr_b32 s11, s10, 20
	s_and_b32 s10, s10, 0xff00000
	s_cmp_lg_u32 s10, 0x7f00000
	s_cselect_b32 s14, s11, 0x7e
	s_mov_b64 s[10:11], 0
	s_branch .LBB47_573
.LBB47_571:
	s_mov_b64 s[10:11], -1
                                        ; implicit-def: $vgpr3
	s_branch .LBB47_576
.LBB47_572:
	s_mov_b64 s[10:11], -1
                                        ; implicit-def: $sgpr14
.LBB47_573:
	s_andn2_b64 vcc, exec, s[10:11]
	v_mov_b32_e32 v3, s14
	s_cbranch_vccnz .LBB47_575
; %bb.574:
	s_mov_b32 s10, 0x46800000
	v_add_f32_e64 v3, |v1|, s10
.LBB47_575:
	s_mov_b64 s[10:11], 0
.LBB47_576:
	s_andn2_b64 vcc, exec, s[10:11]
	s_cbranch_vccnz .LBB47_578
; %bb.577:
	s_cmp_gt_u32 s13, 0x7f800000
	s_movk_i32 s10, 0x7f
	s_cselect_b32 s10, s10, 0x7e
	v_mov_b32_e32 v3, s10
.LBB47_578:
	s_lshr_b32 s10, s12, 24
	s_and_b32 s10, s10, 0x80
	v_or_b32_e32 v1, s10, v3
	global_store_byte v[6:7], v1, off
.LBB47_579:
	s_mov_b64 s[10:11], 0
.LBB47_580:
	s_andn2_b64 vcc, exec, s[10:11]
	s_cbranch_vccnz .LBB47_592
; %bb.581:
	v_cvt_f32_f64_e32 v1, s[2:3]
	v_readfirstlane_b32 s12, v1
	s_and_b32 s13, s12, 0x7fffffff
	s_cmp_lt_u32 s13, 0x47800000
	s_cbranch_scc0 .LBB47_584
; %bb.582:
	s_cmp_gt_u32 s13, 0x387fffff
	s_cbranch_scc0 .LBB47_585
; %bb.583:
	s_bfe_u32 s10, s12, 0x10015
	s_add_i32 s10, s12, s10
	s_add_i32 s10, s10, 0x80fffff
	s_lshr_b32 s14, s10, 21
	s_mov_b64 s[10:11], 0
	s_branch .LBB47_586
.LBB47_584:
	s_mov_b64 s[10:11], -1
                                        ; implicit-def: $vgpr3
	s_branch .LBB47_589
.LBB47_585:
	s_mov_b64 s[10:11], -1
                                        ; implicit-def: $sgpr14
.LBB47_586:
	s_andn2_b64 vcc, exec, s[10:11]
	v_mov_b32_e32 v3, s14
	s_cbranch_vccnz .LBB47_588
; %bb.587:
	s_mov_b32 s10, 0x43000000
	v_add_f32_e64 v3, |v1|, s10
.LBB47_588:
	s_mov_b64 s[10:11], 0
.LBB47_589:
	s_andn2_b64 vcc, exec, s[10:11]
	s_cbranch_vccnz .LBB47_591
; %bb.590:
	s_cmp_gt_u32 s13, 0x7f800000
	s_movk_i32 s10, 0x7f
	s_cselect_b32 s10, s10, 0x7c
	v_mov_b32_e32 v3, s10
.LBB47_591:
	s_lshr_b32 s10, s12, 24
	s_and_b32 s10, s10, 0x80
	v_or_b32_e32 v1, s10, v3
	global_store_byte v[6:7], v1, off
.LBB47_592:
	s_mov_b64 s[10:11], 0
	s_mov_b64 s[12:13], -1
.LBB47_593:
	s_andn2_b64 vcc, exec, s[10:11]
	s_mov_b64 s[10:11], 0
	s_cbranch_vccnz .LBB47_600
; %bb.594:
	v_cmp_gt_i16_e64 s[10:11], s18, 14
	s_mov_b64 s[14:15], -1
	s_and_b64 vcc, exec, s[10:11]
	s_cbranch_vccz .LBB47_598
; %bb.595:
	v_cmp_eq_u16_e64 s[10:11], s18, 15
	s_mov_b64 s[4:5], -1
	s_and_b64 vcc, exec, s[10:11]
	s_cbranch_vccz .LBB47_597
; %bb.596:
	v_cvt_f32_f64_e32 v1, s[2:3]
	v_bfe_u32 v3, v1, 16, 1
	v_add_u32_e32 v3, v1, v3
	v_add_u32_e32 v3, 0x7fff, v3
	v_lshrrev_b32_e32 v3, 16, v3
	v_mov_b32_e32 v5, 0x7fc0
	v_cmp_o_f32_e32 vcc, v1, v1
	v_cndmask_b32_e32 v1, v5, v3, vcc
	global_store_short v[6:7], v1, off
	s_mov_b64 s[4:5], 0
	s_mov_b64 s[12:13], -1
.LBB47_597:
	s_mov_b64 s[14:15], 0
.LBB47_598:
	s_mov_b64 s[10:11], 0
	s_and_b64 vcc, exec, s[14:15]
	s_cbranch_vccz .LBB47_600
; %bb.599:
	v_cmp_ne_u16_e64 s[4:5], s18, 11
	s_mov_b64 s[10:11], -1
.LBB47_600:
	s_and_b64 vcc, exec, s[4:5]
	s_mov_b64 s[4:5], s[6:7]
	s_cbranch_vccnz .LBB47_653
; %bb.601:
	s_andn2_b64 vcc, exec, s[10:11]
	s_cbranch_vccnz .LBB47_603
.LBB47_602:
	v_cmp_neq_f64_e64 s[10:11], s[2:3], 0
	v_cndmask_b32_e64 v1, 0, 1, s[10:11]
	global_store_byte v[6:7], v1, off
	s_mov_b64 s[12:13], -1
.LBB47_603:
	s_branch .LBB47_523
.LBB47_604:
	v_cmp_lt_i16_e64 s[12:13], s18, 5
	s_mov_b64 s[10:11], -1
	s_and_b64 vcc, exec, s[12:13]
	s_cbranch_vccnz .LBB47_625
; %bb.605:
	v_cmp_lt_i16_e64 s[12:13], s18, 8
	s_and_b64 vcc, exec, s[12:13]
	s_cbranch_vccnz .LBB47_615
; %bb.606:
	v_cmp_lt_i16_e64 s[12:13], s18, 9
	s_and_b64 vcc, exec, s[12:13]
	s_cbranch_vccnz .LBB47_612
; %bb.607:
	v_cmp_gt_i16_e64 s[12:13], s18, 9
	s_and_b64 vcc, exec, s[12:13]
	s_cbranch_vccz .LBB47_609
; %bb.608:
	v_mov_b32_e32 v10, 0
	v_mov_b32_e32 v8, s2
	;; [unrolled: 1-line block ×4, first 2 shown]
	global_store_dwordx4 v[6:7], v[8:11], off
	s_mov_b64 s[10:11], 0
.LBB47_609:
	s_andn2_b64 vcc, exec, s[10:11]
	s_cbranch_vccnz .LBB47_611
; %bb.610:
	v_cvt_f32_f64_e32 v8, s[2:3]
	v_mov_b32_e32 v9, 0
	global_store_dwordx2 v[6:7], v[8:9], off
.LBB47_611:
	s_mov_b64 s[10:11], 0
.LBB47_612:
	s_andn2_b64 vcc, exec, s[10:11]
	s_cbranch_vccnz .LBB47_614
; %bb.613:
	v_cvt_f32_f64_e32 v1, s[2:3]
	v_cvt_f16_f32_e32 v1, v1
	global_store_dword v[6:7], v1, off
.LBB47_614:
	s_mov_b64 s[10:11], 0
.LBB47_615:
	s_andn2_b64 vcc, exec, s[10:11]
	s_cbranch_vccnz .LBB47_624
; %bb.616:
	v_cmp_lt_i16_e64 s[12:13], s18, 6
	s_mov_b64 s[10:11], -1
	s_and_b64 vcc, exec, s[12:13]
	s_cbranch_vccnz .LBB47_622
; %bb.617:
	v_cmp_gt_i16_e64 s[12:13], s18, 6
	s_and_b64 vcc, exec, s[12:13]
	s_cbranch_vccz .LBB47_619
; %bb.618:
	v_pk_mov_b32 v[8:9], s[2:3], s[2:3] op_sel:[0,1]
	global_store_dwordx2 v[6:7], v[8:9], off
	s_mov_b64 s[10:11], 0
.LBB47_619:
	s_andn2_b64 vcc, exec, s[10:11]
	s_cbranch_vccnz .LBB47_621
; %bb.620:
	v_cvt_f32_f64_e32 v1, s[2:3]
	global_store_dword v[6:7], v1, off
.LBB47_621:
	s_mov_b64 s[10:11], 0
.LBB47_622:
	s_andn2_b64 vcc, exec, s[10:11]
	s_cbranch_vccnz .LBB47_624
; %bb.623:
	v_cvt_f32_f64_e32 v1, s[2:3]
	v_cvt_f16_f32_e32 v1, v1
	global_store_short v[6:7], v1, off
.LBB47_624:
	s_mov_b64 s[10:11], 0
.LBB47_625:
	s_andn2_b64 vcc, exec, s[10:11]
	s_cbranch_vccnz .LBB47_641
; %bb.626:
	v_cmp_lt_i16_e64 s[12:13], s18, 2
	s_mov_b64 s[10:11], -1
	s_and_b64 vcc, exec, s[12:13]
	s_cbranch_vccnz .LBB47_636
; %bb.627:
	v_cmp_lt_i16_e64 s[12:13], s18, 3
	s_and_b64 vcc, exec, s[12:13]
	s_cbranch_vccnz .LBB47_633
; %bb.628:
	v_cmp_gt_i16_e64 s[12:13], s18, 3
	s_and_b64 vcc, exec, s[12:13]
	s_cbranch_vccz .LBB47_630
; %bb.629:
	v_trunc_f64_e32 v[8:9], s[2:3]
	s_movk_i32 s10, 0xffe0
	v_ldexp_f64 v[10:11], v[8:9], s10
	v_floor_f64_e32 v[10:11], v[10:11]
	v_fmac_f64_e32 v[8:9], 0xc1f00000, v[10:11]
	v_cvt_i32_f64_e32 v13, v[10:11]
	v_cvt_u32_f64_e32 v12, v[8:9]
	global_store_dwordx2 v[6:7], v[12:13], off
	s_mov_b64 s[10:11], 0
.LBB47_630:
	s_andn2_b64 vcc, exec, s[10:11]
	s_cbranch_vccnz .LBB47_632
; %bb.631:
	v_cvt_i32_f64_e32 v1, s[2:3]
	global_store_dword v[6:7], v1, off
.LBB47_632:
	s_mov_b64 s[10:11], 0
.LBB47_633:
	s_andn2_b64 vcc, exec, s[10:11]
	s_cbranch_vccnz .LBB47_635
; %bb.634:
	v_cvt_i32_f64_e32 v1, s[2:3]
	global_store_short v[6:7], v1, off
.LBB47_635:
	s_mov_b64 s[10:11], 0
.LBB47_636:
	s_andn2_b64 vcc, exec, s[10:11]
	s_cbranch_vccnz .LBB47_641
; %bb.637:
	v_cmp_gt_i16_e64 s[12:13], s18, 0
	s_mov_b64 s[10:11], -1
	s_and_b64 vcc, exec, s[12:13]
	s_cbranch_vccz .LBB47_639
; %bb.638:
	v_cvt_i32_f64_e32 v1, s[2:3]
	global_store_byte v[6:7], v1, off
	s_mov_b64 s[10:11], 0
.LBB47_639:
	s_andn2_b64 vcc, exec, s[10:11]
	s_cbranch_vccnz .LBB47_641
; %bb.640:
	v_trunc_f64_e32 v[8:9], s[2:3]
	s_movk_i32 s10, 0xffe0
	v_ldexp_f64 v[10:11], v[8:9], s10
	v_floor_f64_e32 v[10:11], v[10:11]
	v_fmac_f64_e32 v[8:9], 0xc1f00000, v[10:11]
	v_cvt_u32_f64_e32 v1, v[8:9]
	global_store_byte v[6:7], v1, off
.LBB47_641:
.LBB47_642:
	v_mov_b32_e32 v1, s1
	v_add_co_u32_e32 v4, vcc, s0, v4
	v_addc_co_u32_e32 v5, vcc, 0, v1, vcc
	s_and_b64 vcc, exec, s[8:9]
	s_cbranch_vccnz .LBB47_649
; %bb.643:
	v_cmp_gt_i16_e64 s[10:11], s18, 25
	s_mov_b64 s[16:17], -1
	s_mov_b64 s[12:13], 0
	s_and_b64 vcc, exec, s[10:11]
	s_mov_b64 s[14:15], 0
	s_mov_b64 s[10:11], 0
	s_cbranch_vccz .LBB47_684
; %bb.644:
	v_cmp_gt_i16_e64 s[10:11], s18, 28
	s_and_b64 vcc, exec, s[10:11]
	s_cbranch_vccz .LBB47_651
; %bb.645:
	v_cmp_gt_i16_e64 s[10:11], s18, 43
	s_and_b64 vcc, exec, s[10:11]
	;; [unrolled: 4-line block ×3, first 2 shown]
	s_cbranch_vccz .LBB47_654
; %bb.647:
	v_cmp_eq_u16_e64 s[14:15], s18, 46
	s_mov_b64 s[10:11], -1
	s_mov_b64 s[16:17], 0
	s_and_b64 vcc, exec, s[14:15]
	s_mov_b64 s[14:15], 0
	s_cbranch_vccz .LBB47_655
; %bb.648:
	v_cvt_f32_f64_e32 v1, s[2:3]
	v_bfe_u32 v3, v1, 16, 1
	v_add_u32_e32 v3, v1, v3
	v_add_u32_e32 v3, 0x7fff, v3
	v_lshrrev_b32_e32 v3, 16, v3
	v_mov_b32_e32 v6, 0x7fc0
	v_cmp_o_f32_e32 vcc, v1, v1
	v_cndmask_b32_e32 v1, v6, v3, vcc
	global_store_dword v[4:5], v1, off
	s_mov_b64 s[10:11], 0
	s_mov_b64 s[14:15], -1
	s_branch .LBB47_655
.LBB47_649:
	s_mov_b64 s[14:15], 0
	s_cbranch_execnz .LBB47_734
.LBB47_650:
	s_andn2_b64 vcc, exec, s[14:15]
	s_cbranch_vccz .LBB47_772
	s_branch .LBB47_949
.LBB47_651:
	s_mov_b64 s[10:11], 0
	s_branch .LBB47_665
.LBB47_652:
	s_mov_b64 s[10:11], 0
	s_branch .LBB47_661
.LBB47_653:
	s_or_b64 s[4:5], s[6:7], exec
	s_trap 2
	s_cbranch_execz .LBB47_602
	s_branch .LBB47_603
.LBB47_654:
	s_mov_b64 s[10:11], 0
.LBB47_655:
	s_and_b64 vcc, exec, s[16:17]
	s_cbranch_vccz .LBB47_660
; %bb.656:
	v_cmp_eq_u16_e64 s[16:17], s18, 44
	s_mov_b64 s[10:11], -1
	s_and_b64 vcc, exec, s[16:17]
	s_cbranch_vccz .LBB47_660
; %bb.657:
	v_cvt_f32_f64_e32 v1, s[2:3]
	v_readfirstlane_b32 s10, v1
	s_bfe_u32 s11, s10, 0x80017
	s_cmpk_eq_i32 s11, 0xff
	v_mov_b32_e32 v3, 0xff
	s_cbranch_scc1 .LBB47_659
; %bb.658:
	s_bitcmp1_b32 s10, 22
	s_cselect_b64 s[14:15], -1, 0
	s_and_b32 s10, s10, 0x3fffff
	s_or_b32 s10, s11, s10
	s_cmp_lg_u32 s10, 0
	s_cselect_b64 s[10:11], -1, 0
	s_and_b64 s[10:11], s[14:15], s[10:11]
	v_lshrrev_b32_e32 v1, 23, v1
	v_cndmask_b32_e64 v3, 0, 1, s[10:11]
	v_add_u32_e32 v3, v1, v3
.LBB47_659:
	s_mov_b64 s[10:11], 0
	s_mov_b64 s[14:15], -1
	global_store_byte v[4:5], v3, off
.LBB47_660:
	s_mov_b64 s[16:17], 0
.LBB47_661:
	s_and_b64 vcc, exec, s[16:17]
	s_cbranch_vccz .LBB47_664
; %bb.662:
	v_cmp_eq_u16_e64 s[16:17], s18, 29
	s_mov_b64 s[10:11], -1
	s_and_b64 vcc, exec, s[16:17]
	s_cbranch_vccz .LBB47_664
; %bb.663:
	v_trunc_f64_e32 v[6:7], s[2:3]
	s_movk_i32 s10, 0xffe0
	v_ldexp_f64 v[8:9], v[6:7], s10
	v_floor_f64_e32 v[8:9], v[8:9]
	v_fmac_f64_e32 v[6:7], 0xc1f00000, v[8:9]
	v_cvt_u32_f64_e32 v11, v[8:9]
	v_cvt_u32_f64_e32 v10, v[6:7]
	global_store_dwordx2 v[4:5], v[10:11], off
	s_mov_b64 s[10:11], 0
	s_mov_b64 s[14:15], -1
.LBB47_664:
	s_mov_b64 s[16:17], 0
.LBB47_665:
	s_and_b64 vcc, exec, s[16:17]
	s_cbranch_vccz .LBB47_683
; %bb.666:
	v_cmp_lt_i16_e64 s[16:17], s18, 27
	s_mov_b64 s[14:15], -1
	s_and_b64 vcc, exec, s[16:17]
	s_cbranch_vccnz .LBB47_672
; %bb.667:
	v_cmp_gt_i16_e64 s[16:17], s18, 27
	s_and_b64 vcc, exec, s[16:17]
	s_cbranch_vccz .LBB47_669
; %bb.668:
	v_cvt_u32_f64_e32 v1, s[2:3]
	s_mov_b64 s[14:15], 0
	global_store_dword v[4:5], v1, off
.LBB47_669:
	s_andn2_b64 vcc, exec, s[14:15]
	s_cbranch_vccnz .LBB47_671
; %bb.670:
	v_cvt_u32_f64_e32 v1, s[2:3]
	global_store_short v[4:5], v1, off
.LBB47_671:
	s_mov_b64 s[14:15], 0
.LBB47_672:
	s_andn2_b64 vcc, exec, s[14:15]
	s_cbranch_vccnz .LBB47_682
; %bb.673:
	v_cvt_f32_f64_e32 v1, s[2:3]
	v_readfirstlane_b32 s19, v1
	s_and_b32 s14, s19, 0x7fffffff
	s_cmp_gt_u32 s14, 0x437fffff
	v_mov_b32_e32 v3, 0x80
	s_cbranch_scc1 .LBB47_681
; %bb.674:
	s_cmp_gt_u32 s14, 0x3bffffff
	s_cbranch_scc0 .LBB47_676
; %bb.675:
	s_bfe_u32 s14, s19, 0x10014
	s_add_i32 s14, s19, s14
	s_add_i32 s14, s14, 0x487ffff
	s_lshr_b32 s20, s14, 20
	s_mov_b64 s[16:17], 0
	s_mov_b64 s[14:15], -1
	s_branch .LBB47_677
.LBB47_676:
	s_mov_b64 s[16:17], -1
	s_mov_b64 s[14:15], 0
                                        ; implicit-def: $sgpr20
.LBB47_677:
	s_andn2_b64 vcc, exec, s[16:17]
	v_mov_b32_e32 v1, s20
                                        ; implicit-def: $sgpr16
	s_cbranch_vccnz .LBB47_679
; %bb.678:
	v_mov_b32_e32 v1, 0x46000000
	v_add_f32_e64 v1, |s19|, v1
	v_and_b32_e32 v1, 0xff, v1
	s_mov_b32 s16, 0
	v_cmp_ne_u32_e64 s[14:15], 0, v1
.LBB47_679:
	s_andn2_b64 vcc, exec, s[14:15]
	v_mov_b32_e32 v3, s16
	s_cbranch_vccnz .LBB47_681
; %bb.680:
	s_lshr_b32 s14, s19, 24
	s_and_b32 s14, s14, 0x80
	v_or_b32_e32 v3, s14, v1
.LBB47_681:
	global_store_byte v[4:5], v3, off
.LBB47_682:
	s_mov_b64 s[14:15], -1
.LBB47_683:
	s_mov_b64 s[16:17], 0
.LBB47_684:
	s_and_b64 vcc, exec, s[16:17]
	s_cbranch_vccz .LBB47_730
; %bb.685:
	v_cmp_gt_i16_e64 s[16:17], s18, 22
	s_mov_b64 s[12:13], -1
	s_and_b64 vcc, exec, s[16:17]
	s_cbranch_vccz .LBB47_723
; %bb.686:
	v_cmp_lt_i16_e64 s[14:15], s18, 24
	s_and_b64 vcc, exec, s[14:15]
	s_cbranch_vccnz .LBB47_710
; %bb.687:
	v_cmp_gt_i16_e64 s[14:15], s18, 24
	s_and_b64 vcc, exec, s[14:15]
	s_cbranch_vccz .LBB47_697
; %bb.688:
	v_cvt_f32_f64_e32 v1, s[2:3]
	v_readfirstlane_b32 s16, v1
	s_and_b32 s12, s16, 0x7fffffff
	s_cmp_gt_u32 s12, 0x477fffff
	v_mov_b32_e32 v3, 0x80
	s_cbranch_scc1 .LBB47_696
; %bb.689:
	s_cmp_gt_u32 s12, 0x37ffffff
	s_cbranch_scc0 .LBB47_691
; %bb.690:
	s_bfe_u32 s12, s16, 0x10015
	s_add_i32 s12, s16, s12
	s_add_i32 s12, s12, 0x88fffff
	s_lshr_b32 s17, s12, 21
	s_mov_b64 s[14:15], 0
	s_mov_b64 s[12:13], -1
	s_branch .LBB47_692
.LBB47_691:
	s_mov_b64 s[14:15], -1
	s_mov_b64 s[12:13], 0
                                        ; implicit-def: $sgpr17
.LBB47_692:
	s_andn2_b64 vcc, exec, s[14:15]
	v_mov_b32_e32 v1, s17
                                        ; implicit-def: $sgpr14
	s_cbranch_vccnz .LBB47_694
; %bb.693:
	v_mov_b32_e32 v1, 0x42800000
	v_add_f32_e64 v1, |s16|, v1
	v_and_b32_e32 v1, 0xff, v1
	s_mov_b32 s14, 0
	v_cmp_ne_u32_e64 s[12:13], 0, v1
.LBB47_694:
	s_andn2_b64 vcc, exec, s[12:13]
	v_mov_b32_e32 v3, s14
	s_cbranch_vccnz .LBB47_696
; %bb.695:
	s_lshr_b32 s12, s16, 24
	s_and_b32 s12, s12, 0x80
	v_or_b32_e32 v3, s12, v1
.LBB47_696:
	s_mov_b64 s[12:13], 0
	global_store_byte v[4:5], v3, off
.LBB47_697:
	s_and_b64 vcc, exec, s[12:13]
	s_cbranch_vccz .LBB47_709
; %bb.698:
	v_cvt_f32_f64_e32 v1, s[2:3]
	v_readfirstlane_b32 s14, v1
	s_and_b32 s15, s14, 0x7fffffff
	s_cmp_lt_u32 s15, 0x43f00000
	s_cbranch_scc0 .LBB47_701
; %bb.699:
	s_cmp_gt_u32 s15, 0x3c7fffff
	s_cbranch_scc0 .LBB47_702
; %bb.700:
	s_bfe_u32 s12, s14, 0x10014
	s_add_i32 s12, s14, s12
	s_add_i32 s12, s12, 0x407ffff
	s_lshr_b32 s13, s12, 20
	s_and_b32 s12, s12, 0xff00000
	s_cmp_lg_u32 s12, 0x7f00000
	s_cselect_b32 s16, s13, 0x7e
	s_mov_b64 s[12:13], 0
	s_branch .LBB47_703
.LBB47_701:
	s_mov_b64 s[12:13], -1
                                        ; implicit-def: $vgpr3
	s_branch .LBB47_706
.LBB47_702:
	s_mov_b64 s[12:13], -1
                                        ; implicit-def: $sgpr16
.LBB47_703:
	s_andn2_b64 vcc, exec, s[12:13]
	v_mov_b32_e32 v3, s16
	s_cbranch_vccnz .LBB47_705
; %bb.704:
	s_mov_b32 s12, 0x46800000
	v_add_f32_e64 v3, |v1|, s12
.LBB47_705:
	s_mov_b64 s[12:13], 0
.LBB47_706:
	s_andn2_b64 vcc, exec, s[12:13]
	s_cbranch_vccnz .LBB47_708
; %bb.707:
	s_cmp_gt_u32 s15, 0x7f800000
	s_movk_i32 s12, 0x7f
	s_cselect_b32 s12, s12, 0x7e
	v_mov_b32_e32 v3, s12
.LBB47_708:
	s_lshr_b32 s12, s14, 24
	s_and_b32 s12, s12, 0x80
	v_or_b32_e32 v1, s12, v3
	global_store_byte v[4:5], v1, off
.LBB47_709:
	s_mov_b64 s[12:13], 0
.LBB47_710:
	s_andn2_b64 vcc, exec, s[12:13]
	s_cbranch_vccnz .LBB47_722
; %bb.711:
	v_cvt_f32_f64_e32 v1, s[2:3]
	v_readfirstlane_b32 s14, v1
	s_and_b32 s15, s14, 0x7fffffff
	s_cmp_lt_u32 s15, 0x47800000
	s_cbranch_scc0 .LBB47_714
; %bb.712:
	s_cmp_gt_u32 s15, 0x387fffff
	s_cbranch_scc0 .LBB47_715
; %bb.713:
	s_bfe_u32 s12, s14, 0x10015
	s_add_i32 s12, s14, s12
	s_add_i32 s12, s12, 0x80fffff
	s_lshr_b32 s16, s12, 21
	s_mov_b64 s[12:13], 0
	s_branch .LBB47_716
.LBB47_714:
	s_mov_b64 s[12:13], -1
                                        ; implicit-def: $vgpr3
	s_branch .LBB47_719
.LBB47_715:
	s_mov_b64 s[12:13], -1
                                        ; implicit-def: $sgpr16
.LBB47_716:
	s_andn2_b64 vcc, exec, s[12:13]
	v_mov_b32_e32 v3, s16
	s_cbranch_vccnz .LBB47_718
; %bb.717:
	s_mov_b32 s12, 0x43000000
	v_add_f32_e64 v3, |v1|, s12
.LBB47_718:
	s_mov_b64 s[12:13], 0
.LBB47_719:
	s_andn2_b64 vcc, exec, s[12:13]
	s_cbranch_vccnz .LBB47_721
; %bb.720:
	s_cmp_gt_u32 s15, 0x7f800000
	s_movk_i32 s12, 0x7f
	s_cselect_b32 s12, s12, 0x7c
	v_mov_b32_e32 v3, s12
.LBB47_721:
	s_lshr_b32 s12, s14, 24
	s_and_b32 s12, s12, 0x80
	v_or_b32_e32 v1, s12, v3
	global_store_byte v[4:5], v1, off
.LBB47_722:
	s_mov_b64 s[12:13], 0
	s_mov_b64 s[14:15], -1
.LBB47_723:
	s_andn2_b64 vcc, exec, s[12:13]
	s_mov_b64 s[12:13], 0
	s_cbranch_vccnz .LBB47_730
; %bb.724:
	v_cmp_gt_i16_e64 s[12:13], s18, 14
	s_mov_b64 s[16:17], -1
	s_and_b64 vcc, exec, s[12:13]
	s_cbranch_vccz .LBB47_728
; %bb.725:
	v_cmp_eq_u16_e64 s[12:13], s18, 15
	s_mov_b64 s[10:11], -1
	s_and_b64 vcc, exec, s[12:13]
	s_cbranch_vccz .LBB47_727
; %bb.726:
	v_cvt_f32_f64_e32 v1, s[2:3]
	v_bfe_u32 v3, v1, 16, 1
	v_add_u32_e32 v3, v1, v3
	v_add_u32_e32 v3, 0x7fff, v3
	v_lshrrev_b32_e32 v3, 16, v3
	v_mov_b32_e32 v6, 0x7fc0
	v_cmp_o_f32_e32 vcc, v1, v1
	v_cndmask_b32_e32 v1, v6, v3, vcc
	global_store_short v[4:5], v1, off
	s_mov_b64 s[10:11], 0
	s_mov_b64 s[14:15], -1
.LBB47_727:
	s_mov_b64 s[16:17], 0
.LBB47_728:
	s_mov_b64 s[12:13], 0
	s_and_b64 vcc, exec, s[16:17]
	s_cbranch_vccz .LBB47_730
; %bb.729:
	v_cmp_ne_u16_e64 s[10:11], s18, 11
	s_mov_b64 s[12:13], -1
.LBB47_730:
	s_and_b64 vcc, exec, s[10:11]
	s_cbranch_vccnz .LBB47_793
; %bb.731:
	s_andn2_b64 vcc, exec, s[12:13]
	s_cbranch_vccnz .LBB47_733
.LBB47_732:
	v_cmp_neq_f64_e64 s[10:11], s[2:3], 0
	v_cndmask_b32_e64 v1, 0, 1, s[10:11]
	s_mov_b64 s[14:15], -1
	global_store_byte v[4:5], v1, off
.LBB47_733:
	s_branch .LBB47_650
.LBB47_734:
	v_cmp_lt_i16_e64 s[12:13], s18, 5
	s_mov_b64 s[10:11], -1
	s_and_b64 vcc, exec, s[12:13]
	s_cbranch_vccnz .LBB47_755
; %bb.735:
	v_cmp_lt_i16_e64 s[12:13], s18, 8
	s_and_b64 vcc, exec, s[12:13]
	s_cbranch_vccnz .LBB47_745
; %bb.736:
	v_cmp_lt_i16_e64 s[12:13], s18, 9
	s_and_b64 vcc, exec, s[12:13]
	s_cbranch_vccnz .LBB47_742
; %bb.737:
	v_cmp_gt_i16_e64 s[12:13], s18, 9
	s_and_b64 vcc, exec, s[12:13]
	s_cbranch_vccz .LBB47_739
; %bb.738:
	v_mov_b32_e32 v8, 0
	v_mov_b32_e32 v6, s2
	;; [unrolled: 1-line block ×4, first 2 shown]
	global_store_dwordx4 v[4:5], v[6:9], off
	s_mov_b64 s[10:11], 0
.LBB47_739:
	s_andn2_b64 vcc, exec, s[10:11]
	s_cbranch_vccnz .LBB47_741
; %bb.740:
	v_cvt_f32_f64_e32 v6, s[2:3]
	v_mov_b32_e32 v7, 0
	global_store_dwordx2 v[4:5], v[6:7], off
.LBB47_741:
	s_mov_b64 s[10:11], 0
.LBB47_742:
	s_andn2_b64 vcc, exec, s[10:11]
	s_cbranch_vccnz .LBB47_744
; %bb.743:
	v_cvt_f32_f64_e32 v1, s[2:3]
	v_cvt_f16_f32_e32 v1, v1
	global_store_dword v[4:5], v1, off
.LBB47_744:
	s_mov_b64 s[10:11], 0
.LBB47_745:
	s_andn2_b64 vcc, exec, s[10:11]
	s_cbranch_vccnz .LBB47_754
; %bb.746:
	v_cmp_lt_i16_e64 s[12:13], s18, 6
	s_mov_b64 s[10:11], -1
	s_and_b64 vcc, exec, s[12:13]
	s_cbranch_vccnz .LBB47_752
; %bb.747:
	v_cmp_gt_i16_e64 s[12:13], s18, 6
	s_and_b64 vcc, exec, s[12:13]
	s_cbranch_vccz .LBB47_749
; %bb.748:
	v_pk_mov_b32 v[6:7], s[2:3], s[2:3] op_sel:[0,1]
	global_store_dwordx2 v[4:5], v[6:7], off
	s_mov_b64 s[10:11], 0
.LBB47_749:
	s_andn2_b64 vcc, exec, s[10:11]
	s_cbranch_vccnz .LBB47_751
; %bb.750:
	v_cvt_f32_f64_e32 v1, s[2:3]
	global_store_dword v[4:5], v1, off
.LBB47_751:
	s_mov_b64 s[10:11], 0
.LBB47_752:
	s_andn2_b64 vcc, exec, s[10:11]
	s_cbranch_vccnz .LBB47_754
; %bb.753:
	v_cvt_f32_f64_e32 v1, s[2:3]
	v_cvt_f16_f32_e32 v1, v1
	global_store_short v[4:5], v1, off
.LBB47_754:
	s_mov_b64 s[10:11], 0
.LBB47_755:
	s_andn2_b64 vcc, exec, s[10:11]
	s_cbranch_vccnz .LBB47_771
; %bb.756:
	v_cmp_lt_i16_e64 s[12:13], s18, 2
	s_mov_b64 s[10:11], -1
	s_and_b64 vcc, exec, s[12:13]
	s_cbranch_vccnz .LBB47_766
; %bb.757:
	v_cmp_lt_i16_e64 s[12:13], s18, 3
	s_and_b64 vcc, exec, s[12:13]
	s_cbranch_vccnz .LBB47_763
; %bb.758:
	v_cmp_gt_i16_e64 s[12:13], s18, 3
	s_and_b64 vcc, exec, s[12:13]
	s_cbranch_vccz .LBB47_760
; %bb.759:
	v_trunc_f64_e32 v[6:7], s[2:3]
	s_movk_i32 s10, 0xffe0
	v_ldexp_f64 v[8:9], v[6:7], s10
	v_floor_f64_e32 v[8:9], v[8:9]
	v_fmac_f64_e32 v[6:7], 0xc1f00000, v[8:9]
	v_cvt_i32_f64_e32 v11, v[8:9]
	v_cvt_u32_f64_e32 v10, v[6:7]
	global_store_dwordx2 v[4:5], v[10:11], off
	s_mov_b64 s[10:11], 0
.LBB47_760:
	s_andn2_b64 vcc, exec, s[10:11]
	s_cbranch_vccnz .LBB47_762
; %bb.761:
	v_cvt_i32_f64_e32 v1, s[2:3]
	global_store_dword v[4:5], v1, off
.LBB47_762:
	s_mov_b64 s[10:11], 0
.LBB47_763:
	s_andn2_b64 vcc, exec, s[10:11]
	s_cbranch_vccnz .LBB47_765
; %bb.764:
	v_cvt_i32_f64_e32 v1, s[2:3]
	global_store_short v[4:5], v1, off
.LBB47_765:
	s_mov_b64 s[10:11], 0
.LBB47_766:
	s_andn2_b64 vcc, exec, s[10:11]
	s_cbranch_vccnz .LBB47_771
; %bb.767:
	v_cmp_gt_i16_e64 s[12:13], s18, 0
	s_mov_b64 s[10:11], -1
	s_and_b64 vcc, exec, s[12:13]
	s_cbranch_vccz .LBB47_769
; %bb.768:
	v_cvt_i32_f64_e32 v1, s[2:3]
	global_store_byte v[4:5], v1, off
	s_mov_b64 s[10:11], 0
.LBB47_769:
	s_andn2_b64 vcc, exec, s[10:11]
	s_cbranch_vccnz .LBB47_771
; %bb.770:
	v_trunc_f64_e32 v[6:7], s[2:3]
	s_movk_i32 s10, 0xffe0
	v_ldexp_f64 v[8:9], v[6:7], s10
	v_floor_f64_e32 v[8:9], v[8:9]
	v_fmac_f64_e32 v[6:7], 0xc1f00000, v[8:9]
	v_cvt_u32_f64_e32 v1, v[6:7]
	global_store_byte v[4:5], v1, off
.LBB47_771:
.LBB47_772:
	v_mov_b32_e32 v1, s1
	v_add_co_u32_e32 v2, vcc, s0, v2
	v_addc_co_u32_e32 v3, vcc, 0, v1, vcc
	s_and_b64 vcc, exec, s[8:9]
	s_cbranch_vccnz .LBB47_779
; %bb.773:
	v_cmp_gt_i16_e64 s[10:11], s18, 25
	s_mov_b64 s[16:17], -1
	s_mov_b64 s[12:13], 0
	s_and_b64 vcc, exec, s[10:11]
	s_mov_b64 s[14:15], 0
	s_mov_b64 s[10:11], 0
	s_cbranch_vccz .LBB47_847
; %bb.774:
	v_cmp_gt_i16_e64 s[10:11], s18, 28
	s_and_b64 vcc, exec, s[10:11]
	s_cbranch_vccz .LBB47_790
; %bb.775:
	v_cmp_gt_i16_e64 s[10:11], s18, 43
	s_and_b64 vcc, exec, s[10:11]
	;; [unrolled: 4-line block ×3, first 2 shown]
	s_cbranch_vccz .LBB47_794
; %bb.777:
	v_cmp_eq_u16_e64 s[14:15], s18, 46
	s_mov_b64 s[10:11], -1
	s_mov_b64 s[16:17], 0
	s_and_b64 vcc, exec, s[14:15]
	s_mov_b64 s[14:15], 0
	s_cbranch_vccz .LBB47_795
; %bb.778:
	v_cvt_f32_f64_e32 v1, s[2:3]
	v_bfe_u32 v4, v1, 16, 1
	v_add_u32_e32 v4, v1, v4
	v_add_u32_e32 v4, 0x7fff, v4
	v_lshrrev_b32_e32 v4, 16, v4
	v_mov_b32_e32 v5, 0x7fc0
	v_cmp_o_f32_e32 vcc, v1, v1
	v_cndmask_b32_e32 v1, v5, v4, vcc
	global_store_dword v[2:3], v1, off
	s_mov_b64 s[10:11], 0
	s_mov_b64 s[14:15], -1
	s_branch .LBB47_795
.LBB47_779:
	s_mov_b64 s[14:15], 0
	s_cbranch_execnz .LBB47_911
.LBB47_780:
	s_andn2_b64 vcc, exec, s[14:15]
	s_cbranch_vccnz .LBB47_949
.LBB47_781:
	v_mov_b32_e32 v1, s1
	v_add_co_u32_e32 v0, vcc, s0, v0
	v_addc_co_u32_e32 v1, vcc, 0, v1, vcc
	s_and_b64 vcc, exec, s[8:9]
	s_cbranch_vccnz .LBB47_789
; %bb.782:
	v_cmp_gt_i16_e64 s[0:1], s18, 25
	s_mov_b64 s[10:11], -1
	s_mov_b64 s[8:9], 0
	s_and_b64 vcc, exec, s[0:1]
	s_mov_b64 s[0:1], 0
	s_cbranch_vccz .LBB47_861
; %bb.783:
	v_cmp_gt_i16_e64 s[0:1], s18, 28
	s_and_b64 vcc, exec, s[0:1]
	s_cbranch_vccz .LBB47_792
; %bb.784:
	v_cmp_gt_i16_e64 s[0:1], s18, 43
	s_and_b64 vcc, exec, s[0:1]
	;; [unrolled: 4-line block ×3, first 2 shown]
	s_cbranch_vccz .LBB47_817
; %bb.786:
	v_cmp_eq_u16_e64 s[10:11], s18, 46
	s_mov_b64 s[0:1], -1
	s_and_b64 vcc, exec, s[10:11]
	s_cbranch_vccz .LBB47_788
; %bb.787:
	v_cvt_f32_f64_e32 v2, s[2:3]
	v_bfe_u32 v3, v2, 16, 1
	v_add_u32_e32 v3, v2, v3
	v_add_u32_e32 v3, 0x7fff, v3
	v_lshrrev_b32_e32 v3, 16, v3
	v_mov_b32_e32 v4, 0x7fc0
	v_cmp_o_f32_e32 vcc, v2, v2
	v_cndmask_b32_e32 v2, v4, v3, vcc
	global_store_dword v[0:1], v2, off
	s_mov_b64 s[0:1], 0
.LBB47_788:
	s_mov_b64 s[10:11], 0
	s_branch .LBB47_818
.LBB47_789:
	s_mov_b64 s[8:9], 0
	s_mov_b64 s[0:1], -1
	s_branch .LBB47_950
.LBB47_790:
	s_mov_b64 s[10:11], 0
	s_branch .LBB47_805
.LBB47_791:
	s_mov_b64 s[10:11], 0
	s_branch .LBB47_801
.LBB47_792:
	s_mov_b64 s[0:1], 0
	s_branch .LBB47_828
.LBB47_793:
	s_trap 2
	s_or_b64 s[4:5], s[4:5], exec
	s_cbranch_execz .LBB47_732
	s_branch .LBB47_733
.LBB47_794:
	s_mov_b64 s[10:11], 0
.LBB47_795:
	s_and_b64 vcc, exec, s[16:17]
	s_cbranch_vccz .LBB47_800
; %bb.796:
	v_cmp_eq_u16_e64 s[16:17], s18, 44
	s_mov_b64 s[10:11], -1
	s_and_b64 vcc, exec, s[16:17]
	s_cbranch_vccz .LBB47_800
; %bb.797:
	v_cvt_f32_f64_e32 v1, s[2:3]
	v_readfirstlane_b32 s10, v1
	s_bfe_u32 s11, s10, 0x80017
	s_cmpk_eq_i32 s11, 0xff
	v_mov_b32_e32 v4, 0xff
	s_cbranch_scc1 .LBB47_799
; %bb.798:
	s_bitcmp1_b32 s10, 22
	s_cselect_b64 s[14:15], -1, 0
	s_and_b32 s10, s10, 0x3fffff
	s_or_b32 s10, s11, s10
	s_cmp_lg_u32 s10, 0
	s_cselect_b64 s[10:11], -1, 0
	s_and_b64 s[10:11], s[14:15], s[10:11]
	v_lshrrev_b32_e32 v1, 23, v1
	v_cndmask_b32_e64 v4, 0, 1, s[10:11]
	v_add_u32_e32 v4, v1, v4
.LBB47_799:
	s_mov_b64 s[10:11], 0
	s_mov_b64 s[14:15], -1
	global_store_byte v[2:3], v4, off
.LBB47_800:
	s_mov_b64 s[16:17], 0
.LBB47_801:
	s_and_b64 vcc, exec, s[16:17]
	s_cbranch_vccz .LBB47_804
; %bb.802:
	v_cmp_eq_u16_e64 s[16:17], s18, 29
	s_mov_b64 s[10:11], -1
	s_and_b64 vcc, exec, s[16:17]
	s_cbranch_vccz .LBB47_804
; %bb.803:
	v_trunc_f64_e32 v[4:5], s[2:3]
	s_movk_i32 s10, 0xffe0
	v_ldexp_f64 v[6:7], v[4:5], s10
	v_floor_f64_e32 v[6:7], v[6:7]
	v_fmac_f64_e32 v[4:5], 0xc1f00000, v[6:7]
	v_cvt_u32_f64_e32 v9, v[6:7]
	v_cvt_u32_f64_e32 v8, v[4:5]
	global_store_dwordx2 v[2:3], v[8:9], off
	s_mov_b64 s[10:11], 0
	s_mov_b64 s[14:15], -1
.LBB47_804:
	s_mov_b64 s[16:17], 0
.LBB47_805:
	s_and_b64 vcc, exec, s[16:17]
	s_cbranch_vccz .LBB47_846
; %bb.806:
	v_cmp_lt_i16_e64 s[16:17], s18, 27
	s_mov_b64 s[14:15], -1
	s_and_b64 vcc, exec, s[16:17]
	s_cbranch_vccnz .LBB47_812
; %bb.807:
	v_cmp_gt_i16_e64 s[16:17], s18, 27
	s_and_b64 vcc, exec, s[16:17]
	s_cbranch_vccz .LBB47_809
; %bb.808:
	v_cvt_u32_f64_e32 v1, s[2:3]
	s_mov_b64 s[14:15], 0
	global_store_dword v[2:3], v1, off
.LBB47_809:
	s_andn2_b64 vcc, exec, s[14:15]
	s_cbranch_vccnz .LBB47_811
; %bb.810:
	v_cvt_u32_f64_e32 v1, s[2:3]
	global_store_short v[2:3], v1, off
.LBB47_811:
	s_mov_b64 s[14:15], 0
.LBB47_812:
	s_andn2_b64 vcc, exec, s[14:15]
	s_cbranch_vccnz .LBB47_845
; %bb.813:
	v_cvt_f32_f64_e32 v1, s[2:3]
	v_readfirstlane_b32 s19, v1
	s_and_b32 s14, s19, 0x7fffffff
	s_cmp_gt_u32 s14, 0x437fffff
	v_mov_b32_e32 v4, 0x80
	s_cbranch_scc1 .LBB47_844
; %bb.814:
	s_cmp_gt_u32 s14, 0x3bffffff
	s_cbranch_scc0 .LBB47_839
; %bb.815:
	s_bfe_u32 s14, s19, 0x10014
	s_add_i32 s14, s19, s14
	s_add_i32 s14, s14, 0x487ffff
	s_lshr_b32 s20, s14, 20
	s_mov_b64 s[16:17], 0
	s_mov_b64 s[14:15], -1
	s_branch .LBB47_840
.LBB47_816:
	s_mov_b64 s[0:1], 0
	s_branch .LBB47_824
.LBB47_817:
	s_mov_b64 s[0:1], 0
.LBB47_818:
	s_and_b64 vcc, exec, s[10:11]
	s_cbranch_vccz .LBB47_823
; %bb.819:
	v_cmp_eq_u16_e64 s[10:11], s18, 44
	s_mov_b64 s[0:1], -1
	s_and_b64 vcc, exec, s[10:11]
	s_cbranch_vccz .LBB47_823
; %bb.820:
	v_cvt_f32_f64_e32 v2, s[2:3]
	v_readfirstlane_b32 s0, v2
	s_bfe_u32 s1, s0, 0x80017
	s_cmpk_eq_i32 s1, 0xff
	v_mov_b32_e32 v3, 0xff
	s_cbranch_scc1 .LBB47_822
; %bb.821:
	s_bitcmp1_b32 s0, 22
	s_cselect_b64 s[10:11], -1, 0
	s_and_b32 s0, s0, 0x3fffff
	s_or_b32 s0, s1, s0
	s_cmp_lg_u32 s0, 0
	s_cselect_b64 s[0:1], -1, 0
	s_and_b64 s[0:1], s[10:11], s[0:1]
	v_lshrrev_b32_e32 v2, 23, v2
	v_cndmask_b32_e64 v3, 0, 1, s[0:1]
	v_add_u32_e32 v3, v2, v3
.LBB47_822:
	s_mov_b64 s[0:1], 0
	global_store_byte v[0:1], v3, off
.LBB47_823:
	s_mov_b64 s[10:11], 0
.LBB47_824:
	s_and_b64 vcc, exec, s[10:11]
	s_cbranch_vccz .LBB47_827
; %bb.825:
	v_cmp_eq_u16_e64 s[10:11], s18, 29
	s_mov_b64 s[0:1], -1
	s_and_b64 vcc, exec, s[10:11]
	s_cbranch_vccz .LBB47_827
; %bb.826:
	v_trunc_f64_e32 v[2:3], s[2:3]
	s_movk_i32 s0, 0xffe0
	v_ldexp_f64 v[4:5], v[2:3], s0
	v_floor_f64_e32 v[4:5], v[4:5]
	v_fmac_f64_e32 v[2:3], 0xc1f00000, v[4:5]
	v_cvt_u32_f64_e32 v7, v[4:5]
	v_cvt_u32_f64_e32 v6, v[2:3]
	global_store_dwordx2 v[0:1], v[6:7], off
	s_mov_b64 s[0:1], 0
.LBB47_827:
	s_mov_b64 s[10:11], 0
.LBB47_828:
	s_and_b64 vcc, exec, s[10:11]
	s_cbranch_vccz .LBB47_860
; %bb.829:
	v_cmp_lt_i16_e64 s[12:13], s18, 27
	s_mov_b64 s[10:11], -1
	s_and_b64 vcc, exec, s[12:13]
	s_cbranch_vccnz .LBB47_835
; %bb.830:
	v_cmp_gt_i16_e64 s[12:13], s18, 27
	s_and_b64 vcc, exec, s[12:13]
	v_cvt_u32_f64_e32 v2, s[2:3]
	s_cbranch_vccz .LBB47_832
; %bb.831:
	global_store_dword v[0:1], v2, off
	s_mov_b64 s[10:11], 0
.LBB47_832:
	s_andn2_b64 vcc, exec, s[10:11]
	s_cbranch_vccnz .LBB47_834
; %bb.833:
	global_store_short v[0:1], v2, off
.LBB47_834:
	s_mov_b64 s[10:11], 0
.LBB47_835:
	s_andn2_b64 vcc, exec, s[10:11]
	s_cbranch_vccnz .LBB47_860
; %bb.836:
	v_cvt_f32_f64_e32 v2, s[2:3]
	v_readfirstlane_b32 s14, v2
	s_and_b32 s10, s14, 0x7fffffff
	s_cmp_gt_u32 s10, 0x437fffff
	v_mov_b32_e32 v3, 0x80
	s_cbranch_scc1 .LBB47_859
; %bb.837:
	s_cmp_gt_u32 s10, 0x3bffffff
	s_cbranch_scc0 .LBB47_854
; %bb.838:
	s_bfe_u32 s10, s14, 0x10014
	s_add_i32 s10, s14, s10
	s_add_i32 s10, s10, 0x487ffff
	s_lshr_b32 s15, s10, 20
	s_mov_b64 s[12:13], 0
	s_mov_b64 s[10:11], -1
	s_branch .LBB47_855
.LBB47_839:
	s_mov_b64 s[16:17], -1
	s_mov_b64 s[14:15], 0
                                        ; implicit-def: $sgpr20
.LBB47_840:
	s_andn2_b64 vcc, exec, s[16:17]
	v_mov_b32_e32 v1, s20
                                        ; implicit-def: $sgpr16
	s_cbranch_vccnz .LBB47_842
; %bb.841:
	v_mov_b32_e32 v1, 0x46000000
	v_add_f32_e64 v1, |s19|, v1
	v_and_b32_e32 v1, 0xff, v1
	s_mov_b32 s16, 0
	v_cmp_ne_u32_e64 s[14:15], 0, v1
.LBB47_842:
	s_andn2_b64 vcc, exec, s[14:15]
	v_mov_b32_e32 v4, s16
	s_cbranch_vccnz .LBB47_844
; %bb.843:
	s_lshr_b32 s14, s19, 24
	s_and_b32 s14, s14, 0x80
	v_or_b32_e32 v4, s14, v1
.LBB47_844:
	global_store_byte v[2:3], v4, off
.LBB47_845:
	s_mov_b64 s[14:15], -1
.LBB47_846:
	s_mov_b64 s[16:17], 0
.LBB47_847:
	s_and_b64 vcc, exec, s[16:17]
	s_cbranch_vccz .LBB47_907
; %bb.848:
	v_cmp_gt_i16_e64 s[16:17], s18, 22
	s_mov_b64 s[12:13], -1
	s_and_b64 vcc, exec, s[16:17]
	s_cbranch_vccz .LBB47_900
; %bb.849:
	v_cmp_lt_i16_e64 s[14:15], s18, 24
	s_and_b64 vcc, exec, s[14:15]
	s_cbranch_vccnz .LBB47_887
; %bb.850:
	v_cmp_gt_i16_e64 s[14:15], s18, 24
	s_and_b64 vcc, exec, s[14:15]
	s_cbranch_vccz .LBB47_874
; %bb.851:
	v_cvt_f32_f64_e32 v1, s[2:3]
	v_readfirstlane_b32 s16, v1
	s_and_b32 s12, s16, 0x7fffffff
	s_cmp_gt_u32 s12, 0x477fffff
	v_mov_b32_e32 v4, 0x80
	s_cbranch_scc1 .LBB47_873
; %bb.852:
	s_cmp_gt_u32 s12, 0x37ffffff
	s_cbranch_scc0 .LBB47_868
; %bb.853:
	s_bfe_u32 s12, s16, 0x10015
	s_add_i32 s12, s16, s12
	s_add_i32 s12, s12, 0x88fffff
	s_lshr_b32 s17, s12, 21
	s_mov_b64 s[14:15], 0
	s_mov_b64 s[12:13], -1
	s_branch .LBB47_869
.LBB47_854:
	s_mov_b64 s[12:13], -1
	s_mov_b64 s[10:11], 0
                                        ; implicit-def: $sgpr15
.LBB47_855:
	s_andn2_b64 vcc, exec, s[12:13]
	v_mov_b32_e32 v2, s15
                                        ; implicit-def: $sgpr12
	s_cbranch_vccnz .LBB47_857
; %bb.856:
	v_mov_b32_e32 v2, 0x46000000
	v_add_f32_e64 v2, |s14|, v2
	v_and_b32_e32 v2, 0xff, v2
	s_mov_b32 s12, 0
	v_cmp_ne_u32_e64 s[10:11], 0, v2
.LBB47_857:
	s_andn2_b64 vcc, exec, s[10:11]
	v_mov_b32_e32 v3, s12
	s_cbranch_vccnz .LBB47_859
; %bb.858:
	s_lshr_b32 s10, s14, 24
	s_and_b32 s10, s10, 0x80
	v_or_b32_e32 v3, s10, v2
.LBB47_859:
	global_store_byte v[0:1], v3, off
.LBB47_860:
	s_mov_b64 s[10:11], 0
.LBB47_861:
	s_and_b64 vcc, exec, s[10:11]
	s_cbranch_vccz .LBB47_1034
; %bb.862:
	v_cmp_gt_i16_e64 s[10:11], s18, 22
	s_mov_b64 s[8:9], -1
	s_and_b64 vcc, exec, s[10:11]
	s_cbranch_vccz .LBB47_1027
; %bb.863:
	v_cmp_lt_i16_e64 s[10:11], s18, 24
	s_and_b64 vcc, exec, s[10:11]
	s_cbranch_vccnz .LBB47_1014
; %bb.864:
	v_cmp_gt_i16_e64 s[10:11], s18, 24
	s_and_b64 vcc, exec, s[10:11]
	s_cbranch_vccz .LBB47_1001
; %bb.865:
	v_cvt_f32_f64_e32 v2, s[2:3]
	v_readfirstlane_b32 s12, v2
	s_and_b32 s8, s12, 0x7fffffff
	s_cmp_gt_u32 s8, 0x477fffff
	v_mov_b32_e32 v3, 0x80
	s_cbranch_scc1 .LBB47_1000
; %bb.866:
	s_cmp_gt_u32 s8, 0x37ffffff
	s_cbranch_scc0 .LBB47_995
; %bb.867:
	s_bfe_u32 s8, s12, 0x10015
	s_add_i32 s8, s12, s8
	s_add_i32 s8, s8, 0x88fffff
	s_lshr_b32 s13, s8, 21
	s_mov_b64 s[10:11], 0
	s_mov_b64 s[8:9], -1
	s_branch .LBB47_996
.LBB47_868:
	s_mov_b64 s[14:15], -1
	s_mov_b64 s[12:13], 0
                                        ; implicit-def: $sgpr17
.LBB47_869:
	s_andn2_b64 vcc, exec, s[14:15]
	v_mov_b32_e32 v1, s17
                                        ; implicit-def: $sgpr14
	s_cbranch_vccnz .LBB47_871
; %bb.870:
	v_mov_b32_e32 v1, 0x42800000
	v_add_f32_e64 v1, |s16|, v1
	v_and_b32_e32 v1, 0xff, v1
	s_mov_b32 s14, 0
	v_cmp_ne_u32_e64 s[12:13], 0, v1
.LBB47_871:
	s_andn2_b64 vcc, exec, s[12:13]
	v_mov_b32_e32 v4, s14
	s_cbranch_vccnz .LBB47_873
; %bb.872:
	s_lshr_b32 s12, s16, 24
	s_and_b32 s12, s12, 0x80
	v_or_b32_e32 v4, s12, v1
.LBB47_873:
	s_mov_b64 s[12:13], 0
	global_store_byte v[2:3], v4, off
.LBB47_874:
	s_and_b64 vcc, exec, s[12:13]
	s_cbranch_vccz .LBB47_886
; %bb.875:
	v_cvt_f32_f64_e32 v1, s[2:3]
	v_readfirstlane_b32 s14, v1
	s_and_b32 s15, s14, 0x7fffffff
	s_cmp_lt_u32 s15, 0x43f00000
	s_cbranch_scc0 .LBB47_878
; %bb.876:
	s_cmp_gt_u32 s15, 0x3c7fffff
	s_cbranch_scc0 .LBB47_879
; %bb.877:
	s_bfe_u32 s12, s14, 0x10014
	s_add_i32 s12, s14, s12
	s_add_i32 s12, s12, 0x407ffff
	s_lshr_b32 s13, s12, 20
	s_and_b32 s12, s12, 0xff00000
	s_cmp_lg_u32 s12, 0x7f00000
	s_cselect_b32 s16, s13, 0x7e
	s_mov_b64 s[12:13], 0
	s_branch .LBB47_880
.LBB47_878:
	s_mov_b64 s[12:13], -1
                                        ; implicit-def: $vgpr4
	s_branch .LBB47_883
.LBB47_879:
	s_mov_b64 s[12:13], -1
                                        ; implicit-def: $sgpr16
.LBB47_880:
	s_andn2_b64 vcc, exec, s[12:13]
	v_mov_b32_e32 v4, s16
	s_cbranch_vccnz .LBB47_882
; %bb.881:
	s_mov_b32 s12, 0x46800000
	v_add_f32_e64 v4, |v1|, s12
.LBB47_882:
	s_mov_b64 s[12:13], 0
.LBB47_883:
	s_andn2_b64 vcc, exec, s[12:13]
	s_cbranch_vccnz .LBB47_885
; %bb.884:
	s_cmp_gt_u32 s15, 0x7f800000
	s_movk_i32 s12, 0x7f
	s_cselect_b32 s12, s12, 0x7e
	v_mov_b32_e32 v4, s12
.LBB47_885:
	s_lshr_b32 s12, s14, 24
	s_and_b32 s12, s12, 0x80
	v_or_b32_e32 v1, s12, v4
	global_store_byte v[2:3], v1, off
.LBB47_886:
	s_mov_b64 s[12:13], 0
.LBB47_887:
	s_andn2_b64 vcc, exec, s[12:13]
	s_cbranch_vccnz .LBB47_899
; %bb.888:
	v_cvt_f32_f64_e32 v1, s[2:3]
	v_readfirstlane_b32 s14, v1
	s_and_b32 s15, s14, 0x7fffffff
	s_cmp_lt_u32 s15, 0x47800000
	s_cbranch_scc0 .LBB47_891
; %bb.889:
	s_cmp_gt_u32 s15, 0x387fffff
	s_cbranch_scc0 .LBB47_892
; %bb.890:
	s_bfe_u32 s12, s14, 0x10015
	s_add_i32 s12, s14, s12
	s_add_i32 s12, s12, 0x80fffff
	s_lshr_b32 s16, s12, 21
	s_mov_b64 s[12:13], 0
	s_branch .LBB47_893
.LBB47_891:
	s_mov_b64 s[12:13], -1
                                        ; implicit-def: $vgpr4
	s_branch .LBB47_896
.LBB47_892:
	s_mov_b64 s[12:13], -1
                                        ; implicit-def: $sgpr16
.LBB47_893:
	s_andn2_b64 vcc, exec, s[12:13]
	v_mov_b32_e32 v4, s16
	s_cbranch_vccnz .LBB47_895
; %bb.894:
	s_mov_b32 s12, 0x43000000
	v_add_f32_e64 v4, |v1|, s12
.LBB47_895:
	s_mov_b64 s[12:13], 0
.LBB47_896:
	s_andn2_b64 vcc, exec, s[12:13]
	s_cbranch_vccnz .LBB47_898
; %bb.897:
	s_cmp_gt_u32 s15, 0x7f800000
	s_movk_i32 s12, 0x7f
	s_cselect_b32 s12, s12, 0x7c
	v_mov_b32_e32 v4, s12
.LBB47_898:
	s_lshr_b32 s12, s14, 24
	s_and_b32 s12, s12, 0x80
	v_or_b32_e32 v1, s12, v4
	global_store_byte v[2:3], v1, off
.LBB47_899:
	s_mov_b64 s[12:13], 0
	s_mov_b64 s[14:15], -1
.LBB47_900:
	s_andn2_b64 vcc, exec, s[12:13]
	s_mov_b64 s[12:13], 0
	s_cbranch_vccnz .LBB47_907
; %bb.901:
	v_cmp_gt_i16_e64 s[12:13], s18, 14
	s_mov_b64 s[16:17], -1
	s_and_b64 vcc, exec, s[12:13]
	s_cbranch_vccz .LBB47_905
; %bb.902:
	v_cmp_eq_u16_e64 s[12:13], s18, 15
	s_mov_b64 s[10:11], -1
	s_and_b64 vcc, exec, s[12:13]
	s_cbranch_vccz .LBB47_904
; %bb.903:
	v_cvt_f32_f64_e32 v1, s[2:3]
	v_bfe_u32 v4, v1, 16, 1
	v_add_u32_e32 v4, v1, v4
	v_add_u32_e32 v4, 0x7fff, v4
	v_lshrrev_b32_e32 v4, 16, v4
	v_mov_b32_e32 v5, 0x7fc0
	v_cmp_o_f32_e32 vcc, v1, v1
	v_cndmask_b32_e32 v1, v5, v4, vcc
	global_store_short v[2:3], v1, off
	s_mov_b64 s[10:11], 0
	s_mov_b64 s[14:15], -1
.LBB47_904:
	s_mov_b64 s[16:17], 0
.LBB47_905:
	s_mov_b64 s[12:13], 0
	s_and_b64 vcc, exec, s[16:17]
	s_cbranch_vccz .LBB47_907
; %bb.906:
	v_cmp_ne_u16_e64 s[10:11], s18, 11
	s_mov_b64 s[12:13], -1
.LBB47_907:
	s_and_b64 vcc, exec, s[10:11]
	s_cbranch_vccnz .LBB47_994
; %bb.908:
	s_andn2_b64 vcc, exec, s[12:13]
	s_cbranch_vccnz .LBB47_910
.LBB47_909:
	v_cmp_neq_f64_e64 s[10:11], s[2:3], 0
	v_cndmask_b32_e64 v1, 0, 1, s[10:11]
	s_mov_b64 s[14:15], -1
	global_store_byte v[2:3], v1, off
.LBB47_910:
	s_branch .LBB47_780
.LBB47_911:
	v_cmp_lt_i16_e64 s[12:13], s18, 5
	s_mov_b64 s[10:11], -1
	s_and_b64 vcc, exec, s[12:13]
	s_cbranch_vccnz .LBB47_932
; %bb.912:
	v_cmp_lt_i16_e64 s[12:13], s18, 8
	s_and_b64 vcc, exec, s[12:13]
	s_cbranch_vccnz .LBB47_922
; %bb.913:
	v_cmp_lt_i16_e64 s[12:13], s18, 9
	s_and_b64 vcc, exec, s[12:13]
	s_cbranch_vccnz .LBB47_919
; %bb.914:
	v_cmp_gt_i16_e64 s[12:13], s18, 9
	s_and_b64 vcc, exec, s[12:13]
	s_cbranch_vccz .LBB47_916
; %bb.915:
	v_mov_b32_e32 v6, 0
	v_mov_b32_e32 v4, s2
	;; [unrolled: 1-line block ×4, first 2 shown]
	global_store_dwordx4 v[2:3], v[4:7], off
	s_mov_b64 s[10:11], 0
.LBB47_916:
	s_andn2_b64 vcc, exec, s[10:11]
	s_cbranch_vccnz .LBB47_918
; %bb.917:
	v_cvt_f32_f64_e32 v4, s[2:3]
	v_mov_b32_e32 v5, 0
	global_store_dwordx2 v[2:3], v[4:5], off
.LBB47_918:
	s_mov_b64 s[10:11], 0
.LBB47_919:
	s_andn2_b64 vcc, exec, s[10:11]
	s_cbranch_vccnz .LBB47_921
; %bb.920:
	v_cvt_f32_f64_e32 v1, s[2:3]
	v_cvt_f16_f32_e32 v1, v1
	global_store_dword v[2:3], v1, off
.LBB47_921:
	s_mov_b64 s[10:11], 0
.LBB47_922:
	s_andn2_b64 vcc, exec, s[10:11]
	s_cbranch_vccnz .LBB47_931
; %bb.923:
	v_cmp_lt_i16_e64 s[12:13], s18, 6
	s_mov_b64 s[10:11], -1
	s_and_b64 vcc, exec, s[12:13]
	s_cbranch_vccnz .LBB47_929
; %bb.924:
	v_cmp_gt_i16_e64 s[12:13], s18, 6
	s_and_b64 vcc, exec, s[12:13]
	s_cbranch_vccz .LBB47_926
; %bb.925:
	v_pk_mov_b32 v[4:5], s[2:3], s[2:3] op_sel:[0,1]
	global_store_dwordx2 v[2:3], v[4:5], off
	s_mov_b64 s[10:11], 0
.LBB47_926:
	s_andn2_b64 vcc, exec, s[10:11]
	s_cbranch_vccnz .LBB47_928
; %bb.927:
	v_cvt_f32_f64_e32 v1, s[2:3]
	global_store_dword v[2:3], v1, off
.LBB47_928:
	s_mov_b64 s[10:11], 0
.LBB47_929:
	s_andn2_b64 vcc, exec, s[10:11]
	s_cbranch_vccnz .LBB47_931
; %bb.930:
	v_cvt_f32_f64_e32 v1, s[2:3]
	v_cvt_f16_f32_e32 v1, v1
	global_store_short v[2:3], v1, off
.LBB47_931:
	s_mov_b64 s[10:11], 0
.LBB47_932:
	s_andn2_b64 vcc, exec, s[10:11]
	s_cbranch_vccnz .LBB47_948
; %bb.933:
	v_cmp_lt_i16_e64 s[12:13], s18, 2
	s_mov_b64 s[10:11], -1
	s_and_b64 vcc, exec, s[12:13]
	s_cbranch_vccnz .LBB47_943
; %bb.934:
	v_cmp_lt_i16_e64 s[12:13], s18, 3
	s_and_b64 vcc, exec, s[12:13]
	s_cbranch_vccnz .LBB47_940
; %bb.935:
	v_cmp_gt_i16_e64 s[12:13], s18, 3
	s_and_b64 vcc, exec, s[12:13]
	s_cbranch_vccz .LBB47_937
; %bb.936:
	v_trunc_f64_e32 v[4:5], s[2:3]
	s_movk_i32 s10, 0xffe0
	v_ldexp_f64 v[6:7], v[4:5], s10
	v_floor_f64_e32 v[6:7], v[6:7]
	v_fmac_f64_e32 v[4:5], 0xc1f00000, v[6:7]
	v_cvt_i32_f64_e32 v9, v[6:7]
	v_cvt_u32_f64_e32 v8, v[4:5]
	global_store_dwordx2 v[2:3], v[8:9], off
	s_mov_b64 s[10:11], 0
.LBB47_937:
	s_andn2_b64 vcc, exec, s[10:11]
	s_cbranch_vccnz .LBB47_939
; %bb.938:
	v_cvt_i32_f64_e32 v1, s[2:3]
	global_store_dword v[2:3], v1, off
.LBB47_939:
	s_mov_b64 s[10:11], 0
.LBB47_940:
	s_andn2_b64 vcc, exec, s[10:11]
	s_cbranch_vccnz .LBB47_942
; %bb.941:
	v_cvt_i32_f64_e32 v1, s[2:3]
	global_store_short v[2:3], v1, off
.LBB47_942:
	s_mov_b64 s[10:11], 0
.LBB47_943:
	s_andn2_b64 vcc, exec, s[10:11]
	s_cbranch_vccnz .LBB47_948
; %bb.944:
	v_cmp_gt_i16_e64 s[12:13], s18, 0
	s_mov_b64 s[10:11], -1
	s_and_b64 vcc, exec, s[12:13]
	s_cbranch_vccz .LBB47_946
; %bb.945:
	v_cvt_i32_f64_e32 v1, s[2:3]
	global_store_byte v[2:3], v1, off
	s_mov_b64 s[10:11], 0
.LBB47_946:
	s_andn2_b64 vcc, exec, s[10:11]
	s_cbranch_vccnz .LBB47_948
; %bb.947:
	v_trunc_f64_e32 v[4:5], s[2:3]
	s_movk_i32 s10, 0xffe0
	v_ldexp_f64 v[6:7], v[4:5], s10
	v_floor_f64_e32 v[6:7], v[6:7]
	v_fmac_f64_e32 v[4:5], 0xc1f00000, v[6:7]
	v_cvt_u32_f64_e32 v1, v[4:5]
	global_store_byte v[2:3], v1, off
.LBB47_948:
	s_branch .LBB47_781
.LBB47_949:
	s_mov_b64 s[0:1], 0
	s_mov_b64 s[8:9], 0
                                        ; implicit-def: $sgpr18
                                        ; implicit-def: $vgpr0_vgpr1
.LBB47_950:
	s_andn2_b64 s[6:7], s[6:7], exec
	s_and_b64 s[4:5], s[4:5], exec
	s_and_b64 s[0:1], s[0:1], exec
	;; [unrolled: 1-line block ×3, first 2 shown]
	s_or_b64 s[6:7], s[6:7], s[4:5]
.LBB47_951:
	s_or_b64 exec, exec, s[24:25]
	s_and_saveexec_b64 s[4:5], s[6:7]
	s_cbranch_execz .LBB47_954
; %bb.952:
	; divergent unreachable
	s_or_b64 exec, exec, s[4:5]
	s_and_saveexec_b64 s[4:5], s[34:35]
	s_xor_b64 s[4:5], exec, s[4:5]
	s_cbranch_execnz .LBB47_955
.LBB47_953:
	s_or_b64 exec, exec, s[4:5]
	s_and_saveexec_b64 s[4:5], s[0:1]
	s_cbranch_execnz .LBB47_956
	s_branch .LBB47_993
.LBB47_954:
	s_or_b64 exec, exec, s[4:5]
	s_and_saveexec_b64 s[4:5], s[34:35]
	s_xor_b64 s[4:5], exec, s[4:5]
	s_cbranch_execz .LBB47_953
.LBB47_955:
	v_cmp_neq_f64_e64 s[6:7], s[2:3], 0
	v_cndmask_b32_e64 v2, 0, 1, s[6:7]
	global_store_byte v[0:1], v2, off
	s_or_b64 exec, exec, s[4:5]
	s_and_saveexec_b64 s[4:5], s[0:1]
	s_cbranch_execz .LBB47_993
.LBB47_956:
	v_cmp_lt_i16_e64 s[4:5], s18, 5
	s_mov_b64 s[0:1], -1
	s_and_b64 vcc, exec, s[4:5]
	s_cbranch_vccnz .LBB47_977
; %bb.957:
	v_cmp_lt_i16_e64 s[4:5], s18, 8
	s_and_b64 vcc, exec, s[4:5]
	s_cbranch_vccnz .LBB47_967
; %bb.958:
	v_cmp_lt_i16_e64 s[4:5], s18, 9
	s_and_b64 vcc, exec, s[4:5]
	s_cbranch_vccnz .LBB47_964
; %bb.959:
	v_cmp_gt_i16_e64 s[4:5], s18, 9
	s_and_b64 vcc, exec, s[4:5]
	s_cbranch_vccz .LBB47_961
; %bb.960:
	v_mov_b32_e32 v4, 0
	v_mov_b32_e32 v2, s2
	;; [unrolled: 1-line block ×4, first 2 shown]
	global_store_dwordx4 v[0:1], v[2:5], off
	s_mov_b64 s[0:1], 0
.LBB47_961:
	s_andn2_b64 vcc, exec, s[0:1]
	s_cbranch_vccnz .LBB47_963
; %bb.962:
	v_cvt_f32_f64_e32 v2, s[2:3]
	v_mov_b32_e32 v3, 0
	global_store_dwordx2 v[0:1], v[2:3], off
.LBB47_963:
	s_mov_b64 s[0:1], 0
.LBB47_964:
	s_andn2_b64 vcc, exec, s[0:1]
	s_cbranch_vccnz .LBB47_966
; %bb.965:
	v_cvt_f32_f64_e32 v2, s[2:3]
	v_cvt_f16_f32_e32 v2, v2
	global_store_dword v[0:1], v2, off
.LBB47_966:
	s_mov_b64 s[0:1], 0
.LBB47_967:
	s_andn2_b64 vcc, exec, s[0:1]
	s_cbranch_vccnz .LBB47_976
; %bb.968:
	v_cmp_lt_i16_e64 s[4:5], s18, 6
	s_mov_b64 s[0:1], -1
	s_and_b64 vcc, exec, s[4:5]
	s_cbranch_vccnz .LBB47_974
; %bb.969:
	v_cmp_gt_i16_e64 s[4:5], s18, 6
	s_and_b64 vcc, exec, s[4:5]
	s_cbranch_vccz .LBB47_971
; %bb.970:
	v_pk_mov_b32 v[2:3], s[2:3], s[2:3] op_sel:[0,1]
	global_store_dwordx2 v[0:1], v[2:3], off
	s_mov_b64 s[0:1], 0
.LBB47_971:
	s_andn2_b64 vcc, exec, s[0:1]
	s_cbranch_vccnz .LBB47_973
; %bb.972:
	v_cvt_f32_f64_e32 v2, s[2:3]
	global_store_dword v[0:1], v2, off
.LBB47_973:
	s_mov_b64 s[0:1], 0
.LBB47_974:
	s_andn2_b64 vcc, exec, s[0:1]
	s_cbranch_vccnz .LBB47_976
; %bb.975:
	v_cvt_f32_f64_e32 v2, s[2:3]
	v_cvt_f16_f32_e32 v2, v2
	global_store_short v[0:1], v2, off
.LBB47_976:
	s_mov_b64 s[0:1], 0
.LBB47_977:
	s_andn2_b64 vcc, exec, s[0:1]
	s_cbranch_vccnz .LBB47_993
; %bb.978:
	v_cmp_lt_i16_e64 s[4:5], s18, 2
	s_mov_b64 s[0:1], -1
	s_and_b64 vcc, exec, s[4:5]
	s_cbranch_vccnz .LBB47_988
; %bb.979:
	v_cmp_lt_i16_e64 s[4:5], s18, 3
	s_and_b64 vcc, exec, s[4:5]
	s_cbranch_vccnz .LBB47_985
; %bb.980:
	v_cmp_gt_i16_e64 s[4:5], s18, 3
	s_and_b64 vcc, exec, s[4:5]
	s_cbranch_vccz .LBB47_982
; %bb.981:
	v_trunc_f64_e32 v[2:3], s[2:3]
	s_movk_i32 s0, 0xffe0
	v_ldexp_f64 v[4:5], v[2:3], s0
	v_floor_f64_e32 v[4:5], v[4:5]
	v_fmac_f64_e32 v[2:3], 0xc1f00000, v[4:5]
	v_cvt_i32_f64_e32 v7, v[4:5]
	v_cvt_u32_f64_e32 v6, v[2:3]
	global_store_dwordx2 v[0:1], v[6:7], off
	s_mov_b64 s[0:1], 0
.LBB47_982:
	s_andn2_b64 vcc, exec, s[0:1]
	s_cbranch_vccnz .LBB47_984
; %bb.983:
	v_cvt_i32_f64_e32 v2, s[2:3]
	global_store_dword v[0:1], v2, off
.LBB47_984:
	s_mov_b64 s[0:1], 0
.LBB47_985:
	s_andn2_b64 vcc, exec, s[0:1]
	s_cbranch_vccnz .LBB47_987
; %bb.986:
	v_cvt_i32_f64_e32 v2, s[2:3]
	global_store_short v[0:1], v2, off
.LBB47_987:
	s_mov_b64 s[0:1], 0
.LBB47_988:
	s_andn2_b64 vcc, exec, s[0:1]
	s_cbranch_vccnz .LBB47_993
; %bb.989:
	v_cmp_gt_i16_e64 s[4:5], s18, 0
	s_mov_b64 s[0:1], -1
	s_and_b64 vcc, exec, s[4:5]
	s_cbranch_vccz .LBB47_991
; %bb.990:
	v_cvt_i32_f64_e32 v2, s[2:3]
	global_store_byte v[0:1], v2, off
	s_mov_b64 s[0:1], 0
.LBB47_991:
	s_andn2_b64 vcc, exec, s[0:1]
	s_cbranch_vccnz .LBB47_993
; %bb.992:
	v_trunc_f64_e32 v[2:3], s[2:3]
	s_movk_i32 s0, 0xffe0
	v_ldexp_f64 v[4:5], v[2:3], s0
	v_floor_f64_e32 v[4:5], v[4:5]
	v_fmac_f64_e32 v[2:3], 0xc1f00000, v[4:5]
	v_cvt_u32_f64_e32 v2, v[2:3]
	global_store_byte v[0:1], v2, off
	s_endpgm
.LBB47_993:
	s_endpgm
.LBB47_994:
	s_trap 2
	s_or_b64 s[4:5], s[4:5], exec
	s_cbranch_execz .LBB47_909
	s_branch .LBB47_910
.LBB47_995:
	s_mov_b64 s[10:11], -1
	s_mov_b64 s[8:9], 0
                                        ; implicit-def: $sgpr13
.LBB47_996:
	s_andn2_b64 vcc, exec, s[10:11]
	v_mov_b32_e32 v2, s13
                                        ; implicit-def: $sgpr10
	s_cbranch_vccnz .LBB47_998
; %bb.997:
	v_mov_b32_e32 v2, 0x42800000
	v_add_f32_e64 v2, |s12|, v2
	v_and_b32_e32 v2, 0xff, v2
	s_mov_b32 s10, 0
	v_cmp_ne_u32_e64 s[8:9], 0, v2
.LBB47_998:
	s_andn2_b64 vcc, exec, s[8:9]
	v_mov_b32_e32 v3, s10
	s_cbranch_vccnz .LBB47_1000
; %bb.999:
	s_lshr_b32 s8, s12, 24
	s_and_b32 s8, s8, 0x80
	v_or_b32_e32 v3, s8, v2
.LBB47_1000:
	s_mov_b64 s[8:9], 0
	global_store_byte v[0:1], v3, off
.LBB47_1001:
	s_and_b64 vcc, exec, s[8:9]
	s_cbranch_vccz .LBB47_1013
; %bb.1002:
	v_cvt_f32_f64_e32 v2, s[2:3]
	v_readfirstlane_b32 s10, v2
	s_and_b32 s11, s10, 0x7fffffff
	s_cmp_lt_u32 s11, 0x43f00000
	s_cbranch_scc0 .LBB47_1005
; %bb.1003:
	s_cmp_gt_u32 s11, 0x3c7fffff
	s_cbranch_scc0 .LBB47_1006
; %bb.1004:
	s_bfe_u32 s8, s10, 0x10014
	s_add_i32 s8, s10, s8
	s_add_i32 s8, s8, 0x407ffff
	s_lshr_b32 s9, s8, 20
	s_and_b32 s8, s8, 0xff00000
	s_cmp_lg_u32 s8, 0x7f00000
	s_cselect_b32 s12, s9, 0x7e
	s_mov_b64 s[8:9], 0
	s_branch .LBB47_1007
.LBB47_1005:
	s_mov_b64 s[8:9], -1
                                        ; implicit-def: $vgpr3
	s_branch .LBB47_1010
.LBB47_1006:
	s_mov_b64 s[8:9], -1
                                        ; implicit-def: $sgpr12
.LBB47_1007:
	s_andn2_b64 vcc, exec, s[8:9]
	v_mov_b32_e32 v3, s12
	s_cbranch_vccnz .LBB47_1009
; %bb.1008:
	s_mov_b32 s8, 0x46800000
	v_add_f32_e64 v3, |v2|, s8
.LBB47_1009:
	s_mov_b64 s[8:9], 0
.LBB47_1010:
	s_andn2_b64 vcc, exec, s[8:9]
	s_cbranch_vccnz .LBB47_1012
; %bb.1011:
	s_cmp_gt_u32 s11, 0x7f800000
	s_movk_i32 s8, 0x7f
	s_cselect_b32 s8, s8, 0x7e
	v_mov_b32_e32 v3, s8
.LBB47_1012:
	s_lshr_b32 s8, s10, 24
	s_and_b32 s8, s8, 0x80
	v_or_b32_e32 v2, s8, v3
	global_store_byte v[0:1], v2, off
.LBB47_1013:
	s_mov_b64 s[8:9], 0
.LBB47_1014:
	s_andn2_b64 vcc, exec, s[8:9]
	s_cbranch_vccnz .LBB47_1026
; %bb.1015:
	v_cvt_f32_f64_e32 v2, s[2:3]
	v_readfirstlane_b32 s10, v2
	s_and_b32 s11, s10, 0x7fffffff
	s_cmp_lt_u32 s11, 0x47800000
	s_cbranch_scc0 .LBB47_1018
; %bb.1016:
	s_cmp_gt_u32 s11, 0x387fffff
	s_cbranch_scc0 .LBB47_1019
; %bb.1017:
	s_bfe_u32 s8, s10, 0x10015
	s_add_i32 s8, s10, s8
	s_add_i32 s8, s8, 0x80fffff
	s_lshr_b32 s12, s8, 21
	s_mov_b64 s[8:9], 0
	s_branch .LBB47_1020
.LBB47_1018:
	s_mov_b64 s[8:9], -1
                                        ; implicit-def: $vgpr3
	s_branch .LBB47_1023
.LBB47_1019:
	s_mov_b64 s[8:9], -1
                                        ; implicit-def: $sgpr12
.LBB47_1020:
	s_andn2_b64 vcc, exec, s[8:9]
	v_mov_b32_e32 v3, s12
	s_cbranch_vccnz .LBB47_1022
; %bb.1021:
	s_mov_b32 s8, 0x43000000
	v_add_f32_e64 v3, |v2|, s8
.LBB47_1022:
	s_mov_b64 s[8:9], 0
.LBB47_1023:
	s_andn2_b64 vcc, exec, s[8:9]
	s_cbranch_vccnz .LBB47_1025
; %bb.1024:
	s_cmp_gt_u32 s11, 0x7f800000
	s_movk_i32 s8, 0x7f
	s_cselect_b32 s8, s8, 0x7c
	v_mov_b32_e32 v3, s8
.LBB47_1025:
	s_lshr_b32 s8, s10, 24
	s_and_b32 s8, s8, 0x80
	v_or_b32_e32 v2, s8, v3
	global_store_byte v[0:1], v2, off
.LBB47_1026:
	s_mov_b64 s[8:9], 0
.LBB47_1027:
	s_andn2_b64 vcc, exec, s[8:9]
	s_mov_b64 s[8:9], 0
	s_cbranch_vccnz .LBB47_1034
; %bb.1028:
	v_cmp_gt_i16_e64 s[8:9], s18, 14
	s_mov_b64 s[10:11], -1
	s_and_b64 vcc, exec, s[8:9]
	s_cbranch_vccz .LBB47_1032
; %bb.1029:
	v_cmp_eq_u16_e64 s[8:9], s18, 15
	s_mov_b64 s[0:1], -1
	s_and_b64 vcc, exec, s[8:9]
	s_cbranch_vccz .LBB47_1031
; %bb.1030:
	v_cvt_f32_f64_e32 v2, s[2:3]
	v_bfe_u32 v3, v2, 16, 1
	v_add_u32_e32 v3, v2, v3
	v_add_u32_e32 v3, 0x7fff, v3
	v_lshrrev_b32_e32 v3, 16, v3
	v_mov_b32_e32 v4, 0x7fc0
	v_cmp_o_f32_e32 vcc, v2, v2
	v_cndmask_b32_e32 v2, v4, v3, vcc
	global_store_short v[0:1], v2, off
	s_mov_b64 s[0:1], 0
.LBB47_1031:
	s_mov_b64 s[10:11], 0
.LBB47_1032:
	s_mov_b64 s[8:9], 0
	s_and_b64 vcc, exec, s[10:11]
	s_cbranch_vccz .LBB47_1034
; %bb.1033:
	v_cmp_ne_u16_e64 s[0:1], s18, 11
	s_mov_b64 s[8:9], -1
.LBB47_1034:
	s_and_b64 vcc, exec, s[0:1]
	s_cbranch_vccnz .LBB47_1036
.LBB47_1035:
	s_mov_b64 s[0:1], 0
	s_branch .LBB47_950
.LBB47_1036:
	s_mov_b64 s[8:9], 0
	s_or_b64 s[4:5], s[4:5], exec
	s_trap 2
	s_branch .LBB47_1035
	.section	.rodata,"a",@progbits
	.p2align	6, 0x0
	.amdhsa_kernel _ZN2at6native32elementwise_kernel_manual_unrollILi128ELi4EZNS0_15gpu_kernel_implINS0_11FillFunctorIdEEEEvRNS_18TensorIteratorBaseERKT_EUlibE0_EEviT1_
		.amdhsa_group_segment_fixed_size 0
		.amdhsa_private_segment_fixed_size 0
		.amdhsa_kernarg_size 296
		.amdhsa_user_sgpr_count 6
		.amdhsa_user_sgpr_private_segment_buffer 1
		.amdhsa_user_sgpr_dispatch_ptr 0
		.amdhsa_user_sgpr_queue_ptr 0
		.amdhsa_user_sgpr_kernarg_segment_ptr 1
		.amdhsa_user_sgpr_dispatch_id 0
		.amdhsa_user_sgpr_flat_scratch_init 0
		.amdhsa_user_sgpr_kernarg_preload_length 0
		.amdhsa_user_sgpr_kernarg_preload_offset 0
		.amdhsa_user_sgpr_private_segment_size 0
		.amdhsa_uses_dynamic_stack 0
		.amdhsa_system_sgpr_private_segment_wavefront_offset 0
		.amdhsa_system_sgpr_workgroup_id_x 1
		.amdhsa_system_sgpr_workgroup_id_y 0
		.amdhsa_system_sgpr_workgroup_id_z 0
		.amdhsa_system_sgpr_workgroup_info 0
		.amdhsa_system_vgpr_workitem_id 0
		.amdhsa_next_free_vgpr 22
		.amdhsa_next_free_sgpr 95
		.amdhsa_accum_offset 24
		.amdhsa_reserve_vcc 1
		.amdhsa_reserve_flat_scratch 0
		.amdhsa_float_round_mode_32 0
		.amdhsa_float_round_mode_16_64 0
		.amdhsa_float_denorm_mode_32 3
		.amdhsa_float_denorm_mode_16_64 3
		.amdhsa_dx10_clamp 1
		.amdhsa_ieee_mode 1
		.amdhsa_fp16_overflow 0
		.amdhsa_tg_split 0
		.amdhsa_exception_fp_ieee_invalid_op 0
		.amdhsa_exception_fp_denorm_src 0
		.amdhsa_exception_fp_ieee_div_zero 0
		.amdhsa_exception_fp_ieee_overflow 0
		.amdhsa_exception_fp_ieee_underflow 0
		.amdhsa_exception_fp_ieee_inexact 0
		.amdhsa_exception_int_div_zero 0
	.end_amdhsa_kernel
	.section	.text._ZN2at6native32elementwise_kernel_manual_unrollILi128ELi4EZNS0_15gpu_kernel_implINS0_11FillFunctorIdEEEEvRNS_18TensorIteratorBaseERKT_EUlibE0_EEviT1_,"axG",@progbits,_ZN2at6native32elementwise_kernel_manual_unrollILi128ELi4EZNS0_15gpu_kernel_implINS0_11FillFunctorIdEEEEvRNS_18TensorIteratorBaseERKT_EUlibE0_EEviT1_,comdat
.Lfunc_end47:
	.size	_ZN2at6native32elementwise_kernel_manual_unrollILi128ELi4EZNS0_15gpu_kernel_implINS0_11FillFunctorIdEEEEvRNS_18TensorIteratorBaseERKT_EUlibE0_EEviT1_, .Lfunc_end47-_ZN2at6native32elementwise_kernel_manual_unrollILi128ELi4EZNS0_15gpu_kernel_implINS0_11FillFunctorIdEEEEvRNS_18TensorIteratorBaseERKT_EUlibE0_EEviT1_
                                        ; -- End function
	.section	.AMDGPU.csdata,"",@progbits
; Kernel info:
; codeLenInByte = 18956
; NumSgprs: 99
; NumVgprs: 22
; NumAgprs: 0
; TotalNumVgprs: 22
; ScratchSize: 0
; MemoryBound: 0
; FloatMode: 240
; IeeeMode: 1
; LDSByteSize: 0 bytes/workgroup (compile time only)
; SGPRBlocks: 12
; VGPRBlocks: 2
; NumSGPRsForWavesPerEU: 99
; NumVGPRsForWavesPerEU: 22
; AccumOffset: 24
; Occupancy: 8
; WaveLimiterHint : 1
; COMPUTE_PGM_RSRC2:SCRATCH_EN: 0
; COMPUTE_PGM_RSRC2:USER_SGPR: 6
; COMPUTE_PGM_RSRC2:TRAP_HANDLER: 0
; COMPUTE_PGM_RSRC2:TGID_X_EN: 1
; COMPUTE_PGM_RSRC2:TGID_Y_EN: 0
; COMPUTE_PGM_RSRC2:TGID_Z_EN: 0
; COMPUTE_PGM_RSRC2:TIDIG_COMP_CNT: 0
; COMPUTE_PGM_RSRC3_GFX90A:ACCUM_OFFSET: 5
; COMPUTE_PGM_RSRC3_GFX90A:TG_SPLIT: 0
	.section	.text._ZN2at6native29vectorized_elementwise_kernelILi16ENS0_11FillFunctorIfEESt5arrayIPcLm1EEEEviT0_T1_,"axG",@progbits,_ZN2at6native29vectorized_elementwise_kernelILi16ENS0_11FillFunctorIfEESt5arrayIPcLm1EEEEviT0_T1_,comdat
	.protected	_ZN2at6native29vectorized_elementwise_kernelILi16ENS0_11FillFunctorIfEESt5arrayIPcLm1EEEEviT0_T1_ ; -- Begin function _ZN2at6native29vectorized_elementwise_kernelILi16ENS0_11FillFunctorIfEESt5arrayIPcLm1EEEEviT0_T1_
	.globl	_ZN2at6native29vectorized_elementwise_kernelILi16ENS0_11FillFunctorIfEESt5arrayIPcLm1EEEEviT0_T1_
	.p2align	8
	.type	_ZN2at6native29vectorized_elementwise_kernelILi16ENS0_11FillFunctorIfEESt5arrayIPcLm1EEEEviT0_T1_,@function
_ZN2at6native29vectorized_elementwise_kernelILi16ENS0_11FillFunctorIfEESt5arrayIPcLm1EEEEviT0_T1_: ; @_ZN2at6native29vectorized_elementwise_kernelILi16ENS0_11FillFunctorIfEESt5arrayIPcLm1EEEEviT0_T1_
; %bb.0:
	s_load_dwordx4 s[0:3], s[4:5], 0x0
	s_lshl_b32 s4, s6, 10
	s_mov_b64 s[6:7], -1
	s_waitcnt lgkmcnt(0)
	s_sub_i32 s0, s0, s4
	s_cmpk_gt_i32 s0, 0x3ff
	s_cbranch_scc0 .LBB48_2
; %bb.1:
	s_ashr_i32 s5, s4, 31
	s_lshl_b64 s[6:7], s[4:5], 2
	s_add_u32 s6, s2, s6
	s_addc_u32 s7, s3, s7
	v_lshlrev_b32_e32 v1, 4, v0
	v_mov_b32_e32 v2, s1
	v_mov_b32_e32 v3, s1
	;; [unrolled: 1-line block ×4, first 2 shown]
	global_store_dwordx4 v1, v[2:5], s[6:7]
	s_mov_b64 s[6:7], 0
.LBB48_2:
	s_andn2_b64 vcc, exec, s[6:7]
	s_cbranch_vccnz .LBB48_8
; %bb.3:
	v_cmp_gt_i32_e32 vcc, s0, v0
	s_and_saveexec_b64 s[6:7], vcc
	s_cbranch_execnz .LBB48_9
; %bb.4:
	s_or_b64 exec, exec, s[6:7]
	v_cmp_gt_i32_e32 vcc, s0, v0
	s_and_saveexec_b64 s[6:7], vcc
	s_cbranch_execnz .LBB48_10
.LBB48_5:
	s_or_b64 exec, exec, s[6:7]
	v_cmp_gt_i32_e32 vcc, s0, v0
	s_and_saveexec_b64 s[6:7], vcc
	s_cbranch_execnz .LBB48_11
.LBB48_6:
	s_or_b64 exec, exec, s[6:7]
	v_cmp_gt_i32_e32 vcc, s0, v0
	s_and_saveexec_b64 s[6:7], vcc
	s_cbranch_execz .LBB48_8
.LBB48_7:
	v_add_u32_e32 v0, s4, v0
	v_mov_b32_e32 v1, 0
	v_lshlrev_b64 v[0:1], 2, v[0:1]
	v_mov_b32_e32 v3, s3
	v_add_co_u32_e32 v0, vcc, s2, v0
	v_mov_b32_e32 v2, s1
	v_addc_co_u32_e32 v1, vcc, v3, v1, vcc
	global_store_dword v[0:1], v2, off
.LBB48_8:
	s_endpgm
.LBB48_9:
	v_or_b32_e32 v2, 0x100, v0
	v_or_b32_e32 v0, s4, v0
	v_mov_b32_e32 v1, 0
	v_lshlrev_b64 v[0:1], 2, v[0:1]
	v_mov_b32_e32 v4, s3
	v_add_co_u32_e32 v0, vcc, s2, v0
	v_mov_b32_e32 v3, s1
	v_addc_co_u32_e32 v1, vcc, v4, v1, vcc
	global_store_dword v[0:1], v3, off
	v_mov_b32_e32 v0, v2
	s_or_b64 exec, exec, s[6:7]
	v_cmp_gt_i32_e32 vcc, s0, v0
	s_and_saveexec_b64 s[6:7], vcc
	s_cbranch_execz .LBB48_5
.LBB48_10:
	v_add_u32_e32 v2, s4, v0
	v_mov_b32_e32 v3, 0
	v_lshlrev_b64 v[2:3], 2, v[2:3]
	v_mov_b32_e32 v4, s3
	v_add_co_u32_e32 v2, vcc, s2, v2
	v_mov_b32_e32 v1, s1
	v_addc_co_u32_e32 v3, vcc, v4, v3, vcc
	v_add_u32_e32 v0, 0x100, v0
	global_store_dword v[2:3], v1, off
	s_or_b64 exec, exec, s[6:7]
	v_cmp_gt_i32_e32 vcc, s0, v0
	s_and_saveexec_b64 s[6:7], vcc
	s_cbranch_execz .LBB48_6
.LBB48_11:
	v_add_u32_e32 v2, s4, v0
	v_mov_b32_e32 v3, 0
	v_lshlrev_b64 v[2:3], 2, v[2:3]
	v_mov_b32_e32 v4, s3
	v_add_co_u32_e32 v2, vcc, s2, v2
	v_mov_b32_e32 v1, s1
	v_addc_co_u32_e32 v3, vcc, v4, v3, vcc
	v_add_u32_e32 v0, 0x100, v0
	global_store_dword v[2:3], v1, off
	s_or_b64 exec, exec, s[6:7]
	v_cmp_gt_i32_e32 vcc, s0, v0
	s_and_saveexec_b64 s[6:7], vcc
	s_cbranch_execnz .LBB48_7
	s_branch .LBB48_8
	.section	.rodata,"a",@progbits
	.p2align	6, 0x0
	.amdhsa_kernel _ZN2at6native29vectorized_elementwise_kernelILi16ENS0_11FillFunctorIfEESt5arrayIPcLm1EEEEviT0_T1_
		.amdhsa_group_segment_fixed_size 0
		.amdhsa_private_segment_fixed_size 0
		.amdhsa_kernarg_size 16
		.amdhsa_user_sgpr_count 6
		.amdhsa_user_sgpr_private_segment_buffer 1
		.amdhsa_user_sgpr_dispatch_ptr 0
		.amdhsa_user_sgpr_queue_ptr 0
		.amdhsa_user_sgpr_kernarg_segment_ptr 1
		.amdhsa_user_sgpr_dispatch_id 0
		.amdhsa_user_sgpr_flat_scratch_init 0
		.amdhsa_user_sgpr_kernarg_preload_length 0
		.amdhsa_user_sgpr_kernarg_preload_offset 0
		.amdhsa_user_sgpr_private_segment_size 0
		.amdhsa_uses_dynamic_stack 0
		.amdhsa_system_sgpr_private_segment_wavefront_offset 0
		.amdhsa_system_sgpr_workgroup_id_x 1
		.amdhsa_system_sgpr_workgroup_id_y 0
		.amdhsa_system_sgpr_workgroup_id_z 0
		.amdhsa_system_sgpr_workgroup_info 0
		.amdhsa_system_vgpr_workitem_id 0
		.amdhsa_next_free_vgpr 6
		.amdhsa_next_free_sgpr 8
		.amdhsa_accum_offset 8
		.amdhsa_reserve_vcc 1
		.amdhsa_reserve_flat_scratch 0
		.amdhsa_float_round_mode_32 0
		.amdhsa_float_round_mode_16_64 0
		.amdhsa_float_denorm_mode_32 3
		.amdhsa_float_denorm_mode_16_64 3
		.amdhsa_dx10_clamp 1
		.amdhsa_ieee_mode 1
		.amdhsa_fp16_overflow 0
		.amdhsa_tg_split 0
		.amdhsa_exception_fp_ieee_invalid_op 0
		.amdhsa_exception_fp_denorm_src 0
		.amdhsa_exception_fp_ieee_div_zero 0
		.amdhsa_exception_fp_ieee_overflow 0
		.amdhsa_exception_fp_ieee_underflow 0
		.amdhsa_exception_fp_ieee_inexact 0
		.amdhsa_exception_int_div_zero 0
	.end_amdhsa_kernel
	.section	.text._ZN2at6native29vectorized_elementwise_kernelILi16ENS0_11FillFunctorIfEESt5arrayIPcLm1EEEEviT0_T1_,"axG",@progbits,_ZN2at6native29vectorized_elementwise_kernelILi16ENS0_11FillFunctorIfEESt5arrayIPcLm1EEEEviT0_T1_,comdat
.Lfunc_end48:
	.size	_ZN2at6native29vectorized_elementwise_kernelILi16ENS0_11FillFunctorIfEESt5arrayIPcLm1EEEEviT0_T1_, .Lfunc_end48-_ZN2at6native29vectorized_elementwise_kernelILi16ENS0_11FillFunctorIfEESt5arrayIPcLm1EEEEviT0_T1_
                                        ; -- End function
	.section	.AMDGPU.csdata,"",@progbits
; Kernel info:
; codeLenInByte = 392
; NumSgprs: 12
; NumVgprs: 6
; NumAgprs: 0
; TotalNumVgprs: 6
; ScratchSize: 0
; MemoryBound: 0
; FloatMode: 240
; IeeeMode: 1
; LDSByteSize: 0 bytes/workgroup (compile time only)
; SGPRBlocks: 1
; VGPRBlocks: 0
; NumSGPRsForWavesPerEU: 12
; NumVGPRsForWavesPerEU: 6
; AccumOffset: 8
; Occupancy: 8
; WaveLimiterHint : 0
; COMPUTE_PGM_RSRC2:SCRATCH_EN: 0
; COMPUTE_PGM_RSRC2:USER_SGPR: 6
; COMPUTE_PGM_RSRC2:TRAP_HANDLER: 0
; COMPUTE_PGM_RSRC2:TGID_X_EN: 1
; COMPUTE_PGM_RSRC2:TGID_Y_EN: 0
; COMPUTE_PGM_RSRC2:TGID_Z_EN: 0
; COMPUTE_PGM_RSRC2:TIDIG_COMP_CNT: 0
; COMPUTE_PGM_RSRC3_GFX90A:ACCUM_OFFSET: 1
; COMPUTE_PGM_RSRC3_GFX90A:TG_SPLIT: 0
	.section	.text._ZN2at6native29vectorized_elementwise_kernelILi8ENS0_11FillFunctorIfEESt5arrayIPcLm1EEEEviT0_T1_,"axG",@progbits,_ZN2at6native29vectorized_elementwise_kernelILi8ENS0_11FillFunctorIfEESt5arrayIPcLm1EEEEviT0_T1_,comdat
	.protected	_ZN2at6native29vectorized_elementwise_kernelILi8ENS0_11FillFunctorIfEESt5arrayIPcLm1EEEEviT0_T1_ ; -- Begin function _ZN2at6native29vectorized_elementwise_kernelILi8ENS0_11FillFunctorIfEESt5arrayIPcLm1EEEEviT0_T1_
	.globl	_ZN2at6native29vectorized_elementwise_kernelILi8ENS0_11FillFunctorIfEESt5arrayIPcLm1EEEEviT0_T1_
	.p2align	8
	.type	_ZN2at6native29vectorized_elementwise_kernelILi8ENS0_11FillFunctorIfEESt5arrayIPcLm1EEEEviT0_T1_,@function
_ZN2at6native29vectorized_elementwise_kernelILi8ENS0_11FillFunctorIfEESt5arrayIPcLm1EEEEviT0_T1_: ; @_ZN2at6native29vectorized_elementwise_kernelILi8ENS0_11FillFunctorIfEESt5arrayIPcLm1EEEEviT0_T1_
; %bb.0:
	s_load_dwordx4 s[0:3], s[4:5], 0x0
	s_lshl_b32 s4, s6, 10
	s_mov_b64 s[6:7], -1
	s_waitcnt lgkmcnt(0)
	s_sub_i32 s0, s0, s4
	s_cmpk_gt_i32 s0, 0x3ff
	s_cbranch_scc0 .LBB49_2
; %bb.1:
	s_ashr_i32 s5, s4, 31
	s_lshl_b64 s[6:7], s[4:5], 2
	s_add_u32 s6, s2, s6
	s_addc_u32 s7, s3, s7
	v_lshlrev_b32_e32 v1, 4, v0
	v_mov_b32_e32 v2, s1
	v_mov_b32_e32 v3, s1
	;; [unrolled: 1-line block ×4, first 2 shown]
	global_store_dwordx4 v1, v[2:5], s[6:7]
	s_mov_b64 s[6:7], 0
.LBB49_2:
	s_andn2_b64 vcc, exec, s[6:7]
	s_cbranch_vccnz .LBB49_8
; %bb.3:
	v_cmp_gt_i32_e32 vcc, s0, v0
	s_and_saveexec_b64 s[6:7], vcc
	s_cbranch_execnz .LBB49_9
; %bb.4:
	s_or_b64 exec, exec, s[6:7]
	v_cmp_gt_i32_e32 vcc, s0, v0
	s_and_saveexec_b64 s[6:7], vcc
	s_cbranch_execnz .LBB49_10
.LBB49_5:
	s_or_b64 exec, exec, s[6:7]
	v_cmp_gt_i32_e32 vcc, s0, v0
	s_and_saveexec_b64 s[6:7], vcc
	s_cbranch_execnz .LBB49_11
.LBB49_6:
	s_or_b64 exec, exec, s[6:7]
	v_cmp_gt_i32_e32 vcc, s0, v0
	s_and_saveexec_b64 s[6:7], vcc
	s_cbranch_execz .LBB49_8
.LBB49_7:
	v_add_u32_e32 v0, s4, v0
	v_mov_b32_e32 v1, 0
	v_lshlrev_b64 v[0:1], 2, v[0:1]
	v_mov_b32_e32 v3, s3
	v_add_co_u32_e32 v0, vcc, s2, v0
	v_mov_b32_e32 v2, s1
	v_addc_co_u32_e32 v1, vcc, v3, v1, vcc
	global_store_dword v[0:1], v2, off
.LBB49_8:
	s_endpgm
.LBB49_9:
	v_or_b32_e32 v2, 0x100, v0
	v_or_b32_e32 v0, s4, v0
	v_mov_b32_e32 v1, 0
	v_lshlrev_b64 v[0:1], 2, v[0:1]
	v_mov_b32_e32 v4, s3
	v_add_co_u32_e32 v0, vcc, s2, v0
	v_mov_b32_e32 v3, s1
	v_addc_co_u32_e32 v1, vcc, v4, v1, vcc
	global_store_dword v[0:1], v3, off
	v_mov_b32_e32 v0, v2
	s_or_b64 exec, exec, s[6:7]
	v_cmp_gt_i32_e32 vcc, s0, v0
	s_and_saveexec_b64 s[6:7], vcc
	s_cbranch_execz .LBB49_5
.LBB49_10:
	v_add_u32_e32 v2, s4, v0
	v_mov_b32_e32 v3, 0
	v_lshlrev_b64 v[2:3], 2, v[2:3]
	v_mov_b32_e32 v4, s3
	v_add_co_u32_e32 v2, vcc, s2, v2
	v_mov_b32_e32 v1, s1
	v_addc_co_u32_e32 v3, vcc, v4, v3, vcc
	v_add_u32_e32 v0, 0x100, v0
	global_store_dword v[2:3], v1, off
	s_or_b64 exec, exec, s[6:7]
	v_cmp_gt_i32_e32 vcc, s0, v0
	s_and_saveexec_b64 s[6:7], vcc
	s_cbranch_execz .LBB49_6
.LBB49_11:
	v_add_u32_e32 v2, s4, v0
	v_mov_b32_e32 v3, 0
	v_lshlrev_b64 v[2:3], 2, v[2:3]
	v_mov_b32_e32 v4, s3
	v_add_co_u32_e32 v2, vcc, s2, v2
	v_mov_b32_e32 v1, s1
	v_addc_co_u32_e32 v3, vcc, v4, v3, vcc
	v_add_u32_e32 v0, 0x100, v0
	global_store_dword v[2:3], v1, off
	s_or_b64 exec, exec, s[6:7]
	v_cmp_gt_i32_e32 vcc, s0, v0
	s_and_saveexec_b64 s[6:7], vcc
	s_cbranch_execnz .LBB49_7
	s_branch .LBB49_8
	.section	.rodata,"a",@progbits
	.p2align	6, 0x0
	.amdhsa_kernel _ZN2at6native29vectorized_elementwise_kernelILi8ENS0_11FillFunctorIfEESt5arrayIPcLm1EEEEviT0_T1_
		.amdhsa_group_segment_fixed_size 0
		.amdhsa_private_segment_fixed_size 0
		.amdhsa_kernarg_size 16
		.amdhsa_user_sgpr_count 6
		.amdhsa_user_sgpr_private_segment_buffer 1
		.amdhsa_user_sgpr_dispatch_ptr 0
		.amdhsa_user_sgpr_queue_ptr 0
		.amdhsa_user_sgpr_kernarg_segment_ptr 1
		.amdhsa_user_sgpr_dispatch_id 0
		.amdhsa_user_sgpr_flat_scratch_init 0
		.amdhsa_user_sgpr_kernarg_preload_length 0
		.amdhsa_user_sgpr_kernarg_preload_offset 0
		.amdhsa_user_sgpr_private_segment_size 0
		.amdhsa_uses_dynamic_stack 0
		.amdhsa_system_sgpr_private_segment_wavefront_offset 0
		.amdhsa_system_sgpr_workgroup_id_x 1
		.amdhsa_system_sgpr_workgroup_id_y 0
		.amdhsa_system_sgpr_workgroup_id_z 0
		.amdhsa_system_sgpr_workgroup_info 0
		.amdhsa_system_vgpr_workitem_id 0
		.amdhsa_next_free_vgpr 6
		.amdhsa_next_free_sgpr 8
		.amdhsa_accum_offset 8
		.amdhsa_reserve_vcc 1
		.amdhsa_reserve_flat_scratch 0
		.amdhsa_float_round_mode_32 0
		.amdhsa_float_round_mode_16_64 0
		.amdhsa_float_denorm_mode_32 3
		.amdhsa_float_denorm_mode_16_64 3
		.amdhsa_dx10_clamp 1
		.amdhsa_ieee_mode 1
		.amdhsa_fp16_overflow 0
		.amdhsa_tg_split 0
		.amdhsa_exception_fp_ieee_invalid_op 0
		.amdhsa_exception_fp_denorm_src 0
		.amdhsa_exception_fp_ieee_div_zero 0
		.amdhsa_exception_fp_ieee_overflow 0
		.amdhsa_exception_fp_ieee_underflow 0
		.amdhsa_exception_fp_ieee_inexact 0
		.amdhsa_exception_int_div_zero 0
	.end_amdhsa_kernel
	.section	.text._ZN2at6native29vectorized_elementwise_kernelILi8ENS0_11FillFunctorIfEESt5arrayIPcLm1EEEEviT0_T1_,"axG",@progbits,_ZN2at6native29vectorized_elementwise_kernelILi8ENS0_11FillFunctorIfEESt5arrayIPcLm1EEEEviT0_T1_,comdat
.Lfunc_end49:
	.size	_ZN2at6native29vectorized_elementwise_kernelILi8ENS0_11FillFunctorIfEESt5arrayIPcLm1EEEEviT0_T1_, .Lfunc_end49-_ZN2at6native29vectorized_elementwise_kernelILi8ENS0_11FillFunctorIfEESt5arrayIPcLm1EEEEviT0_T1_
                                        ; -- End function
	.section	.AMDGPU.csdata,"",@progbits
; Kernel info:
; codeLenInByte = 392
; NumSgprs: 12
; NumVgprs: 6
; NumAgprs: 0
; TotalNumVgprs: 6
; ScratchSize: 0
; MemoryBound: 0
; FloatMode: 240
; IeeeMode: 1
; LDSByteSize: 0 bytes/workgroup (compile time only)
; SGPRBlocks: 1
; VGPRBlocks: 0
; NumSGPRsForWavesPerEU: 12
; NumVGPRsForWavesPerEU: 6
; AccumOffset: 8
; Occupancy: 8
; WaveLimiterHint : 0
; COMPUTE_PGM_RSRC2:SCRATCH_EN: 0
; COMPUTE_PGM_RSRC2:USER_SGPR: 6
; COMPUTE_PGM_RSRC2:TRAP_HANDLER: 0
; COMPUTE_PGM_RSRC2:TGID_X_EN: 1
; COMPUTE_PGM_RSRC2:TGID_Y_EN: 0
; COMPUTE_PGM_RSRC2:TGID_Z_EN: 0
; COMPUTE_PGM_RSRC2:TIDIG_COMP_CNT: 0
; COMPUTE_PGM_RSRC3_GFX90A:ACCUM_OFFSET: 1
; COMPUTE_PGM_RSRC3_GFX90A:TG_SPLIT: 0
	.section	.text._ZN2at6native29vectorized_elementwise_kernelILi4ENS0_11FillFunctorIfEESt5arrayIPcLm1EEEEviT0_T1_,"axG",@progbits,_ZN2at6native29vectorized_elementwise_kernelILi4ENS0_11FillFunctorIfEESt5arrayIPcLm1EEEEviT0_T1_,comdat
	.protected	_ZN2at6native29vectorized_elementwise_kernelILi4ENS0_11FillFunctorIfEESt5arrayIPcLm1EEEEviT0_T1_ ; -- Begin function _ZN2at6native29vectorized_elementwise_kernelILi4ENS0_11FillFunctorIfEESt5arrayIPcLm1EEEEviT0_T1_
	.globl	_ZN2at6native29vectorized_elementwise_kernelILi4ENS0_11FillFunctorIfEESt5arrayIPcLm1EEEEviT0_T1_
	.p2align	8
	.type	_ZN2at6native29vectorized_elementwise_kernelILi4ENS0_11FillFunctorIfEESt5arrayIPcLm1EEEEviT0_T1_,@function
_ZN2at6native29vectorized_elementwise_kernelILi4ENS0_11FillFunctorIfEESt5arrayIPcLm1EEEEviT0_T1_: ; @_ZN2at6native29vectorized_elementwise_kernelILi4ENS0_11FillFunctorIfEESt5arrayIPcLm1EEEEviT0_T1_
; %bb.0:
	s_load_dwordx4 s[0:3], s[4:5], 0x0
	s_lshl_b32 s4, s6, 10
	s_mov_b64 s[6:7], -1
	s_waitcnt lgkmcnt(0)
	s_sub_i32 s0, s0, s4
	s_cmpk_gt_i32 s0, 0x3ff
	s_cbranch_scc0 .LBB50_2
; %bb.1:
	s_ashr_i32 s5, s4, 31
	s_lshl_b64 s[6:7], s[4:5], 2
	s_add_u32 s6, s2, s6
	s_addc_u32 s7, s3, s7
	v_lshlrev_b32_e32 v1, 4, v0
	v_mov_b32_e32 v2, s1
	v_mov_b32_e32 v3, s1
	;; [unrolled: 1-line block ×4, first 2 shown]
	global_store_dwordx4 v1, v[2:5], s[6:7]
	s_mov_b64 s[6:7], 0
.LBB50_2:
	s_andn2_b64 vcc, exec, s[6:7]
	s_cbranch_vccnz .LBB50_8
; %bb.3:
	v_cmp_gt_i32_e32 vcc, s0, v0
	s_and_saveexec_b64 s[6:7], vcc
	s_cbranch_execnz .LBB50_9
; %bb.4:
	s_or_b64 exec, exec, s[6:7]
	v_cmp_gt_i32_e32 vcc, s0, v0
	s_and_saveexec_b64 s[6:7], vcc
	s_cbranch_execnz .LBB50_10
.LBB50_5:
	s_or_b64 exec, exec, s[6:7]
	v_cmp_gt_i32_e32 vcc, s0, v0
	s_and_saveexec_b64 s[6:7], vcc
	s_cbranch_execnz .LBB50_11
.LBB50_6:
	s_or_b64 exec, exec, s[6:7]
	v_cmp_gt_i32_e32 vcc, s0, v0
	s_and_saveexec_b64 s[6:7], vcc
	s_cbranch_execz .LBB50_8
.LBB50_7:
	v_add_u32_e32 v0, s4, v0
	v_mov_b32_e32 v1, 0
	v_lshlrev_b64 v[0:1], 2, v[0:1]
	v_mov_b32_e32 v3, s3
	v_add_co_u32_e32 v0, vcc, s2, v0
	v_mov_b32_e32 v2, s1
	v_addc_co_u32_e32 v1, vcc, v3, v1, vcc
	global_store_dword v[0:1], v2, off
.LBB50_8:
	s_endpgm
.LBB50_9:
	v_or_b32_e32 v2, 0x100, v0
	v_or_b32_e32 v0, s4, v0
	v_mov_b32_e32 v1, 0
	v_lshlrev_b64 v[0:1], 2, v[0:1]
	v_mov_b32_e32 v4, s3
	v_add_co_u32_e32 v0, vcc, s2, v0
	v_mov_b32_e32 v3, s1
	v_addc_co_u32_e32 v1, vcc, v4, v1, vcc
	global_store_dword v[0:1], v3, off
	v_mov_b32_e32 v0, v2
	s_or_b64 exec, exec, s[6:7]
	v_cmp_gt_i32_e32 vcc, s0, v0
	s_and_saveexec_b64 s[6:7], vcc
	s_cbranch_execz .LBB50_5
.LBB50_10:
	v_add_u32_e32 v2, s4, v0
	v_mov_b32_e32 v3, 0
	v_lshlrev_b64 v[2:3], 2, v[2:3]
	v_mov_b32_e32 v4, s3
	v_add_co_u32_e32 v2, vcc, s2, v2
	v_mov_b32_e32 v1, s1
	v_addc_co_u32_e32 v3, vcc, v4, v3, vcc
	v_add_u32_e32 v0, 0x100, v0
	global_store_dword v[2:3], v1, off
	s_or_b64 exec, exec, s[6:7]
	v_cmp_gt_i32_e32 vcc, s0, v0
	s_and_saveexec_b64 s[6:7], vcc
	s_cbranch_execz .LBB50_6
.LBB50_11:
	v_add_u32_e32 v2, s4, v0
	v_mov_b32_e32 v3, 0
	v_lshlrev_b64 v[2:3], 2, v[2:3]
	v_mov_b32_e32 v4, s3
	v_add_co_u32_e32 v2, vcc, s2, v2
	v_mov_b32_e32 v1, s1
	v_addc_co_u32_e32 v3, vcc, v4, v3, vcc
	v_add_u32_e32 v0, 0x100, v0
	global_store_dword v[2:3], v1, off
	s_or_b64 exec, exec, s[6:7]
	v_cmp_gt_i32_e32 vcc, s0, v0
	s_and_saveexec_b64 s[6:7], vcc
	s_cbranch_execnz .LBB50_7
	s_branch .LBB50_8
	.section	.rodata,"a",@progbits
	.p2align	6, 0x0
	.amdhsa_kernel _ZN2at6native29vectorized_elementwise_kernelILi4ENS0_11FillFunctorIfEESt5arrayIPcLm1EEEEviT0_T1_
		.amdhsa_group_segment_fixed_size 0
		.amdhsa_private_segment_fixed_size 0
		.amdhsa_kernarg_size 16
		.amdhsa_user_sgpr_count 6
		.amdhsa_user_sgpr_private_segment_buffer 1
		.amdhsa_user_sgpr_dispatch_ptr 0
		.amdhsa_user_sgpr_queue_ptr 0
		.amdhsa_user_sgpr_kernarg_segment_ptr 1
		.amdhsa_user_sgpr_dispatch_id 0
		.amdhsa_user_sgpr_flat_scratch_init 0
		.amdhsa_user_sgpr_kernarg_preload_length 0
		.amdhsa_user_sgpr_kernarg_preload_offset 0
		.amdhsa_user_sgpr_private_segment_size 0
		.amdhsa_uses_dynamic_stack 0
		.amdhsa_system_sgpr_private_segment_wavefront_offset 0
		.amdhsa_system_sgpr_workgroup_id_x 1
		.amdhsa_system_sgpr_workgroup_id_y 0
		.amdhsa_system_sgpr_workgroup_id_z 0
		.amdhsa_system_sgpr_workgroup_info 0
		.amdhsa_system_vgpr_workitem_id 0
		.amdhsa_next_free_vgpr 6
		.amdhsa_next_free_sgpr 8
		.amdhsa_accum_offset 8
		.amdhsa_reserve_vcc 1
		.amdhsa_reserve_flat_scratch 0
		.amdhsa_float_round_mode_32 0
		.amdhsa_float_round_mode_16_64 0
		.amdhsa_float_denorm_mode_32 3
		.amdhsa_float_denorm_mode_16_64 3
		.amdhsa_dx10_clamp 1
		.amdhsa_ieee_mode 1
		.amdhsa_fp16_overflow 0
		.amdhsa_tg_split 0
		.amdhsa_exception_fp_ieee_invalid_op 0
		.amdhsa_exception_fp_denorm_src 0
		.amdhsa_exception_fp_ieee_div_zero 0
		.amdhsa_exception_fp_ieee_overflow 0
		.amdhsa_exception_fp_ieee_underflow 0
		.amdhsa_exception_fp_ieee_inexact 0
		.amdhsa_exception_int_div_zero 0
	.end_amdhsa_kernel
	.section	.text._ZN2at6native29vectorized_elementwise_kernelILi4ENS0_11FillFunctorIfEESt5arrayIPcLm1EEEEviT0_T1_,"axG",@progbits,_ZN2at6native29vectorized_elementwise_kernelILi4ENS0_11FillFunctorIfEESt5arrayIPcLm1EEEEviT0_T1_,comdat
.Lfunc_end50:
	.size	_ZN2at6native29vectorized_elementwise_kernelILi4ENS0_11FillFunctorIfEESt5arrayIPcLm1EEEEviT0_T1_, .Lfunc_end50-_ZN2at6native29vectorized_elementwise_kernelILi4ENS0_11FillFunctorIfEESt5arrayIPcLm1EEEEviT0_T1_
                                        ; -- End function
	.section	.AMDGPU.csdata,"",@progbits
; Kernel info:
; codeLenInByte = 392
; NumSgprs: 12
; NumVgprs: 6
; NumAgprs: 0
; TotalNumVgprs: 6
; ScratchSize: 0
; MemoryBound: 0
; FloatMode: 240
; IeeeMode: 1
; LDSByteSize: 0 bytes/workgroup (compile time only)
; SGPRBlocks: 1
; VGPRBlocks: 0
; NumSGPRsForWavesPerEU: 12
; NumVGPRsForWavesPerEU: 6
; AccumOffset: 8
; Occupancy: 8
; WaveLimiterHint : 0
; COMPUTE_PGM_RSRC2:SCRATCH_EN: 0
; COMPUTE_PGM_RSRC2:USER_SGPR: 6
; COMPUTE_PGM_RSRC2:TRAP_HANDLER: 0
; COMPUTE_PGM_RSRC2:TGID_X_EN: 1
; COMPUTE_PGM_RSRC2:TGID_Y_EN: 0
; COMPUTE_PGM_RSRC2:TGID_Z_EN: 0
; COMPUTE_PGM_RSRC2:TIDIG_COMP_CNT: 0
; COMPUTE_PGM_RSRC3_GFX90A:ACCUM_OFFSET: 1
; COMPUTE_PGM_RSRC3_GFX90A:TG_SPLIT: 0
	.section	.text._ZN2at6native29vectorized_elementwise_kernelILi2ENS0_11FillFunctorIfEESt5arrayIPcLm1EEEEviT0_T1_,"axG",@progbits,_ZN2at6native29vectorized_elementwise_kernelILi2ENS0_11FillFunctorIfEESt5arrayIPcLm1EEEEviT0_T1_,comdat
	.protected	_ZN2at6native29vectorized_elementwise_kernelILi2ENS0_11FillFunctorIfEESt5arrayIPcLm1EEEEviT0_T1_ ; -- Begin function _ZN2at6native29vectorized_elementwise_kernelILi2ENS0_11FillFunctorIfEESt5arrayIPcLm1EEEEviT0_T1_
	.globl	_ZN2at6native29vectorized_elementwise_kernelILi2ENS0_11FillFunctorIfEESt5arrayIPcLm1EEEEviT0_T1_
	.p2align	8
	.type	_ZN2at6native29vectorized_elementwise_kernelILi2ENS0_11FillFunctorIfEESt5arrayIPcLm1EEEEviT0_T1_,@function
_ZN2at6native29vectorized_elementwise_kernelILi2ENS0_11FillFunctorIfEESt5arrayIPcLm1EEEEviT0_T1_: ; @_ZN2at6native29vectorized_elementwise_kernelILi2ENS0_11FillFunctorIfEESt5arrayIPcLm1EEEEviT0_T1_
; %bb.0:
	s_load_dwordx4 s[0:3], s[4:5], 0x0
	s_lshl_b32 s4, s6, 10
	s_mov_b64 s[6:7], -1
	s_waitcnt lgkmcnt(0)
	s_sub_i32 s8, s0, s4
	s_cmpk_gt_i32 s8, 0x3ff
	s_cbranch_scc0 .LBB51_2
; %bb.1:
	s_ashr_i32 s5, s4, 31
	s_lshl_b64 s[6:7], s[4:5], 2
	s_add_u32 s6, s2, s6
	s_mov_b32 s0, s1
	s_addc_u32 s7, s3, s7
	v_lshlrev_b32_e32 v1, 3, v0
	v_pk_mov_b32 v[2:3], s[0:1], s[0:1] op_sel:[0,1]
	global_store_dwordx2 v1, v[2:3], s[6:7]
	global_store_dwordx2 v1, v[2:3], s[6:7] offset:2048
	s_mov_b64 s[6:7], 0
.LBB51_2:
	s_andn2_b64 vcc, exec, s[6:7]
	s_cbranch_vccnz .LBB51_8
; %bb.3:
	v_cmp_gt_i32_e32 vcc, s8, v0
	s_and_saveexec_b64 s[6:7], vcc
	s_cbranch_execnz .LBB51_9
; %bb.4:
	s_or_b64 exec, exec, s[6:7]
	v_cmp_gt_i32_e32 vcc, s8, v0
	s_and_saveexec_b64 s[6:7], vcc
	s_cbranch_execnz .LBB51_10
.LBB51_5:
	s_or_b64 exec, exec, s[6:7]
	v_cmp_gt_i32_e32 vcc, s8, v0
	s_and_saveexec_b64 s[6:7], vcc
	s_cbranch_execnz .LBB51_11
.LBB51_6:
	s_or_b64 exec, exec, s[6:7]
	v_cmp_gt_i32_e32 vcc, s8, v0
	s_and_saveexec_b64 s[6:7], vcc
	s_cbranch_execz .LBB51_8
.LBB51_7:
	v_add_u32_e32 v0, s4, v0
	v_mov_b32_e32 v1, 0
	v_lshlrev_b64 v[0:1], 2, v[0:1]
	v_mov_b32_e32 v3, s3
	v_add_co_u32_e32 v0, vcc, s2, v0
	v_mov_b32_e32 v2, s1
	v_addc_co_u32_e32 v1, vcc, v3, v1, vcc
	global_store_dword v[0:1], v2, off
.LBB51_8:
	s_endpgm
.LBB51_9:
	v_or_b32_e32 v2, 0x100, v0
	v_or_b32_e32 v0, s4, v0
	v_mov_b32_e32 v1, 0
	v_lshlrev_b64 v[0:1], 2, v[0:1]
	v_mov_b32_e32 v4, s3
	v_add_co_u32_e32 v0, vcc, s2, v0
	v_mov_b32_e32 v3, s1
	v_addc_co_u32_e32 v1, vcc, v4, v1, vcc
	global_store_dword v[0:1], v3, off
	v_mov_b32_e32 v0, v2
	s_or_b64 exec, exec, s[6:7]
	v_cmp_gt_i32_e32 vcc, s8, v0
	s_and_saveexec_b64 s[6:7], vcc
	s_cbranch_execz .LBB51_5
.LBB51_10:
	v_add_u32_e32 v2, s4, v0
	v_mov_b32_e32 v3, 0
	v_lshlrev_b64 v[2:3], 2, v[2:3]
	v_mov_b32_e32 v4, s3
	v_add_co_u32_e32 v2, vcc, s2, v2
	v_mov_b32_e32 v1, s1
	v_addc_co_u32_e32 v3, vcc, v4, v3, vcc
	v_add_u32_e32 v0, 0x100, v0
	global_store_dword v[2:3], v1, off
	s_or_b64 exec, exec, s[6:7]
	v_cmp_gt_i32_e32 vcc, s8, v0
	s_and_saveexec_b64 s[6:7], vcc
	s_cbranch_execz .LBB51_6
.LBB51_11:
	v_add_u32_e32 v2, s4, v0
	v_mov_b32_e32 v3, 0
	v_lshlrev_b64 v[2:3], 2, v[2:3]
	v_mov_b32_e32 v4, s3
	v_add_co_u32_e32 v2, vcc, s2, v2
	v_mov_b32_e32 v1, s1
	v_addc_co_u32_e32 v3, vcc, v4, v3, vcc
	v_add_u32_e32 v0, 0x100, v0
	global_store_dword v[2:3], v1, off
	s_or_b64 exec, exec, s[6:7]
	v_cmp_gt_i32_e32 vcc, s8, v0
	s_and_saveexec_b64 s[6:7], vcc
	s_cbranch_execnz .LBB51_7
	s_branch .LBB51_8
	.section	.rodata,"a",@progbits
	.p2align	6, 0x0
	.amdhsa_kernel _ZN2at6native29vectorized_elementwise_kernelILi2ENS0_11FillFunctorIfEESt5arrayIPcLm1EEEEviT0_T1_
		.amdhsa_group_segment_fixed_size 0
		.amdhsa_private_segment_fixed_size 0
		.amdhsa_kernarg_size 16
		.amdhsa_user_sgpr_count 6
		.amdhsa_user_sgpr_private_segment_buffer 1
		.amdhsa_user_sgpr_dispatch_ptr 0
		.amdhsa_user_sgpr_queue_ptr 0
		.amdhsa_user_sgpr_kernarg_segment_ptr 1
		.amdhsa_user_sgpr_dispatch_id 0
		.amdhsa_user_sgpr_flat_scratch_init 0
		.amdhsa_user_sgpr_kernarg_preload_length 0
		.amdhsa_user_sgpr_kernarg_preload_offset 0
		.amdhsa_user_sgpr_private_segment_size 0
		.amdhsa_uses_dynamic_stack 0
		.amdhsa_system_sgpr_private_segment_wavefront_offset 0
		.amdhsa_system_sgpr_workgroup_id_x 1
		.amdhsa_system_sgpr_workgroup_id_y 0
		.amdhsa_system_sgpr_workgroup_id_z 0
		.amdhsa_system_sgpr_workgroup_info 0
		.amdhsa_system_vgpr_workitem_id 0
		.amdhsa_next_free_vgpr 5
		.amdhsa_next_free_sgpr 9
		.amdhsa_accum_offset 8
		.amdhsa_reserve_vcc 1
		.amdhsa_reserve_flat_scratch 0
		.amdhsa_float_round_mode_32 0
		.amdhsa_float_round_mode_16_64 0
		.amdhsa_float_denorm_mode_32 3
		.amdhsa_float_denorm_mode_16_64 3
		.amdhsa_dx10_clamp 1
		.amdhsa_ieee_mode 1
		.amdhsa_fp16_overflow 0
		.amdhsa_tg_split 0
		.amdhsa_exception_fp_ieee_invalid_op 0
		.amdhsa_exception_fp_denorm_src 0
		.amdhsa_exception_fp_ieee_div_zero 0
		.amdhsa_exception_fp_ieee_overflow 0
		.amdhsa_exception_fp_ieee_underflow 0
		.amdhsa_exception_fp_ieee_inexact 0
		.amdhsa_exception_int_div_zero 0
	.end_amdhsa_kernel
	.section	.text._ZN2at6native29vectorized_elementwise_kernelILi2ENS0_11FillFunctorIfEESt5arrayIPcLm1EEEEviT0_T1_,"axG",@progbits,_ZN2at6native29vectorized_elementwise_kernelILi2ENS0_11FillFunctorIfEESt5arrayIPcLm1EEEEviT0_T1_,comdat
.Lfunc_end51:
	.size	_ZN2at6native29vectorized_elementwise_kernelILi2ENS0_11FillFunctorIfEESt5arrayIPcLm1EEEEviT0_T1_, .Lfunc_end51-_ZN2at6native29vectorized_elementwise_kernelILi2ENS0_11FillFunctorIfEESt5arrayIPcLm1EEEEviT0_T1_
                                        ; -- End function
	.section	.AMDGPU.csdata,"",@progbits
; Kernel info:
; codeLenInByte = 396
; NumSgprs: 13
; NumVgprs: 5
; NumAgprs: 0
; TotalNumVgprs: 5
; ScratchSize: 0
; MemoryBound: 0
; FloatMode: 240
; IeeeMode: 1
; LDSByteSize: 0 bytes/workgroup (compile time only)
; SGPRBlocks: 1
; VGPRBlocks: 0
; NumSGPRsForWavesPerEU: 13
; NumVGPRsForWavesPerEU: 5
; AccumOffset: 8
; Occupancy: 8
; WaveLimiterHint : 1
; COMPUTE_PGM_RSRC2:SCRATCH_EN: 0
; COMPUTE_PGM_RSRC2:USER_SGPR: 6
; COMPUTE_PGM_RSRC2:TRAP_HANDLER: 0
; COMPUTE_PGM_RSRC2:TGID_X_EN: 1
; COMPUTE_PGM_RSRC2:TGID_Y_EN: 0
; COMPUTE_PGM_RSRC2:TGID_Z_EN: 0
; COMPUTE_PGM_RSRC2:TIDIG_COMP_CNT: 0
; COMPUTE_PGM_RSRC3_GFX90A:ACCUM_OFFSET: 1
; COMPUTE_PGM_RSRC3_GFX90A:TG_SPLIT: 0
	.section	.text._ZN2at6native27unrolled_elementwise_kernelINS0_11FillFunctorIfEESt5arrayIPcLm1EELi4E23TrivialOffsetCalculatorILi0EjES7_ILi1EjENS0_6memory15LoadWithoutCastENSA_16StoreWithoutCastEEEviT_T0_T2_T3_T4_T5_,"axG",@progbits,_ZN2at6native27unrolled_elementwise_kernelINS0_11FillFunctorIfEESt5arrayIPcLm1EELi4E23TrivialOffsetCalculatorILi0EjES7_ILi1EjENS0_6memory15LoadWithoutCastENSA_16StoreWithoutCastEEEviT_T0_T2_T3_T4_T5_,comdat
	.protected	_ZN2at6native27unrolled_elementwise_kernelINS0_11FillFunctorIfEESt5arrayIPcLm1EELi4E23TrivialOffsetCalculatorILi0EjES7_ILi1EjENS0_6memory15LoadWithoutCastENSA_16StoreWithoutCastEEEviT_T0_T2_T3_T4_T5_ ; -- Begin function _ZN2at6native27unrolled_elementwise_kernelINS0_11FillFunctorIfEESt5arrayIPcLm1EELi4E23TrivialOffsetCalculatorILi0EjES7_ILi1EjENS0_6memory15LoadWithoutCastENSA_16StoreWithoutCastEEEviT_T0_T2_T3_T4_T5_
	.globl	_ZN2at6native27unrolled_elementwise_kernelINS0_11FillFunctorIfEESt5arrayIPcLm1EELi4E23TrivialOffsetCalculatorILi0EjES7_ILi1EjENS0_6memory15LoadWithoutCastENSA_16StoreWithoutCastEEEviT_T0_T2_T3_T4_T5_
	.p2align	8
	.type	_ZN2at6native27unrolled_elementwise_kernelINS0_11FillFunctorIfEESt5arrayIPcLm1EELi4E23TrivialOffsetCalculatorILi0EjES7_ILi1EjENS0_6memory15LoadWithoutCastENSA_16StoreWithoutCastEEEviT_T0_T2_T3_T4_T5_,@function
_ZN2at6native27unrolled_elementwise_kernelINS0_11FillFunctorIfEESt5arrayIPcLm1EELi4E23TrivialOffsetCalculatorILi0EjES7_ILi1EjENS0_6memory15LoadWithoutCastENSA_16StoreWithoutCastEEEviT_T0_T2_T3_T4_T5_: ; @_ZN2at6native27unrolled_elementwise_kernelINS0_11FillFunctorIfEESt5arrayIPcLm1EELi4E23TrivialOffsetCalculatorILi0EjES7_ILi1EjENS0_6memory15LoadWithoutCastENSA_16StoreWithoutCastEEEviT_T0_T2_T3_T4_T5_
; %bb.0:
	s_load_dwordx4 s[0:3], s[4:5], 0x0
	s_lshl_b32 s6, s6, 10
	s_waitcnt lgkmcnt(0)
	s_sub_i32 s0, s0, s6
	v_cmp_gt_i32_e32 vcc, s0, v0
	s_and_saveexec_b64 s[4:5], vcc
	s_cbranch_execnz .LBB52_5
; %bb.1:
	s_or_b64 exec, exec, s[4:5]
	v_cmp_gt_i32_e32 vcc, s0, v0
	s_and_saveexec_b64 s[4:5], vcc
	s_cbranch_execnz .LBB52_6
.LBB52_2:
	s_or_b64 exec, exec, s[4:5]
	v_cmp_gt_i32_e32 vcc, s0, v0
	s_and_saveexec_b64 s[4:5], vcc
	s_cbranch_execnz .LBB52_7
.LBB52_3:
	s_or_b64 exec, exec, s[4:5]
	v_cmp_gt_i32_e32 vcc, s0, v0
	s_and_saveexec_b64 s[4:5], vcc
	s_cbranch_execnz .LBB52_8
.LBB52_4:
	s_endpgm
.LBB52_5:
	v_or_b32_e32 v2, 0x100, v0
	v_or_b32_e32 v0, s6, v0
	v_mov_b32_e32 v1, 0
	v_lshlrev_b64 v[0:1], 2, v[0:1]
	v_mov_b32_e32 v3, s3
	v_add_co_u32_e32 v0, vcc, s2, v0
	v_addc_co_u32_e32 v1, vcc, v3, v1, vcc
	v_mov_b32_e32 v3, s1
	global_store_dword v[0:1], v3, off
	v_mov_b32_e32 v0, v2
	s_or_b64 exec, exec, s[4:5]
	v_cmp_gt_i32_e32 vcc, s0, v0
	s_and_saveexec_b64 s[4:5], vcc
	s_cbranch_execz .LBB52_2
.LBB52_6:
	v_add_u32_e32 v2, 0x100, v0
	v_add_u32_e32 v0, s6, v0
	v_mov_b32_e32 v1, 0
	v_lshlrev_b64 v[0:1], 2, v[0:1]
	v_mov_b32_e32 v3, s3
	v_add_co_u32_e32 v0, vcc, s2, v0
	v_addc_co_u32_e32 v1, vcc, v3, v1, vcc
	v_mov_b32_e32 v3, s1
	global_store_dword v[0:1], v3, off
	v_mov_b32_e32 v0, v2
	s_or_b64 exec, exec, s[4:5]
	v_cmp_gt_i32_e32 vcc, s0, v0
	s_and_saveexec_b64 s[4:5], vcc
	s_cbranch_execz .LBB52_3
.LBB52_7:
	v_add_u32_e32 v2, 0x100, v0
	v_add_u32_e32 v0, s6, v0
	v_mov_b32_e32 v1, 0
	v_lshlrev_b64 v[0:1], 2, v[0:1]
	v_mov_b32_e32 v3, s3
	v_add_co_u32_e32 v0, vcc, s2, v0
	v_addc_co_u32_e32 v1, vcc, v3, v1, vcc
	v_mov_b32_e32 v3, s1
	global_store_dword v[0:1], v3, off
	v_mov_b32_e32 v0, v2
	s_or_b64 exec, exec, s[4:5]
	v_cmp_gt_i32_e32 vcc, s0, v0
	s_and_saveexec_b64 s[4:5], vcc
	s_cbranch_execz .LBB52_4
.LBB52_8:
	v_add_u32_e32 v0, s6, v0
	v_mov_b32_e32 v1, 0
	v_lshlrev_b64 v[0:1], 2, v[0:1]
	v_mov_b32_e32 v2, s3
	v_add_co_u32_e32 v0, vcc, s2, v0
	v_addc_co_u32_e32 v1, vcc, v2, v1, vcc
	v_mov_b32_e32 v2, s1
	global_store_dword v[0:1], v2, off
	s_endpgm
	.section	.rodata,"a",@progbits
	.p2align	6, 0x0
	.amdhsa_kernel _ZN2at6native27unrolled_elementwise_kernelINS0_11FillFunctorIfEESt5arrayIPcLm1EELi4E23TrivialOffsetCalculatorILi0EjES7_ILi1EjENS0_6memory15LoadWithoutCastENSA_16StoreWithoutCastEEEviT_T0_T2_T3_T4_T5_
		.amdhsa_group_segment_fixed_size 0
		.amdhsa_private_segment_fixed_size 0
		.amdhsa_kernarg_size 20
		.amdhsa_user_sgpr_count 6
		.amdhsa_user_sgpr_private_segment_buffer 1
		.amdhsa_user_sgpr_dispatch_ptr 0
		.amdhsa_user_sgpr_queue_ptr 0
		.amdhsa_user_sgpr_kernarg_segment_ptr 1
		.amdhsa_user_sgpr_dispatch_id 0
		.amdhsa_user_sgpr_flat_scratch_init 0
		.amdhsa_user_sgpr_kernarg_preload_length 0
		.amdhsa_user_sgpr_kernarg_preload_offset 0
		.amdhsa_user_sgpr_private_segment_size 0
		.amdhsa_uses_dynamic_stack 0
		.amdhsa_system_sgpr_private_segment_wavefront_offset 0
		.amdhsa_system_sgpr_workgroup_id_x 1
		.amdhsa_system_sgpr_workgroup_id_y 0
		.amdhsa_system_sgpr_workgroup_id_z 0
		.amdhsa_system_sgpr_workgroup_info 0
		.amdhsa_system_vgpr_workitem_id 0
		.amdhsa_next_free_vgpr 4
		.amdhsa_next_free_sgpr 7
		.amdhsa_accum_offset 4
		.amdhsa_reserve_vcc 1
		.amdhsa_reserve_flat_scratch 0
		.amdhsa_float_round_mode_32 0
		.amdhsa_float_round_mode_16_64 0
		.amdhsa_float_denorm_mode_32 3
		.amdhsa_float_denorm_mode_16_64 3
		.amdhsa_dx10_clamp 1
		.amdhsa_ieee_mode 1
		.amdhsa_fp16_overflow 0
		.amdhsa_tg_split 0
		.amdhsa_exception_fp_ieee_invalid_op 0
		.amdhsa_exception_fp_denorm_src 0
		.amdhsa_exception_fp_ieee_div_zero 0
		.amdhsa_exception_fp_ieee_overflow 0
		.amdhsa_exception_fp_ieee_underflow 0
		.amdhsa_exception_fp_ieee_inexact 0
		.amdhsa_exception_int_div_zero 0
	.end_amdhsa_kernel
	.section	.text._ZN2at6native27unrolled_elementwise_kernelINS0_11FillFunctorIfEESt5arrayIPcLm1EELi4E23TrivialOffsetCalculatorILi0EjES7_ILi1EjENS0_6memory15LoadWithoutCastENSA_16StoreWithoutCastEEEviT_T0_T2_T3_T4_T5_,"axG",@progbits,_ZN2at6native27unrolled_elementwise_kernelINS0_11FillFunctorIfEESt5arrayIPcLm1EELi4E23TrivialOffsetCalculatorILi0EjES7_ILi1EjENS0_6memory15LoadWithoutCastENSA_16StoreWithoutCastEEEviT_T0_T2_T3_T4_T5_,comdat
.Lfunc_end52:
	.size	_ZN2at6native27unrolled_elementwise_kernelINS0_11FillFunctorIfEESt5arrayIPcLm1EELi4E23TrivialOffsetCalculatorILi0EjES7_ILi1EjENS0_6memory15LoadWithoutCastENSA_16StoreWithoutCastEEEviT_T0_T2_T3_T4_T5_, .Lfunc_end52-_ZN2at6native27unrolled_elementwise_kernelINS0_11FillFunctorIfEESt5arrayIPcLm1EELi4E23TrivialOffsetCalculatorILi0EjES7_ILi1EjENS0_6memory15LoadWithoutCastENSA_16StoreWithoutCastEEEviT_T0_T2_T3_T4_T5_
                                        ; -- End function
	.section	.AMDGPU.csdata,"",@progbits
; Kernel info:
; codeLenInByte = 332
; NumSgprs: 11
; NumVgprs: 4
; NumAgprs: 0
; TotalNumVgprs: 4
; ScratchSize: 0
; MemoryBound: 0
; FloatMode: 240
; IeeeMode: 1
; LDSByteSize: 0 bytes/workgroup (compile time only)
; SGPRBlocks: 1
; VGPRBlocks: 0
; NumSGPRsForWavesPerEU: 11
; NumVGPRsForWavesPerEU: 4
; AccumOffset: 4
; Occupancy: 8
; WaveLimiterHint : 0
; COMPUTE_PGM_RSRC2:SCRATCH_EN: 0
; COMPUTE_PGM_RSRC2:USER_SGPR: 6
; COMPUTE_PGM_RSRC2:TRAP_HANDLER: 0
; COMPUTE_PGM_RSRC2:TGID_X_EN: 1
; COMPUTE_PGM_RSRC2:TGID_Y_EN: 0
; COMPUTE_PGM_RSRC2:TGID_Z_EN: 0
; COMPUTE_PGM_RSRC2:TIDIG_COMP_CNT: 0
; COMPUTE_PGM_RSRC3_GFX90A:ACCUM_OFFSET: 0
; COMPUTE_PGM_RSRC3_GFX90A:TG_SPLIT: 0
	.section	.text._ZN2at6native32elementwise_kernel_manual_unrollILi128ELi4EZNS0_22gpu_kernel_impl_nocastINS0_11FillFunctorIfEEEEvRNS_18TensorIteratorBaseERKT_EUlibE_EEviT1_,"axG",@progbits,_ZN2at6native32elementwise_kernel_manual_unrollILi128ELi4EZNS0_22gpu_kernel_impl_nocastINS0_11FillFunctorIfEEEEvRNS_18TensorIteratorBaseERKT_EUlibE_EEviT1_,comdat
	.protected	_ZN2at6native32elementwise_kernel_manual_unrollILi128ELi4EZNS0_22gpu_kernel_impl_nocastINS0_11FillFunctorIfEEEEvRNS_18TensorIteratorBaseERKT_EUlibE_EEviT1_ ; -- Begin function _ZN2at6native32elementwise_kernel_manual_unrollILi128ELi4EZNS0_22gpu_kernel_impl_nocastINS0_11FillFunctorIfEEEEvRNS_18TensorIteratorBaseERKT_EUlibE_EEviT1_
	.globl	_ZN2at6native32elementwise_kernel_manual_unrollILi128ELi4EZNS0_22gpu_kernel_impl_nocastINS0_11FillFunctorIfEEEEvRNS_18TensorIteratorBaseERKT_EUlibE_EEviT1_
	.p2align	8
	.type	_ZN2at6native32elementwise_kernel_manual_unrollILi128ELi4EZNS0_22gpu_kernel_impl_nocastINS0_11FillFunctorIfEEEEvRNS_18TensorIteratorBaseERKT_EUlibE_EEviT1_,@function
_ZN2at6native32elementwise_kernel_manual_unrollILi128ELi4EZNS0_22gpu_kernel_impl_nocastINS0_11FillFunctorIfEEEEvRNS_18TensorIteratorBaseERKT_EUlibE_EEviT1_: ; @_ZN2at6native32elementwise_kernel_manual_unrollILi128ELi4EZNS0_22gpu_kernel_impl_nocastINS0_11FillFunctorIfEEEEvRNS_18TensorIteratorBaseERKT_EUlibE_EEviT1_
; %bb.0:
	s_load_dword s48, s[4:5], 0x0
	s_load_dword s33, s[4:5], 0x8
	s_or_b32 s4, s4, 8
	v_lshl_or_b32 v4, s6, 9, v0
	v_or_b32_e32 v8, 0x180, v4
	s_waitcnt lgkmcnt(0)
	v_cmp_le_i32_e32 vcc, s48, v8
	s_add_i32 s46, s33, -1
	s_cmp_gt_u32 s46, 1
	s_cselect_b64 s[6:7], -1, 0
	s_and_saveexec_b64 s[0:1], vcc
	s_xor_b64 s[24:25], exec, s[0:1]
	s_cbranch_execz .LBB53_7
; %bb.1:
	s_load_dwordx4 s[0:3], s[4:5], 0x4
	s_load_dwordx2 s[30:31], s[4:5], 0x14
	s_load_dwordx2 s[28:29], s[4:5], 0xc4
	;; [unrolled: 1-line block ×3, first 2 shown]
	s_load_dword s47, s[4:5], 0x110
	s_cmp_lg_u32 s33, 0
	s_cselect_b64 s[38:39], -1, 0
	s_add_u32 s36, s4, 0xc4
	s_addc_u32 s37, s5, 0
	s_min_u32 s49, s46, 15
	s_cmp_gt_u32 s33, 1
	s_cselect_b64 s[34:35], -1, 0
	v_cmp_gt_i32_e32 vcc, s48, v4
	s_and_saveexec_b64 s[40:41], vcc
	s_cbranch_execz .LBB53_14
; %bb.2:
	s_andn2_b64 vcc, exec, s[6:7]
	s_cbranch_vccnz .LBB53_21
; %bb.3:
	s_andn2_b64 vcc, exec, s[38:39]
	s_cbranch_vccnz .LBB53_69
; %bb.4:
	s_add_i32 s51, s49, 1
	s_mov_b32 s50, 0
	s_cmp_eq_u32 s46, 2
	v_mov_b32_e32 v0, 0
	s_cbranch_scc1 .LBB53_71
; %bb.5:
	s_and_b32 s50, s51, 28
	s_mov_b32 s52, 0
	v_mov_b32_e32 v0, 0
	s_mov_b64 s[42:43], s[4:5]
	s_mov_b64 s[44:45], s[36:37]
	v_mov_b32_e32 v2, v4
.LBB53_6:                               ; =>This Inner Loop Header: Depth=1
	s_load_dwordx8 s[8:15], s[42:43], 0x4
	s_load_dwordx4 s[16:19], s[42:43], 0x24
	s_load_dwordx4 s[20:23], s[44:45], 0x0
	s_add_u32 s42, s42, 48
	s_addc_u32 s43, s43, 0
	s_waitcnt lgkmcnt(0)
	v_mul_hi_u32 v1, s9, v2
	v_add_u32_e32 v1, v2, v1
	v_lshrrev_b32_e32 v1, s10, v1
	v_mul_lo_u32 v3, v1, s8
	v_mul_hi_u32 v5, s12, v1
	v_sub_u32_e32 v2, v2, v3
	v_add_u32_e32 v3, v1, v5
	v_lshrrev_b32_e32 v3, s13, v3
	v_mul_lo_u32 v5, v3, s11
	v_mul_hi_u32 v6, s15, v3
	v_sub_u32_e32 v1, v1, v5
	v_add_u32_e32 v5, v3, v6
	v_mul_lo_u32 v2, v2, s20
	v_mul_lo_u32 v1, v1, s21
	v_lshrrev_b32_e32 v5, s16, v5
	v_add3_u32 v0, v2, v0, v1
	v_mul_hi_u32 v2, s18, v5
	v_add_u32_e32 v2, v5, v2
	v_mul_lo_u32 v1, v5, s14
	v_lshrrev_b32_e32 v2, s19, v2
	s_add_i32 s52, s52, 4
	v_sub_u32_e32 v1, v3, v1
	v_mul_lo_u32 v3, v2, s17
	s_add_u32 s44, s44, 16
	v_sub_u32_e32 v3, v5, v3
	s_addc_u32 s45, s45, 0
	v_mul_lo_u32 v1, v1, s22
	v_mul_lo_u32 v3, v3, s23
	s_cmp_lg_u32 s50, s52
	v_add3_u32 v0, v1, v0, v3
	s_cbranch_scc1 .LBB53_6
	s_branch .LBB53_72
.LBB53_7:
	s_andn2_saveexec_b64 s[0:1], s[24:25]
	s_cbranch_execz .LBB53_97
.LBB53_8:
	v_cndmask_b32_e64 v0, 0, 1, s[6:7]
	v_cmp_ne_u32_e64 s[0:1], 1, v0
	s_andn2_b64 vcc, exec, s[6:7]
	s_cbranch_vccnz .LBB53_20
; %bb.9:
	s_mov_b32 s24, 0
	s_cmp_eq_u32 s33, 0
	v_mov_b32_e32 v0, 0
	s_cbranch_scc1 .LBB53_26
; %bb.10:
	s_min_u32 s25, s46, 15
	s_add_i32 s25, s25, 1
	s_cmp_eq_u32 s46, 2
	v_mov_b32_e32 v0, 0
	s_cbranch_scc1 .LBB53_23
; %bb.11:
	s_add_u32 s2, s4, 0xc4
	s_addc_u32 s3, s5, 0
	s_and_b32 s24, s25, 28
	s_mov_b32 s26, 0
	v_mov_b32_e32 v0, 0
	s_mov_b64 s[6:7], s[4:5]
	v_mov_b32_e32 v2, v4
.LBB53_12:                              ; =>This Inner Loop Header: Depth=1
	s_load_dwordx8 s[8:15], s[6:7], 0x4
	s_load_dwordx4 s[16:19], s[6:7], 0x24
	s_load_dwordx4 s[20:23], s[2:3], 0x0
	s_add_u32 s6, s6, 48
	s_addc_u32 s7, s7, 0
	s_waitcnt lgkmcnt(0)
	v_mul_hi_u32 v1, s9, v2
	v_add_u32_e32 v1, v2, v1
	v_lshrrev_b32_e32 v1, s10, v1
	v_mul_lo_u32 v3, v1, s8
	v_mul_hi_u32 v5, s12, v1
	v_sub_u32_e32 v2, v2, v3
	v_add_u32_e32 v3, v1, v5
	v_lshrrev_b32_e32 v3, s13, v3
	v_mul_lo_u32 v5, v3, s11
	v_mul_hi_u32 v6, s15, v3
	v_sub_u32_e32 v1, v1, v5
	v_add_u32_e32 v5, v3, v6
	v_mul_lo_u32 v2, v2, s20
	v_mul_lo_u32 v1, v1, s21
	v_lshrrev_b32_e32 v5, s16, v5
	v_add3_u32 v0, v2, v0, v1
	v_mul_hi_u32 v2, s18, v5
	v_add_u32_e32 v2, v5, v2
	v_mul_lo_u32 v1, v5, s14
	v_lshrrev_b32_e32 v2, s19, v2
	s_add_i32 s26, s26, 4
	v_sub_u32_e32 v1, v3, v1
	v_mul_lo_u32 v3, v2, s17
	s_add_u32 s2, s2, 16
	v_sub_u32_e32 v3, v5, v3
	s_addc_u32 s3, s3, 0
	v_mul_lo_u32 v1, v1, s22
	v_mul_lo_u32 v3, v3, s23
	s_cmp_lg_u32 s24, s26
	v_add3_u32 v0, v1, v0, v3
	s_cbranch_scc1 .LBB53_12
; %bb.13:
	s_and_b32 s8, s25, 3
	s_cmp_eq_u32 s8, 0
	s_cbranch_scc0 .LBB53_24
	s_branch .LBB53_26
.LBB53_14:
	s_or_b64 exec, exec, s[40:41]
	v_cmp_gt_i32_e32 vcc, s48, v4
	s_and_saveexec_b64 s[40:41], vcc
	s_cbranch_execz .LBB53_79
.LBB53_15:
	s_andn2_b64 vcc, exec, s[6:7]
	s_cbranch_vccnz .LBB53_22
; %bb.16:
	s_andn2_b64 vcc, exec, s[38:39]
	s_cbranch_vccnz .LBB53_70
; %bb.17:
	s_add_i32 s51, s49, 1
	s_mov_b32 s50, 0
	s_cmp_eq_u32 s46, 2
	v_mov_b32_e32 v0, 0
	s_cbranch_scc1 .LBB53_87
; %bb.18:
	s_and_b32 s50, s51, 28
	s_mov_b32 s52, 0
	v_mov_b32_e32 v0, 0
	s_mov_b64 s[42:43], s[4:5]
	s_mov_b64 s[44:45], s[36:37]
	v_mov_b32_e32 v2, v4
.LBB53_19:                              ; =>This Inner Loop Header: Depth=1
	s_load_dwordx8 s[8:15], s[42:43], 0x4
	s_load_dwordx4 s[16:19], s[42:43], 0x24
	s_load_dwordx4 s[20:23], s[44:45], 0x0
	s_add_u32 s42, s42, 48
	s_addc_u32 s43, s43, 0
	s_waitcnt lgkmcnt(0)
	v_mul_hi_u32 v1, s9, v2
	v_add_u32_e32 v1, v2, v1
	v_lshrrev_b32_e32 v1, s10, v1
	v_mul_lo_u32 v3, v1, s8
	v_mul_hi_u32 v5, s12, v1
	v_sub_u32_e32 v2, v2, v3
	v_add_u32_e32 v3, v1, v5
	v_lshrrev_b32_e32 v3, s13, v3
	v_mul_lo_u32 v5, v3, s11
	v_mul_hi_u32 v6, s15, v3
	v_sub_u32_e32 v1, v1, v5
	v_add_u32_e32 v5, v3, v6
	v_mul_lo_u32 v2, v2, s20
	v_mul_lo_u32 v1, v1, s21
	v_lshrrev_b32_e32 v5, s16, v5
	v_add3_u32 v0, v2, v0, v1
	v_mul_hi_u32 v2, s18, v5
	v_add_u32_e32 v2, v5, v2
	v_mul_lo_u32 v1, v5, s14
	v_lshrrev_b32_e32 v2, s19, v2
	s_add_i32 s52, s52, 4
	v_sub_u32_e32 v1, v3, v1
	v_mul_lo_u32 v3, v2, s17
	s_add_u32 s44, s44, 16
	v_sub_u32_e32 v3, v5, v3
	s_addc_u32 s45, s45, 0
	v_mul_lo_u32 v1, v1, s22
	v_mul_lo_u32 v3, v3, s23
	s_cmp_eq_u32 s50, s52
	v_add3_u32 v0, v1, v0, v3
	s_cbranch_scc0 .LBB53_19
	s_branch .LBB53_88
.LBB53_20:
                                        ; implicit-def: $vgpr0
	s_branch .LBB53_27
.LBB53_21:
                                        ; implicit-def: $vgpr0
	s_branch .LBB53_76
.LBB53_22:
                                        ; implicit-def: $vgpr0
	s_branch .LBB53_92
.LBB53_23:
	v_mov_b32_e32 v2, v4
	s_and_b32 s8, s25, 3
	s_cmp_eq_u32 s8, 0
	s_cbranch_scc1 .LBB53_26
.LBB53_24:
	s_lshl_b32 s2, s24, 2
	s_add_u32 s2, s2, s4
	s_addc_u32 s3, 0, s5
	s_add_u32 s2, s2, 0xc4
	s_addc_u32 s3, s3, 0
	s_mul_i32 s6, s24, 12
	s_add_u32 s6, s4, s6
	s_addc_u32 s7, 0, s5
.LBB53_25:                              ; =>This Inner Loop Header: Depth=1
	s_load_dwordx2 s[10:11], s[6:7], 0x4
	s_load_dword s9, s[6:7], 0xc
	s_load_dword s12, s[2:3], 0x0
	s_add_u32 s6, s6, 12
	s_addc_u32 s7, s7, 0
	s_waitcnt lgkmcnt(0)
	v_mul_hi_u32 v1, s11, v2
	v_add_u32_e32 v1, v2, v1
	v_lshrrev_b32_e32 v1, s9, v1
	s_add_u32 s2, s2, 4
	v_mul_lo_u32 v3, v1, s10
	s_addc_u32 s3, s3, 0
	s_add_i32 s8, s8, -1
	v_sub_u32_e32 v3, v2, v3
	s_cmp_lg_u32 s8, 0
	v_mov_b32_e32 v2, v1
	v_mad_u64_u32 v[0:1], s[10:11], v3, s12, v[0:1]
	s_cbranch_scc1 .LBB53_25
.LBB53_26:
	s_cbranch_execnz .LBB53_29
.LBB53_27:
	s_load_dwordx4 s[8:11], s[4:5], 0x4
	s_load_dword s2, s[4:5], 0xc4
	s_cmp_lt_u32 s33, 2
	s_waitcnt lgkmcnt(0)
	v_mul_hi_u32 v0, s9, v4
	v_add_u32_e32 v0, v4, v0
	v_lshrrev_b32_e32 v1, s10, v0
	v_mul_lo_u32 v0, v1, s8
	v_sub_u32_e32 v0, v4, v0
	v_mul_lo_u32 v0, v0, s2
	s_cbranch_scc1 .LBB53_29
; %bb.28:
	s_load_dwordx4 s[8:11], s[4:5], 0x10
	s_load_dword s2, s[4:5], 0xc8
	s_waitcnt lgkmcnt(0)
	v_mul_hi_u32 v2, s9, v1
	v_add_u32_e32 v2, v1, v2
	v_lshrrev_b32_e32 v2, s10, v2
	v_mul_lo_u32 v2, v2, s8
	v_sub_u32_e32 v1, v1, v2
	v_mad_u64_u32 v[0:1], s[2:3], v1, s2, v[0:1]
.LBB53_29:
	s_and_b64 vcc, exec, s[0:1]
	v_add_u32_e32 v1, 0x80, v4
	s_cbranch_vccnz .LBB53_35
; %bb.30:
	s_mov_b32 s24, 0
	s_cmp_eq_u32 s33, 0
	v_mov_b32_e32 v2, 0
	s_cbranch_scc1 .LBB53_39
; %bb.31:
	s_min_u32 s25, s46, 15
	s_add_i32 s25, s25, 1
	s_cmp_eq_u32 s46, 2
	v_mov_b32_e32 v2, 0
	s_cbranch_scc1 .LBB53_36
; %bb.32:
	s_add_u32 s2, s4, 0xc4
	s_addc_u32 s3, s5, 0
	s_and_b32 s24, s25, 28
	s_mov_b32 s26, 0
	v_mov_b32_e32 v2, 0
	s_mov_b64 s[6:7], s[4:5]
	v_mov_b32_e32 v5, v1
.LBB53_33:                              ; =>This Inner Loop Header: Depth=1
	s_load_dwordx8 s[8:15], s[6:7], 0x4
	s_load_dwordx4 s[16:19], s[6:7], 0x24
	s_load_dwordx4 s[20:23], s[2:3], 0x0
	s_add_u32 s6, s6, 48
	s_addc_u32 s7, s7, 0
	s_waitcnt lgkmcnt(0)
	v_mul_hi_u32 v3, s9, v5
	v_add_u32_e32 v3, v5, v3
	v_lshrrev_b32_e32 v3, s10, v3
	v_mul_lo_u32 v6, v3, s8
	v_mul_hi_u32 v7, s12, v3
	v_sub_u32_e32 v5, v5, v6
	v_add_u32_e32 v6, v3, v7
	v_lshrrev_b32_e32 v6, s13, v6
	v_mul_lo_u32 v7, v6, s11
	v_mul_hi_u32 v9, s15, v6
	v_sub_u32_e32 v3, v3, v7
	v_add_u32_e32 v7, v6, v9
	v_mul_lo_u32 v5, v5, s20
	v_mul_lo_u32 v3, v3, s21
	v_lshrrev_b32_e32 v7, s16, v7
	v_add3_u32 v2, v5, v2, v3
	v_mul_hi_u32 v5, s18, v7
	v_add_u32_e32 v5, v7, v5
	v_mul_lo_u32 v3, v7, s14
	v_lshrrev_b32_e32 v5, s19, v5
	s_add_i32 s26, s26, 4
	v_sub_u32_e32 v3, v6, v3
	v_mul_lo_u32 v6, v5, s17
	s_add_u32 s2, s2, 16
	v_sub_u32_e32 v6, v7, v6
	s_addc_u32 s3, s3, 0
	v_mul_lo_u32 v3, v3, s22
	v_mul_lo_u32 v6, v6, s23
	s_cmp_lg_u32 s24, s26
	v_add3_u32 v2, v3, v2, v6
	s_cbranch_scc1 .LBB53_33
; %bb.34:
	s_and_b32 s8, s25, 3
	s_cmp_eq_u32 s8, 0
	s_cbranch_scc0 .LBB53_37
	s_branch .LBB53_39
.LBB53_35:
                                        ; implicit-def: $vgpr2
	s_branch .LBB53_40
.LBB53_36:
	v_mov_b32_e32 v5, v1
	s_and_b32 s8, s25, 3
	s_cmp_eq_u32 s8, 0
	s_cbranch_scc1 .LBB53_39
.LBB53_37:
	s_lshl_b32 s2, s24, 2
	s_add_u32 s2, s2, s4
	s_addc_u32 s3, 0, s5
	s_add_u32 s2, s2, 0xc4
	s_addc_u32 s3, s3, 0
	s_mul_i32 s6, s24, 12
	s_add_u32 s6, s4, s6
	s_addc_u32 s7, 0, s5
.LBB53_38:                              ; =>This Inner Loop Header: Depth=1
	s_load_dwordx2 s[10:11], s[6:7], 0x4
	s_load_dword s9, s[6:7], 0xc
	s_load_dword s12, s[2:3], 0x0
	s_add_u32 s6, s6, 12
	s_addc_u32 s7, s7, 0
	s_waitcnt lgkmcnt(0)
	v_mul_hi_u32 v3, s11, v5
	v_add_u32_e32 v3, v5, v3
	v_lshrrev_b32_e32 v3, s9, v3
	s_add_u32 s2, s2, 4
	v_mul_lo_u32 v6, v3, s10
	s_addc_u32 s3, s3, 0
	s_add_i32 s8, s8, -1
	v_sub_u32_e32 v6, v5, v6
	s_cmp_lg_u32 s8, 0
	v_mov_b32_e32 v5, v3
	v_mad_u64_u32 v[2:3], s[10:11], v6, s12, v[2:3]
	s_cbranch_scc1 .LBB53_38
.LBB53_39:
	s_cbranch_execnz .LBB53_42
.LBB53_40:
	s_load_dwordx4 s[8:11], s[4:5], 0x4
	s_load_dword s2, s[4:5], 0xc4
	s_cmp_lt_u32 s33, 2
	s_waitcnt lgkmcnt(0)
	v_mul_hi_u32 v2, s9, v1
	v_add_u32_e32 v2, v1, v2
	v_lshrrev_b32_e32 v3, s10, v2
	v_mul_lo_u32 v2, v3, s8
	v_sub_u32_e32 v1, v1, v2
	v_mul_lo_u32 v2, v1, s2
	s_cbranch_scc1 .LBB53_42
; %bb.41:
	s_load_dwordx4 s[8:11], s[4:5], 0x10
	s_load_dword s2, s[4:5], 0xc8
	s_waitcnt lgkmcnt(0)
	v_mul_hi_u32 v1, s9, v3
	v_add_u32_e32 v1, v3, v1
	v_lshrrev_b32_e32 v1, s10, v1
	v_mul_lo_u32 v1, v1, s8
	v_sub_u32_e32 v1, v3, v1
	v_mad_u64_u32 v[2:3], s[2:3], v1, s2, v[2:3]
.LBB53_42:
	s_and_b64 vcc, exec, s[0:1]
	v_add_u32_e32 v1, 0x100, v4
	s_cbranch_vccnz .LBB53_48
; %bb.43:
	s_mov_b32 s24, 0
	s_cmp_eq_u32 s33, 0
	v_mov_b32_e32 v4, 0
	s_cbranch_scc1 .LBB53_52
; %bb.44:
	s_min_u32 s25, s46, 15
	s_add_i32 s25, s25, 1
	s_cmp_eq_u32 s46, 2
	v_mov_b32_e32 v4, 0
	s_cbranch_scc1 .LBB53_49
; %bb.45:
	s_add_u32 s2, s4, 0xc4
	s_addc_u32 s3, s5, 0
	s_and_b32 s24, s25, 28
	s_mov_b32 s26, 0
	v_mov_b32_e32 v4, 0
	s_mov_b64 s[6:7], s[4:5]
	v_mov_b32_e32 v3, v1
.LBB53_46:                              ; =>This Inner Loop Header: Depth=1
	s_load_dwordx8 s[8:15], s[6:7], 0x4
	s_load_dwordx4 s[16:19], s[6:7], 0x24
	s_load_dwordx4 s[20:23], s[2:3], 0x0
	s_add_u32 s6, s6, 48
	s_addc_u32 s7, s7, 0
	s_waitcnt lgkmcnt(0)
	v_mul_hi_u32 v5, s9, v3
	v_add_u32_e32 v5, v3, v5
	v_lshrrev_b32_e32 v5, s10, v5
	v_mul_lo_u32 v6, v5, s8
	v_mul_hi_u32 v7, s12, v5
	v_sub_u32_e32 v3, v3, v6
	v_add_u32_e32 v6, v5, v7
	v_lshrrev_b32_e32 v6, s13, v6
	v_mul_lo_u32 v7, v6, s11
	v_mul_hi_u32 v9, s15, v6
	v_sub_u32_e32 v5, v5, v7
	v_add_u32_e32 v7, v6, v9
	v_mul_lo_u32 v3, v3, s20
	v_mul_lo_u32 v5, v5, s21
	v_lshrrev_b32_e32 v7, s16, v7
	v_add3_u32 v4, v3, v4, v5
	v_mul_lo_u32 v3, v7, s14
	v_mul_hi_u32 v5, s18, v7
	v_sub_u32_e32 v3, v6, v3
	v_add_u32_e32 v5, v7, v5
	v_mul_lo_u32 v6, v3, s22
	v_lshrrev_b32_e32 v3, s19, v5
	s_add_i32 s26, s26, 4
	v_mul_lo_u32 v5, v3, s17
	s_add_u32 s2, s2, 16
	v_sub_u32_e32 v5, v7, v5
	s_addc_u32 s3, s3, 0
	v_mul_lo_u32 v5, v5, s23
	s_cmp_lg_u32 s24, s26
	v_add3_u32 v4, v6, v4, v5
	s_cbranch_scc1 .LBB53_46
; %bb.47:
	s_and_b32 s8, s25, 3
	s_cmp_eq_u32 s8, 0
	s_cbranch_scc0 .LBB53_50
	s_branch .LBB53_52
.LBB53_48:
                                        ; implicit-def: $vgpr4
	s_branch .LBB53_53
.LBB53_49:
	v_mov_b32_e32 v3, v1
	s_and_b32 s8, s25, 3
	s_cmp_eq_u32 s8, 0
	s_cbranch_scc1 .LBB53_52
.LBB53_50:
	s_lshl_b32 s2, s24, 2
	s_add_u32 s2, s2, s4
	s_addc_u32 s3, 0, s5
	s_add_u32 s2, s2, 0xc4
	s_addc_u32 s3, s3, 0
	s_mul_i32 s6, s24, 12
	s_add_u32 s6, s4, s6
	s_addc_u32 s7, 0, s5
.LBB53_51:                              ; =>This Inner Loop Header: Depth=1
	s_load_dwordx2 s[10:11], s[6:7], 0x4
	s_load_dword s9, s[6:7], 0xc
	s_load_dword s12, s[2:3], 0x0
	s_add_u32 s6, s6, 12
	s_addc_u32 s7, s7, 0
	s_waitcnt lgkmcnt(0)
	v_mul_hi_u32 v5, s11, v3
	v_add_u32_e32 v5, v3, v5
	v_lshrrev_b32_e32 v5, s9, v5
	s_add_u32 s2, s2, 4
	v_mul_lo_u32 v6, v5, s10
	s_addc_u32 s3, s3, 0
	s_add_i32 s8, s8, -1
	v_sub_u32_e32 v6, v3, v6
	s_cmp_lg_u32 s8, 0
	v_mov_b32_e32 v3, v5
	v_mad_u64_u32 v[4:5], s[10:11], v6, s12, v[4:5]
	s_cbranch_scc1 .LBB53_51
.LBB53_52:
	s_cbranch_execnz .LBB53_55
.LBB53_53:
	s_load_dwordx4 s[8:11], s[4:5], 0x4
	s_load_dword s2, s[4:5], 0xc4
	s_cmp_lt_u32 s33, 2
	s_waitcnt lgkmcnt(0)
	v_mul_hi_u32 v3, s9, v1
	v_add_u32_e32 v3, v1, v3
	v_lshrrev_b32_e32 v3, s10, v3
	v_mul_lo_u32 v4, v3, s8
	v_sub_u32_e32 v1, v1, v4
	v_mul_lo_u32 v4, v1, s2
	s_cbranch_scc1 .LBB53_55
; %bb.54:
	s_load_dwordx4 s[8:11], s[4:5], 0x10
	s_load_dword s2, s[4:5], 0xc8
	s_waitcnt lgkmcnt(0)
	v_mul_hi_u32 v1, s9, v3
	v_add_u32_e32 v1, v3, v1
	v_lshrrev_b32_e32 v1, s10, v1
	v_mul_lo_u32 v1, v1, s8
	v_sub_u32_e32 v1, v3, v1
	v_mad_u64_u32 v[4:5], s[2:3], v1, s2, v[4:5]
.LBB53_55:
	s_and_b64 vcc, exec, s[0:1]
	s_cbranch_vccnz .LBB53_61
; %bb.56:
	s_mov_b32 s22, 0
	s_cmp_eq_u32 s33, 0
	v_mov_b32_e32 v6, 0
	s_cbranch_scc1 .LBB53_65
; %bb.57:
	s_min_u32 s23, s46, 15
	s_add_i32 s23, s23, 1
	s_cmp_eq_u32 s46, 2
	v_mov_b32_e32 v6, 0
	s_cbranch_scc1 .LBB53_62
; %bb.58:
	s_add_u32 s6, s4, 0xc4
	s_addc_u32 s7, s5, 0
	s_and_b32 s22, s23, 28
	s_mov_b32 s24, 0
	v_mov_b32_e32 v6, 0
	s_mov_b64 s[20:21], s[4:5]
	v_mov_b32_e32 v1, v8
.LBB53_59:                              ; =>This Inner Loop Header: Depth=1
	s_load_dwordx8 s[8:15], s[20:21], 0x4
	s_load_dwordx4 s[0:3], s[20:21], 0x24
	s_load_dwordx4 s[16:19], s[6:7], 0x0
	s_add_u32 s20, s20, 48
	s_addc_u32 s21, s21, 0
	s_waitcnt lgkmcnt(0)
	v_mul_hi_u32 v3, s9, v1
	v_add_u32_e32 v3, v1, v3
	v_lshrrev_b32_e32 v3, s10, v3
	v_mul_lo_u32 v5, v3, s8
	v_mul_hi_u32 v7, s12, v3
	v_sub_u32_e32 v1, v1, v5
	v_add_u32_e32 v5, v3, v7
	v_lshrrev_b32_e32 v5, s13, v5
	v_mul_lo_u32 v7, v5, s11
	v_mul_hi_u32 v9, s15, v5
	v_sub_u32_e32 v3, v3, v7
	v_add_u32_e32 v7, v5, v9
	v_mul_lo_u32 v1, v1, s16
	v_mul_lo_u32 v3, v3, s17
	v_lshrrev_b32_e32 v7, s0, v7
	v_add3_u32 v3, v1, v6, v3
	v_mul_lo_u32 v1, v7, s14
	v_mul_hi_u32 v6, s2, v7
	v_sub_u32_e32 v1, v5, v1
	v_add_u32_e32 v5, v7, v6
	v_mul_lo_u32 v6, v1, s18
	v_lshrrev_b32_e32 v1, s3, v5
	s_add_i32 s24, s24, 4
	v_mul_lo_u32 v5, v1, s1
	s_add_u32 s6, s6, 16
	v_sub_u32_e32 v5, v7, v5
	s_addc_u32 s7, s7, 0
	v_mul_lo_u32 v5, v5, s19
	s_cmp_lg_u32 s22, s24
	v_add3_u32 v6, v6, v3, v5
	s_cbranch_scc1 .LBB53_59
; %bb.60:
	s_and_b32 s6, s23, 3
	s_cmp_eq_u32 s6, 0
	s_cbranch_scc0 .LBB53_63
	s_branch .LBB53_65
.LBB53_61:
                                        ; implicit-def: $vgpr6
	s_branch .LBB53_66
.LBB53_62:
	v_mov_b32_e32 v1, v8
	s_and_b32 s6, s23, 3
	s_cmp_eq_u32 s6, 0
	s_cbranch_scc1 .LBB53_65
.LBB53_63:
	s_lshl_b32 s0, s22, 2
	s_add_u32 s0, s0, s4
	s_addc_u32 s1, 0, s5
	s_add_u32 s0, s0, 0xc4
	s_addc_u32 s1, s1, 0
	s_mul_i32 s2, s22, 12
	s_add_u32 s2, s4, s2
	s_addc_u32 s3, 0, s5
.LBB53_64:                              ; =>This Inner Loop Header: Depth=1
	s_load_dwordx2 s[8:9], s[2:3], 0x4
	s_load_dword s7, s[2:3], 0xc
	s_load_dword s10, s[0:1], 0x0
	s_add_u32 s2, s2, 12
	s_addc_u32 s3, s3, 0
	s_waitcnt lgkmcnt(0)
	v_mul_hi_u32 v3, s9, v1
	v_add_u32_e32 v3, v1, v3
	v_lshrrev_b32_e32 v3, s7, v3
	s_add_u32 s0, s0, 4
	v_mul_lo_u32 v5, v3, s8
	s_addc_u32 s1, s1, 0
	s_add_i32 s6, s6, -1
	v_sub_u32_e32 v5, v1, v5
	s_cmp_lg_u32 s6, 0
	v_mov_b32_e32 v1, v3
	v_mad_u64_u32 v[6:7], s[8:9], v5, s10, v[6:7]
	s_cbranch_scc1 .LBB53_64
.LBB53_65:
	s_cbranch_execnz .LBB53_68
.LBB53_66:
	s_load_dwordx4 s[0:3], s[4:5], 0x4
	s_waitcnt lgkmcnt(0)
	s_load_dword s3, s[4:5], 0xc4
	s_cmp_lt_u32 s33, 2
	v_mul_hi_u32 v1, s1, v8
	v_add_u32_e32 v1, v8, v1
	v_lshrrev_b32_e32 v1, s2, v1
	v_mul_lo_u32 v3, v1, s0
	v_sub_u32_e32 v3, v8, v3
	s_waitcnt lgkmcnt(0)
	v_mul_lo_u32 v6, v3, s3
	s_cbranch_scc1 .LBB53_68
; %bb.67:
	s_load_dwordx4 s[0:3], s[4:5], 0x10
	s_waitcnt lgkmcnt(0)
	s_load_dword s3, s[4:5], 0xc8
	v_mul_hi_u32 v3, s1, v1
	v_add_u32_e32 v3, v1, v3
	v_lshrrev_b32_e32 v3, s2, v3
	v_mul_lo_u32 v3, v3, s0
	v_sub_u32_e32 v1, v1, v3
	s_waitcnt lgkmcnt(0)
	v_mad_u64_u32 v[6:7], s[0:1], v1, s3, v[6:7]
.LBB53_68:
	s_load_dword s2, s[4:5], 0x110
	s_load_dwordx2 s[0:1], s[4:5], 0x108
	s_waitcnt lgkmcnt(0)
	v_mov_b32_e32 v1, s2
	s_nop 0
	global_store_dword v0, v1, s[0:1]
	global_store_dword v2, v1, s[0:1]
	;; [unrolled: 1-line block ×4, first 2 shown]
	s_endpgm
.LBB53_69:
	v_mov_b32_e32 v0, 0
	s_branch .LBB53_75
.LBB53_70:
	v_mov_b32_e32 v0, 0
	s_branch .LBB53_91
.LBB53_71:
	v_mov_b32_e32 v2, v4
.LBB53_72:
	s_and_b32 s12, s51, 3
	s_cmp_eq_u32 s12, 0
	s_cbranch_scc1 .LBB53_75
; %bb.73:
	s_lshl_b32 s8, s50, 2
	s_add_u32 s8, s8, s4
	s_addc_u32 s9, s5, 0
	s_add_u32 s8, s8, 0xc4
	s_addc_u32 s9, s9, 0
	s_mul_i32 s10, s50, 12
	s_add_u32 s10, s4, s10
	s_addc_u32 s11, s5, 0
.LBB53_74:                              ; =>This Inner Loop Header: Depth=1
	s_load_dwordx2 s[14:15], s[10:11], 0x4
	s_load_dword s13, s[10:11], 0xc
	s_load_dword s16, s[8:9], 0x0
	s_add_u32 s10, s10, 12
	s_addc_u32 s11, s11, 0
	s_waitcnt lgkmcnt(0)
	v_mul_hi_u32 v1, s15, v2
	v_add_u32_e32 v1, v2, v1
	v_lshrrev_b32_e32 v1, s13, v1
	s_add_u32 s8, s8, 4
	v_mul_lo_u32 v3, v1, s14
	s_addc_u32 s9, s9, 0
	s_add_i32 s12, s12, -1
	v_sub_u32_e32 v3, v2, v3
	s_cmp_lg_u32 s12, 0
	v_mov_b32_e32 v2, v1
	v_mad_u64_u32 v[0:1], s[14:15], v3, s16, v[0:1]
	s_cbranch_scc1 .LBB53_74
.LBB53_75:
	s_cbranch_execnz .LBB53_78
.LBB53_76:
	s_waitcnt lgkmcnt(0)
	v_mul_hi_u32 v0, s1, v4
	v_add_u32_e32 v0, v4, v0
	v_lshrrev_b32_e32 v1, s2, v0
	v_mul_lo_u32 v0, v1, s0
	v_sub_u32_e32 v0, v4, v0
	s_andn2_b64 vcc, exec, s[34:35]
	v_mul_lo_u32 v0, v0, s28
	s_cbranch_vccnz .LBB53_78
; %bb.77:
	v_mul_hi_u32 v2, s30, v1
	v_add_u32_e32 v2, v1, v2
	v_lshrrev_b32_e32 v2, s31, v2
	v_mul_lo_u32 v2, v2, s3
	v_sub_u32_e32 v1, v1, v2
	v_mad_u64_u32 v[0:1], s[8:9], v1, s29, v[0:1]
.LBB53_78:
	s_waitcnt lgkmcnt(0)
	v_mov_b32_e32 v1, s47
	v_add_u32_e32 v4, 0x80, v4
	global_store_dword v0, v1, s[26:27]
	s_or_b64 exec, exec, s[40:41]
	v_cmp_gt_i32_e32 vcc, s48, v4
	s_and_saveexec_b64 s[40:41], vcc
	s_cbranch_execnz .LBB53_15
.LBB53_79:
	s_or_b64 exec, exec, s[40:41]
	v_cmp_gt_i32_e32 vcc, s48, v4
	s_and_saveexec_b64 s[40:41], vcc
	s_cbranch_execz .LBB53_95
.LBB53_80:
	s_andn2_b64 vcc, exec, s[6:7]
	s_cbranch_vccnz .LBB53_85
; %bb.81:
	s_andn2_b64 vcc, exec, s[38:39]
	s_cbranch_vccnz .LBB53_86
; %bb.82:
	s_add_i32 s51, s49, 1
	s_mov_b32 s50, 0
	s_cmp_eq_u32 s46, 2
	v_mov_b32_e32 v0, 0
	s_cbranch_scc1 .LBB53_98
; %bb.83:
	s_and_b32 s50, s51, 28
	s_mov_b32 s52, 0
	v_mov_b32_e32 v0, 0
	s_mov_b64 s[42:43], s[4:5]
	s_mov_b64 s[44:45], s[36:37]
	v_mov_b32_e32 v2, v4
.LBB53_84:                              ; =>This Inner Loop Header: Depth=1
	s_load_dwordx8 s[8:15], s[42:43], 0x4
	s_load_dwordx4 s[16:19], s[42:43], 0x24
	s_load_dwordx4 s[20:23], s[44:45], 0x0
	s_add_u32 s42, s42, 48
	s_addc_u32 s43, s43, 0
	s_waitcnt lgkmcnt(0)
	v_mul_hi_u32 v1, s9, v2
	v_add_u32_e32 v1, v2, v1
	v_lshrrev_b32_e32 v1, s10, v1
	v_mul_lo_u32 v3, v1, s8
	v_mul_hi_u32 v5, s12, v1
	v_sub_u32_e32 v2, v2, v3
	v_add_u32_e32 v3, v1, v5
	v_lshrrev_b32_e32 v3, s13, v3
	v_mul_lo_u32 v5, v3, s11
	v_mul_hi_u32 v6, s15, v3
	v_sub_u32_e32 v1, v1, v5
	v_add_u32_e32 v5, v3, v6
	v_mul_lo_u32 v2, v2, s20
	v_mul_lo_u32 v1, v1, s21
	v_lshrrev_b32_e32 v5, s16, v5
	v_add3_u32 v0, v2, v0, v1
	v_mul_hi_u32 v2, s18, v5
	v_add_u32_e32 v2, v5, v2
	v_mul_lo_u32 v1, v5, s14
	v_lshrrev_b32_e32 v2, s19, v2
	s_add_i32 s52, s52, 4
	v_sub_u32_e32 v1, v3, v1
	v_mul_lo_u32 v3, v2, s17
	s_add_u32 s44, s44, 16
	v_sub_u32_e32 v3, v5, v3
	s_addc_u32 s45, s45, 0
	v_mul_lo_u32 v1, v1, s22
	v_mul_lo_u32 v3, v3, s23
	s_cmp_eq_u32 s50, s52
	v_add3_u32 v0, v1, v0, v3
	s_cbranch_scc0 .LBB53_84
	s_branch .LBB53_99
.LBB53_85:
                                        ; implicit-def: $vgpr0
	s_branch .LBB53_103
.LBB53_86:
	v_mov_b32_e32 v0, 0
	s_branch .LBB53_102
.LBB53_87:
	v_mov_b32_e32 v2, v4
.LBB53_88:
	s_and_b32 s12, s51, 3
	s_cmp_eq_u32 s12, 0
	s_cbranch_scc1 .LBB53_91
; %bb.89:
	s_lshl_b32 s8, s50, 2
	s_add_u32 s8, s8, s4
	s_addc_u32 s9, s5, 0
	s_add_u32 s8, s8, 0xc4
	s_addc_u32 s9, s9, 0
	s_mul_i32 s10, s50, 12
	s_add_u32 s10, s4, s10
	s_addc_u32 s11, s5, 0
.LBB53_90:                              ; =>This Inner Loop Header: Depth=1
	s_load_dwordx2 s[14:15], s[10:11], 0x4
	s_load_dword s13, s[10:11], 0xc
	s_load_dword s16, s[8:9], 0x0
	s_add_u32 s10, s10, 12
	s_addc_u32 s11, s11, 0
	s_waitcnt lgkmcnt(0)
	v_mul_hi_u32 v1, s15, v2
	v_add_u32_e32 v1, v2, v1
	v_lshrrev_b32_e32 v1, s13, v1
	s_add_u32 s8, s8, 4
	v_mul_lo_u32 v3, v1, s14
	s_addc_u32 s9, s9, 0
	s_add_i32 s12, s12, -1
	v_sub_u32_e32 v3, v2, v3
	s_cmp_lg_u32 s12, 0
	v_mov_b32_e32 v2, v1
	v_mad_u64_u32 v[0:1], s[14:15], v3, s16, v[0:1]
	s_cbranch_scc1 .LBB53_90
.LBB53_91:
	s_cbranch_execnz .LBB53_94
.LBB53_92:
	s_waitcnt lgkmcnt(0)
	v_mul_hi_u32 v0, s1, v4
	v_add_u32_e32 v0, v4, v0
	v_lshrrev_b32_e32 v1, s2, v0
	v_mul_lo_u32 v0, v1, s0
	v_sub_u32_e32 v0, v4, v0
	s_andn2_b64 vcc, exec, s[34:35]
	v_mul_lo_u32 v0, v0, s28
	s_cbranch_vccnz .LBB53_94
; %bb.93:
	v_mul_hi_u32 v2, s30, v1
	v_add_u32_e32 v2, v1, v2
	v_lshrrev_b32_e32 v2, s31, v2
	v_mul_lo_u32 v2, v2, s3
	v_sub_u32_e32 v1, v1, v2
	v_mad_u64_u32 v[0:1], s[8:9], v1, s29, v[0:1]
.LBB53_94:
	s_waitcnt lgkmcnt(0)
	v_mov_b32_e32 v1, s47
	v_add_u32_e32 v4, 0x80, v4
	global_store_dword v0, v1, s[26:27]
	s_or_b64 exec, exec, s[40:41]
	v_cmp_gt_i32_e32 vcc, s48, v4
	s_and_saveexec_b64 s[40:41], vcc
	s_cbranch_execnz .LBB53_80
.LBB53_95:
	s_or_b64 exec, exec, s[40:41]
	v_cmp_gt_i32_e32 vcc, s48, v4
	s_and_saveexec_b64 s[40:41], vcc
	s_cbranch_execnz .LBB53_106
.LBB53_96:
	s_or_b64 exec, exec, s[40:41]
                                        ; implicit-def: $vgpr8
                                        ; implicit-def: $vgpr4
	s_waitcnt lgkmcnt(0)
	s_andn2_saveexec_b64 s[0:1], s[24:25]
	s_cbranch_execnz .LBB53_8
.LBB53_97:
	s_endpgm
.LBB53_98:
	v_mov_b32_e32 v2, v4
.LBB53_99:
	s_and_b32 s12, s51, 3
	s_cmp_eq_u32 s12, 0
	s_cbranch_scc1 .LBB53_102
; %bb.100:
	s_lshl_b32 s8, s50, 2
	s_add_u32 s8, s8, s4
	s_addc_u32 s9, s5, 0
	s_add_u32 s8, s8, 0xc4
	s_addc_u32 s9, s9, 0
	s_mul_i32 s10, s50, 12
	s_add_u32 s10, s4, s10
	s_addc_u32 s11, s5, 0
.LBB53_101:                             ; =>This Inner Loop Header: Depth=1
	s_load_dwordx2 s[14:15], s[10:11], 0x4
	s_load_dword s13, s[10:11], 0xc
	s_load_dword s16, s[8:9], 0x0
	s_add_u32 s10, s10, 12
	s_addc_u32 s11, s11, 0
	s_waitcnt lgkmcnt(0)
	v_mul_hi_u32 v1, s15, v2
	v_add_u32_e32 v1, v2, v1
	v_lshrrev_b32_e32 v1, s13, v1
	s_add_u32 s8, s8, 4
	v_mul_lo_u32 v3, v1, s14
	s_addc_u32 s9, s9, 0
	s_add_i32 s12, s12, -1
	v_sub_u32_e32 v3, v2, v3
	s_cmp_lg_u32 s12, 0
	v_mov_b32_e32 v2, v1
	v_mad_u64_u32 v[0:1], s[14:15], v3, s16, v[0:1]
	s_cbranch_scc1 .LBB53_101
.LBB53_102:
	s_cbranch_execnz .LBB53_105
.LBB53_103:
	s_waitcnt lgkmcnt(0)
	v_mul_hi_u32 v0, s1, v4
	v_add_u32_e32 v0, v4, v0
	v_lshrrev_b32_e32 v1, s2, v0
	v_mul_lo_u32 v0, v1, s0
	v_sub_u32_e32 v0, v4, v0
	s_andn2_b64 vcc, exec, s[34:35]
	v_mul_lo_u32 v0, v0, s28
	s_cbranch_vccnz .LBB53_105
; %bb.104:
	v_mul_hi_u32 v2, s30, v1
	v_add_u32_e32 v2, v1, v2
	v_lshrrev_b32_e32 v2, s31, v2
	v_mul_lo_u32 v2, v2, s3
	v_sub_u32_e32 v1, v1, v2
	v_mad_u64_u32 v[0:1], s[8:9], v1, s29, v[0:1]
.LBB53_105:
	s_waitcnt lgkmcnt(0)
	v_mov_b32_e32 v1, s47
	v_add_u32_e32 v4, 0x80, v4
	global_store_dword v0, v1, s[26:27]
	s_or_b64 exec, exec, s[40:41]
	v_cmp_gt_i32_e32 vcc, s48, v4
	s_and_saveexec_b64 s[40:41], vcc
	s_cbranch_execz .LBB53_96
.LBB53_106:
	s_andn2_b64 vcc, exec, s[6:7]
	s_cbranch_vccnz .LBB53_111
; %bb.107:
	s_andn2_b64 vcc, exec, s[38:39]
	s_cbranch_vccnz .LBB53_112
; %bb.108:
	s_add_i32 s49, s49, 1
	s_mov_b32 s42, 0
	s_cmp_eq_u32 s46, 2
	v_mov_b32_e32 v0, 0
	s_cbranch_scc1 .LBB53_113
; %bb.109:
	s_and_b32 s42, s49, 28
	s_mov_b32 s43, 0
	v_mov_b32_e32 v0, 0
	s_mov_b64 s[38:39], s[4:5]
	v_mov_b32_e32 v2, v4
.LBB53_110:                             ; =>This Inner Loop Header: Depth=1
	s_load_dwordx8 s[8:15], s[38:39], 0x4
	s_load_dwordx4 s[16:19], s[38:39], 0x24
	s_load_dwordx4 s[20:23], s[36:37], 0x0
	s_add_u32 s38, s38, 48
	s_addc_u32 s39, s39, 0
	s_waitcnt lgkmcnt(0)
	v_mul_hi_u32 v1, s9, v2
	v_add_u32_e32 v1, v2, v1
	v_lshrrev_b32_e32 v1, s10, v1
	v_mul_lo_u32 v3, v1, s8
	v_mul_hi_u32 v5, s12, v1
	v_sub_u32_e32 v2, v2, v3
	v_add_u32_e32 v3, v1, v5
	v_lshrrev_b32_e32 v3, s13, v3
	v_mul_lo_u32 v5, v3, s11
	v_mul_hi_u32 v6, s15, v3
	v_sub_u32_e32 v1, v1, v5
	v_add_u32_e32 v5, v3, v6
	v_mul_lo_u32 v2, v2, s20
	v_mul_lo_u32 v1, v1, s21
	v_lshrrev_b32_e32 v5, s16, v5
	v_add3_u32 v0, v2, v0, v1
	v_mul_hi_u32 v2, s18, v5
	v_add_u32_e32 v2, v5, v2
	v_mul_lo_u32 v1, v5, s14
	v_lshrrev_b32_e32 v2, s19, v2
	s_add_i32 s43, s43, 4
	v_sub_u32_e32 v1, v3, v1
	v_mul_lo_u32 v3, v2, s17
	s_add_u32 s36, s36, 16
	v_sub_u32_e32 v3, v5, v3
	s_addc_u32 s37, s37, 0
	v_mul_lo_u32 v1, v1, s22
	v_mul_lo_u32 v3, v3, s23
	s_cmp_eq_u32 s42, s43
	v_add3_u32 v0, v1, v0, v3
	s_cbranch_scc0 .LBB53_110
	s_branch .LBB53_114
.LBB53_111:
                                        ; implicit-def: $vgpr0
	s_branch .LBB53_118
.LBB53_112:
	v_mov_b32_e32 v0, 0
	s_branch .LBB53_117
.LBB53_113:
	v_mov_b32_e32 v2, v4
.LBB53_114:
	s_and_b32 s12, s49, 3
	s_cmp_eq_u32 s12, 0
	s_cbranch_scc1 .LBB53_117
; %bb.115:
	s_lshl_b32 s8, s42, 2
	s_add_u32 s8, s8, s4
	s_addc_u32 s9, s5, 0
	s_add_u32 s8, s8, 0xc4
	s_addc_u32 s9, s9, 0
	s_mul_i32 s10, s42, 12
	s_add_u32 s10, s4, s10
	s_addc_u32 s11, s5, 0
.LBB53_116:                             ; =>This Inner Loop Header: Depth=1
	s_load_dwordx2 s[14:15], s[10:11], 0x4
	s_load_dword s13, s[10:11], 0xc
	s_load_dword s16, s[8:9], 0x0
	s_add_u32 s10, s10, 12
	s_addc_u32 s11, s11, 0
	s_waitcnt lgkmcnt(0)
	v_mul_hi_u32 v1, s15, v2
	v_add_u32_e32 v1, v2, v1
	v_lshrrev_b32_e32 v1, s13, v1
	s_add_u32 s8, s8, 4
	v_mul_lo_u32 v3, v1, s14
	s_addc_u32 s9, s9, 0
	s_add_i32 s12, s12, -1
	v_sub_u32_e32 v3, v2, v3
	s_cmp_lg_u32 s12, 0
	v_mov_b32_e32 v2, v1
	v_mad_u64_u32 v[0:1], s[14:15], v3, s16, v[0:1]
	s_cbranch_scc1 .LBB53_116
.LBB53_117:
	s_cbranch_execnz .LBB53_120
.LBB53_118:
	s_waitcnt lgkmcnt(0)
	v_mul_hi_u32 v0, s1, v4
	v_add_u32_e32 v0, v4, v0
	v_lshrrev_b32_e32 v1, s2, v0
	v_mul_lo_u32 v0, v1, s0
	v_sub_u32_e32 v0, v4, v0
	s_andn2_b64 vcc, exec, s[34:35]
	v_mul_lo_u32 v0, v0, s28
	s_cbranch_vccnz .LBB53_120
; %bb.119:
	v_mul_hi_u32 v2, s30, v1
	v_add_u32_e32 v2, v1, v2
	v_lshrrev_b32_e32 v2, s31, v2
	v_mul_lo_u32 v2, v2, s3
	v_sub_u32_e32 v1, v1, v2
	v_mad_u64_u32 v[0:1], s[0:1], v1, s29, v[0:1]
.LBB53_120:
	s_waitcnt lgkmcnt(0)
	v_mov_b32_e32 v1, s47
	global_store_dword v0, v1, s[26:27]
	s_or_b64 exec, exec, s[40:41]
                                        ; implicit-def: $vgpr8
                                        ; implicit-def: $vgpr4
	s_andn2_saveexec_b64 s[0:1], s[24:25]
	s_cbranch_execz .LBB53_97
	s_branch .LBB53_8
	.section	.rodata,"a",@progbits
	.p2align	6, 0x0
	.amdhsa_kernel _ZN2at6native32elementwise_kernel_manual_unrollILi128ELi4EZNS0_22gpu_kernel_impl_nocastINS0_11FillFunctorIfEEEEvRNS_18TensorIteratorBaseERKT_EUlibE_EEviT1_
		.amdhsa_group_segment_fixed_size 0
		.amdhsa_private_segment_fixed_size 0
		.amdhsa_kernarg_size 288
		.amdhsa_user_sgpr_count 6
		.amdhsa_user_sgpr_private_segment_buffer 1
		.amdhsa_user_sgpr_dispatch_ptr 0
		.amdhsa_user_sgpr_queue_ptr 0
		.amdhsa_user_sgpr_kernarg_segment_ptr 1
		.amdhsa_user_sgpr_dispatch_id 0
		.amdhsa_user_sgpr_flat_scratch_init 0
		.amdhsa_user_sgpr_kernarg_preload_length 0
		.amdhsa_user_sgpr_kernarg_preload_offset 0
		.amdhsa_user_sgpr_private_segment_size 0
		.amdhsa_uses_dynamic_stack 0
		.amdhsa_system_sgpr_private_segment_wavefront_offset 0
		.amdhsa_system_sgpr_workgroup_id_x 1
		.amdhsa_system_sgpr_workgroup_id_y 0
		.amdhsa_system_sgpr_workgroup_id_z 0
		.amdhsa_system_sgpr_workgroup_info 0
		.amdhsa_system_vgpr_workitem_id 0
		.amdhsa_next_free_vgpr 10
		.amdhsa_next_free_sgpr 53
		.amdhsa_accum_offset 12
		.amdhsa_reserve_vcc 1
		.amdhsa_reserve_flat_scratch 0
		.amdhsa_float_round_mode_32 0
		.amdhsa_float_round_mode_16_64 0
		.amdhsa_float_denorm_mode_32 3
		.amdhsa_float_denorm_mode_16_64 3
		.amdhsa_dx10_clamp 1
		.amdhsa_ieee_mode 1
		.amdhsa_fp16_overflow 0
		.amdhsa_tg_split 0
		.amdhsa_exception_fp_ieee_invalid_op 0
		.amdhsa_exception_fp_denorm_src 0
		.amdhsa_exception_fp_ieee_div_zero 0
		.amdhsa_exception_fp_ieee_overflow 0
		.amdhsa_exception_fp_ieee_underflow 0
		.amdhsa_exception_fp_ieee_inexact 0
		.amdhsa_exception_int_div_zero 0
	.end_amdhsa_kernel
	.section	.text._ZN2at6native32elementwise_kernel_manual_unrollILi128ELi4EZNS0_22gpu_kernel_impl_nocastINS0_11FillFunctorIfEEEEvRNS_18TensorIteratorBaseERKT_EUlibE_EEviT1_,"axG",@progbits,_ZN2at6native32elementwise_kernel_manual_unrollILi128ELi4EZNS0_22gpu_kernel_impl_nocastINS0_11FillFunctorIfEEEEvRNS_18TensorIteratorBaseERKT_EUlibE_EEviT1_,comdat
.Lfunc_end53:
	.size	_ZN2at6native32elementwise_kernel_manual_unrollILi128ELi4EZNS0_22gpu_kernel_impl_nocastINS0_11FillFunctorIfEEEEvRNS_18TensorIteratorBaseERKT_EUlibE_EEviT1_, .Lfunc_end53-_ZN2at6native32elementwise_kernel_manual_unrollILi128ELi4EZNS0_22gpu_kernel_impl_nocastINS0_11FillFunctorIfEEEEvRNS_18TensorIteratorBaseERKT_EUlibE_EEviT1_
                                        ; -- End function
	.section	.AMDGPU.csdata,"",@progbits
; Kernel info:
; codeLenInByte = 4928
; NumSgprs: 57
; NumVgprs: 10
; NumAgprs: 0
; TotalNumVgprs: 10
; ScratchSize: 0
; MemoryBound: 0
; FloatMode: 240
; IeeeMode: 1
; LDSByteSize: 0 bytes/workgroup (compile time only)
; SGPRBlocks: 7
; VGPRBlocks: 1
; NumSGPRsForWavesPerEU: 57
; NumVGPRsForWavesPerEU: 10
; AccumOffset: 12
; Occupancy: 8
; WaveLimiterHint : 1
; COMPUTE_PGM_RSRC2:SCRATCH_EN: 0
; COMPUTE_PGM_RSRC2:USER_SGPR: 6
; COMPUTE_PGM_RSRC2:TRAP_HANDLER: 0
; COMPUTE_PGM_RSRC2:TGID_X_EN: 1
; COMPUTE_PGM_RSRC2:TGID_Y_EN: 0
; COMPUTE_PGM_RSRC2:TGID_Z_EN: 0
; COMPUTE_PGM_RSRC2:TIDIG_COMP_CNT: 0
; COMPUTE_PGM_RSRC3_GFX90A:ACCUM_OFFSET: 2
; COMPUTE_PGM_RSRC3_GFX90A:TG_SPLIT: 0
	.section	.text._ZN2at6native32elementwise_kernel_manual_unrollILi128ELi4EZNS0_15gpu_kernel_implINS0_11FillFunctorIfEEEEvRNS_18TensorIteratorBaseERKT_EUlibE_EEviT1_,"axG",@progbits,_ZN2at6native32elementwise_kernel_manual_unrollILi128ELi4EZNS0_15gpu_kernel_implINS0_11FillFunctorIfEEEEvRNS_18TensorIteratorBaseERKT_EUlibE_EEviT1_,comdat
	.protected	_ZN2at6native32elementwise_kernel_manual_unrollILi128ELi4EZNS0_15gpu_kernel_implINS0_11FillFunctorIfEEEEvRNS_18TensorIteratorBaseERKT_EUlibE_EEviT1_ ; -- Begin function _ZN2at6native32elementwise_kernel_manual_unrollILi128ELi4EZNS0_15gpu_kernel_implINS0_11FillFunctorIfEEEEvRNS_18TensorIteratorBaseERKT_EUlibE_EEviT1_
	.globl	_ZN2at6native32elementwise_kernel_manual_unrollILi128ELi4EZNS0_15gpu_kernel_implINS0_11FillFunctorIfEEEEvRNS_18TensorIteratorBaseERKT_EUlibE_EEviT1_
	.p2align	8
	.type	_ZN2at6native32elementwise_kernel_manual_unrollILi128ELi4EZNS0_15gpu_kernel_implINS0_11FillFunctorIfEEEEvRNS_18TensorIteratorBaseERKT_EUlibE_EEviT1_,@function
_ZN2at6native32elementwise_kernel_manual_unrollILi128ELi4EZNS0_15gpu_kernel_implINS0_11FillFunctorIfEEEEvRNS_18TensorIteratorBaseERKT_EUlibE_EEviT1_: ; @_ZN2at6native32elementwise_kernel_manual_unrollILi128ELi4EZNS0_15gpu_kernel_implINS0_11FillFunctorIfEEEEvRNS_18TensorIteratorBaseERKT_EUlibE_EEviT1_
; %bb.0:
	s_load_dword s48, s[4:5], 0x0
	s_load_dwordx4 s[8:11], s[4:5], 0x8
	s_load_dword s33, s[4:5], 0x18
	v_lshl_or_b32 v15, s6, 9, v0
	v_or_b32_e32 v0, 0x180, v15
	s_waitcnt lgkmcnt(0)
	v_cmp_le_i32_e32 vcc, s48, v0
	s_mov_b64 s[4:5], 0
	s_mov_b64 s[0:1], 0
	s_and_saveexec_b64 s[2:3], vcc
	s_xor_b64 s[2:3], exec, s[2:3]
	s_cbranch_execz .LBB54_404
; %bb.1:
	s_lshr_b32 s14, s11, 23
	s_bfe_u32 s12, s11, 0x80017
	s_cmpk_eq_i32 s12, 0xff
	s_cselect_b64 s[0:1], -1, 0
	s_bitcmp1_b32 s11, 22
	s_cselect_b64 s[6:7], -1, 0
	s_and_b32 s13, s11, 0x3fffff
	s_or_b32 s12, s12, s13
	s_cmp_lg_u32 s12, 0
	v_trunc_f32_e32 v2, s11
	s_cselect_b64 s[12:13], -1, 0
	v_mul_f32_e32 v0, 0x2f800000, v2
	s_and_b64 s[6:7], s[6:7], s[12:13]
	s_and_b32 s30, s11, 0x7fffffff
	v_floor_f32_e32 v0, v0
	v_mov_b32_e32 v1, v2
	s_cmp_lt_u32 s30, 0x43800000
	v_cvt_u32_f32_e32 v7, v0
	v_fmac_f32_e32 v1, 0xcf800000, v0
	v_cndmask_b32_e64 v0, 0, 1, s[6:7]
	s_cselect_b64 s[26:27], -1, 0
	s_cmp_gt_u32 s30, 0x3bffffff
	v_add_u32_e32 v14, s14, v0
	s_cselect_b64 s[24:25], -1, 0
	s_bfe_u32 s6, s11, 0x10014
	v_mov_b32_e32 v0, 0x46000000
	s_add_i32 s12, s11, s6
	v_add_f32_e64 v0, |s11|, v0
	s_add_i32 s6, s12, 0x487ffff
	v_readfirstlane_b32 s63, v0
	s_lshr_b32 s62, s6, 20
	s_and_b32 s6, s63, 0xff
	s_cmp_lg_u32 s6, 0
	s_cselect_b64 s[28:29], -1, 0
	s_lshr_b32 s6, s11, 24
	s_and_b32 s52, s6, 0x80
	s_cmp_gt_u32 s30, 0x477fffff
	s_cselect_b64 s[6:7], -1, 0
	s_cmp_lt_u32 s30, 0x47800000
	s_cselect_b64 s[20:21], -1, 0
	s_cmp_gt_u32 s30, 0x37ffffff
	s_cselect_b64 s[18:19], -1, 0
	s_bfe_u32 s13, s11, 0x10015
	v_mov_b32_e32 v0, 0x42800000
	s_add_i32 s31, s11, s13
	v_add_f32_e64 v0, |s11|, v0
	s_add_i32 s13, s31, 0x88fffff
	v_readfirstlane_b32 s61, v0
	s_lshr_b32 s59, s13, 21
	s_and_b32 s13, s61, 0xff
	s_cmp_lg_u32 s13, 0
	s_cselect_b64 s[22:23], -1, 0
	s_cmp_gt_u32 s30, 0x43efffff
	s_cselect_b64 s[14:15], -1, 0
	s_cmp_lt_u32 s30, 0x3c800000
	s_cselect_b64 s[16:17], -1, 0
	s_add_i32 s12, s12, 0x407ffff
	s_lshr_b32 s13, s12, 20
	s_and_b32 s12, s12, 0xff00000
	s_cmp_lg_u32 s12, 0x7f00000
	s_mov_b32 s34, 0x2f800000
	s_cselect_b32 s57, s13, 0x7e
	s_cmp_lt_u32 s30, 0x38800000
	s_cselect_b64 s[12:13], -1, 0
	s_add_i32 s31, s31, 0x80fffff
	v_mul_f32_e64 v3, |v2|, s34
	s_mov_b32 s35, 0xcf800000
	s_lshr_b32 s54, s31, 21
	v_floor_f32_e32 v3, v3
	s_cmp_gt_u32 s30, 0x7f800000
	s_movk_i32 s30, 0x7f
	v_fma_f32 v4, v3, s35, |v2|
	s_cselect_b32 s60, s30, 0x7e
	s_movk_i32 s30, 0x7c
	v_cvt_u32_f32_e32 v4, v4
	s_cselect_b32 s56, 0x7f, s30
	s_bfe_u32 s30, s11, 0x10010
	v_cvt_u32_f32_e32 v3, v3
	s_add_i32 s30, s11, s30
	v_mov_b32_e32 v0, 0x46800000
	s_addk_i32 s30, 0x7fff
	v_ashrrev_i32_e32 v2, 31, v2
	v_cvt_u32_f32_e32 v6, v1
	v_cvt_u32_f32_e32 v13, s11
	v_add_f32_e64 v0, |s11|, v0
	s_lshr_b32 s36, s30, 16
	v_cmp_o_f32_e64 s[30:31], s11, s11
	v_cvt_f16_f32_e32 v11, s11
	v_xor_b32_e32 v4, v4, v2
	v_cvt_i32_f32_e32 v10, s11
	v_readfirstlane_b32 s58, v0
	v_mov_b32_e32 v0, 0x43000000
	s_and_b64 s[30:31], s[30:31], exec
	v_xor_b32_e32 v3, v3, v2
	v_sub_co_u32_e32 v4, vcc, v4, v2
	v_add_f32_e64 v0, |s11|, v0
	v_cmp_neq_f32_e64 s[30:31], s11, 0
	v_subb_co_u32_e32 v5, vcc, v3, v2, vcc
	v_readfirstlane_b32 s55, v0
	s_cselect_b32 s53, s36, 0x7fc0
	v_cndmask_b32_e64 v12, 0, 1, s[30:31]
	v_cvt_f64_f32_e32 v[0:1], s11
	v_cmp_gt_i32_e32 vcc, s48, v15
	s_mov_b64 s[36:37], -1
	s_mov_b64 s[38:39], 0
	s_mov_b64 s[30:31], 0
	s_and_saveexec_b64 s[34:35], vcc
	s_cbranch_execz .LBB54_100
; %bb.2:
	v_mul_lo_u32 v2, v15, s10
	v_ashrrev_i32_e32 v3, 31, v2
	v_mov_b32_e32 v9, s9
	v_add_co_u32_e32 v8, vcc, s8, v2
	v_mov_b32_e32 v2, 11
	v_addc_co_u32_e32 v9, vcc, v9, v3, vcc
	v_cmp_lt_i16_sdwa s[30:31], s33, v2 src0_sel:BYTE_0 src1_sel:DWORD
	s_and_b64 vcc, exec, s[30:31]
	s_cbranch_vccnz .LBB54_9
; %bb.3:
	v_mov_b32_e32 v2, 25
	v_cmp_gt_i16_sdwa s[30:31], s33, v2 src0_sel:BYTE_0 src1_sel:DWORD
	s_and_b64 vcc, exec, s[30:31]
	s_cbranch_vccz .LBB54_12
; %bb.4:
	v_mov_b32_e32 v2, 28
	v_cmp_gt_i16_sdwa s[30:31], s33, v2 src0_sel:BYTE_0 src1_sel:DWORD
	s_and_b64 vcc, exec, s[30:31]
	s_cbranch_vccz .LBB54_13
	;; [unrolled: 5-line block ×4, first 2 shown]
; %bb.7:
	v_mov_b32_e32 v2, 46
	v_cmp_eq_u16_sdwa s[36:37], s33, v2 src0_sel:BYTE_0 src1_sel:DWORD
	s_mov_b64 s[40:41], 0
	s_mov_b64 s[30:31], -1
	s_and_b64 vcc, exec, s[36:37]
	s_mov_b64 s[36:37], 0
	s_cbranch_vccz .LBB54_16
; %bb.8:
	v_mov_b32_e32 v2, s53
	global_store_dword v[8:9], v2, off
	s_mov_b64 s[36:37], -1
	s_mov_b64 s[30:31], 0
	s_branch .LBB54_16
.LBB54_9:
	s_mov_b64 s[30:31], 0
	s_mov_b64 s[36:37], 0
	s_cbranch_execnz .LBB54_60
.LBB54_10:
	s_andn2_b64 vcc, exec, s[36:37]
	s_cbranch_vccnz .LBB54_98
.LBB54_11:
	v_add_u32_e32 v15, 0x80, v15
	s_mov_b64 s[36:37], -1
	s_branch .LBB54_99
.LBB54_12:
	s_mov_b64 s[30:31], 0
	s_mov_b64 s[36:37], 0
	s_cbranch_execnz .LBB54_38
	s_branch .LBB54_59
.LBB54_13:
	s_mov_b64 s[40:41], -1
	s_mov_b64 s[30:31], 0
	s_mov_b64 s[36:37], 0
	s_branch .LBB54_24
.LBB54_14:
	s_mov_b64 s[40:41], -1
	s_mov_b64 s[30:31], 0
	s_mov_b64 s[36:37], 0
	s_branch .LBB54_20
.LBB54_15:
	s_mov_b64 s[40:41], -1
	s_mov_b64 s[30:31], 0
	s_mov_b64 s[36:37], 0
.LBB54_16:
	s_and_b64 vcc, exec, s[40:41]
	s_cbranch_vccz .LBB54_19
; %bb.17:
	v_mov_b32_e32 v2, 44
	v_cmp_eq_u16_sdwa s[40:41], s33, v2 src0_sel:BYTE_0 src1_sel:DWORD
	s_mov_b64 s[30:31], -1
	s_and_b64 vcc, exec, s[40:41]
	s_cbranch_vccz .LBB54_19
; %bb.18:
	v_mov_b32_e32 v2, 0xff
	v_cndmask_b32_e64 v2, v14, v2, s[0:1]
	global_store_byte v[8:9], v2, off
	s_mov_b64 s[36:37], -1
	s_mov_b64 s[30:31], 0
.LBB54_19:
	s_mov_b64 s[40:41], 0
.LBB54_20:
	s_and_b64 vcc, exec, s[40:41]
	s_cbranch_vccz .LBB54_23
; %bb.21:
	v_mov_b32_e32 v2, 29
	v_cmp_eq_u16_sdwa s[40:41], s33, v2 src0_sel:BYTE_0 src1_sel:DWORD
	s_mov_b64 s[30:31], -1
	s_and_b64 vcc, exec, s[40:41]
	s_cbranch_vccz .LBB54_23
; %bb.22:
	global_store_dwordx2 v[8:9], v[6:7], off
	s_mov_b64 s[36:37], -1
	s_mov_b64 s[30:31], 0
.LBB54_23:
	s_mov_b64 s[40:41], 0
.LBB54_24:
	s_and_b64 vcc, exec, s[40:41]
	s_cbranch_vccz .LBB54_37
; %bb.25:
	v_mov_b32_e32 v2, 27
	v_cmp_lt_i16_sdwa s[40:41], s33, v2 src0_sel:BYTE_0 src1_sel:DWORD
	s_mov_b64 s[36:37], -1
	s_and_b64 vcc, exec, s[40:41]
	s_cbranch_vccnz .LBB54_31
; %bb.26:
	v_cmp_gt_i16_sdwa s[40:41], s33, v2 src0_sel:BYTE_0 src1_sel:DWORD
	s_and_b64 vcc, exec, s[40:41]
	s_cbranch_vccz .LBB54_28
; %bb.27:
	s_mov_b64 s[36:37], 0
	global_store_dword v[8:9], v13, off
.LBB54_28:
	s_andn2_b64 vcc, exec, s[36:37]
	s_cbranch_vccnz .LBB54_30
; %bb.29:
	global_store_short v[8:9], v13, off
.LBB54_30:
	s_mov_b64 s[36:37], 0
.LBB54_31:
	s_andn2_b64 vcc, exec, s[36:37]
	s_cbranch_vccnz .LBB54_36
; %bb.32:
	s_andn2_b64 vcc, exec, s[26:27]
	s_movk_i32 s36, 0x80
	s_cbranch_vccnz .LBB54_35
; %bb.33:
	s_or_b64 s[36:37], s[24:25], s[28:29]
	s_andn2_b64 vcc, exec, s[36:37]
	s_mov_b32 s36, 0
	s_cbranch_vccnz .LBB54_35
; %bb.34:
	s_and_b64 s[36:37], s[24:25], exec
	s_cselect_b32 s36, s62, s63
	s_or_b32 s36, s36, s52
.LBB54_35:
	v_mov_b32_e32 v2, s36
	global_store_byte v[8:9], v2, off
.LBB54_36:
	s_mov_b64 s[36:37], -1
.LBB54_37:
	s_branch .LBB54_59
.LBB54_38:
	v_mov_b32_e32 v2, 22
	v_cmp_gt_i16_sdwa s[42:43], s33, v2 src0_sel:BYTE_0 src1_sel:DWORD
	s_mov_b64 s[40:41], -1
	s_and_b64 vcc, exec, s[42:43]
	s_cbranch_vccz .LBB54_51
; %bb.39:
	v_mov_b32_e32 v2, 24
	v_cmp_lt_i16_sdwa s[40:41], s33, v2 src0_sel:BYTE_0 src1_sel:DWORD
	s_mov_b64 s[36:37], -1
	s_and_b64 vcc, exec, s[40:41]
	s_cbranch_vccnz .LBB54_48
; %bb.40:
	v_cmp_gt_i16_sdwa s[40:41], s33, v2 src0_sel:BYTE_0 src1_sel:DWORD
	s_and_b64 vcc, exec, s[40:41]
	s_cbranch_vccz .LBB54_45
; %bb.41:
	s_andn2_b64 vcc, exec, s[20:21]
	s_movk_i32 s36, 0x80
	s_cbranch_vccnz .LBB54_44
; %bb.42:
	s_or_b64 s[36:37], s[18:19], s[22:23]
	s_andn2_b64 vcc, exec, s[36:37]
	s_mov_b32 s36, 0
	s_cbranch_vccnz .LBB54_44
; %bb.43:
	s_and_b64 s[36:37], s[18:19], exec
	s_cselect_b32 s36, s59, s61
	s_or_b32 s36, s36, s52
.LBB54_44:
	v_mov_b32_e32 v2, s36
	s_mov_b64 s[36:37], 0
	global_store_byte v[8:9], v2, off
.LBB54_45:
	s_and_b64 vcc, exec, s[36:37]
	s_cbranch_vccz .LBB54_47
; %bb.46:
	s_and_b64 s[36:37], s[16:17], exec
	s_cselect_b32 s40, s58, s57
	s_and_b64 s[36:37], s[14:15], exec
	s_cselect_b32 s36, s60, s40
	s_or_b32 s36, s36, s52
	v_mov_b32_e32 v2, s36
	global_store_byte v[8:9], v2, off
.LBB54_47:
	s_mov_b64 s[36:37], 0
.LBB54_48:
	s_andn2_b64 vcc, exec, s[36:37]
	s_cbranch_vccnz .LBB54_50
; %bb.49:
	s_and_b64 s[36:37], s[12:13], exec
	s_cselect_b32 s40, s55, s54
	s_and_b64 s[36:37], s[6:7], exec
	s_cselect_b32 s36, s56, s40
	s_or_b32 s36, s36, s52
	v_mov_b32_e32 v2, s36
	global_store_byte v[8:9], v2, off
.LBB54_50:
	s_mov_b64 s[40:41], 0
	s_mov_b64 s[36:37], -1
.LBB54_51:
	s_andn2_b64 vcc, exec, s[40:41]
	s_cbranch_vccnz .LBB54_59
; %bb.52:
	v_mov_b32_e32 v2, 14
	v_cmp_gt_i16_sdwa s[42:43], s33, v2 src0_sel:BYTE_0 src1_sel:DWORD
	s_mov_b64 s[40:41], -1
	s_and_b64 vcc, exec, s[42:43]
	s_cbranch_vccz .LBB54_56
; %bb.53:
	v_mov_b32_e32 v2, 15
	v_cmp_eq_u16_sdwa s[40:41], s33, v2 src0_sel:BYTE_0 src1_sel:DWORD
	s_mov_b64 s[30:31], -1
	s_and_b64 vcc, exec, s[40:41]
	s_cbranch_vccz .LBB54_55
; %bb.54:
	v_mov_b32_e32 v2, s53
	global_store_short v[8:9], v2, off
	s_mov_b64 s[36:37], -1
	s_mov_b64 s[30:31], 0
.LBB54_55:
	s_mov_b64 s[40:41], 0
.LBB54_56:
	s_and_b64 vcc, exec, s[40:41]
	s_cbranch_vccz .LBB54_59
; %bb.57:
	v_mov_b32_e32 v2, 11
	v_cmp_eq_u16_sdwa s[40:41], s33, v2 src0_sel:BYTE_0 src1_sel:DWORD
	s_mov_b64 s[30:31], -1
	s_and_b64 vcc, exec, s[40:41]
	s_cbranch_vccz .LBB54_59
; %bb.58:
	s_mov_b64 s[36:37], -1
	s_mov_b64 s[30:31], 0
	global_store_byte v[8:9], v12, off
.LBB54_59:
	s_branch .LBB54_10
.LBB54_60:
	v_mov_b32_e32 v2, 5
	v_cmp_lt_i16_sdwa s[40:41], s33, v2 src0_sel:BYTE_0 src1_sel:DWORD
	s_mov_b64 s[36:37], -1
	s_and_b64 vcc, exec, s[40:41]
	s_cbranch_vccnz .LBB54_81
; %bb.61:
	v_mov_b32_e32 v2, 8
	v_cmp_lt_i16_sdwa s[40:41], s33, v2 src0_sel:BYTE_0 src1_sel:DWORD
	s_and_b64 vcc, exec, s[40:41]
	s_cbranch_vccnz .LBB54_71
; %bb.62:
	v_mov_b32_e32 v2, 9
	v_cmp_lt_i16_sdwa s[40:41], s33, v2 src0_sel:BYTE_0 src1_sel:DWORD
	s_and_b64 vcc, exec, s[40:41]
	s_cbranch_vccnz .LBB54_68
; %bb.63:
	v_cmp_gt_i16_sdwa s[40:41], s33, v2 src0_sel:BYTE_0 src1_sel:DWORD
	s_and_b64 vcc, exec, s[40:41]
	s_cbranch_vccz .LBB54_65
; %bb.64:
	v_mov_b32_e32 v2, 0
	v_mov_b32_e32 v3, v2
	global_store_dwordx4 v[8:9], v[0:3], off
	s_mov_b64 s[36:37], 0
.LBB54_65:
	s_andn2_b64 vcc, exec, s[36:37]
	s_cbranch_vccnz .LBB54_67
; %bb.66:
	v_mov_b32_e32 v2, s11
	v_mov_b32_e32 v3, 0
	global_store_dwordx2 v[8:9], v[2:3], off
.LBB54_67:
	s_mov_b64 s[36:37], 0
.LBB54_68:
	s_andn2_b64 vcc, exec, s[36:37]
	s_cbranch_vccnz .LBB54_70
; %bb.69:
	global_store_dword v[8:9], v11, off
.LBB54_70:
	s_mov_b64 s[36:37], 0
.LBB54_71:
	s_andn2_b64 vcc, exec, s[36:37]
	s_cbranch_vccnz .LBB54_80
; %bb.72:
	v_mov_b32_e32 v2, 6
	v_cmp_lt_i16_sdwa s[40:41], s33, v2 src0_sel:BYTE_0 src1_sel:DWORD
	s_mov_b64 s[36:37], -1
	s_and_b64 vcc, exec, s[40:41]
	s_cbranch_vccnz .LBB54_78
; %bb.73:
	v_cmp_gt_i16_sdwa s[40:41], s33, v2 src0_sel:BYTE_0 src1_sel:DWORD
	s_and_b64 vcc, exec, s[40:41]
	s_cbranch_vccz .LBB54_75
; %bb.74:
	global_store_dwordx2 v[8:9], v[0:1], off
	s_mov_b64 s[36:37], 0
.LBB54_75:
	s_andn2_b64 vcc, exec, s[36:37]
	s_cbranch_vccnz .LBB54_77
; %bb.76:
	v_mov_b32_e32 v2, s11
	global_store_dword v[8:9], v2, off
.LBB54_77:
	s_mov_b64 s[36:37], 0
.LBB54_78:
	s_andn2_b64 vcc, exec, s[36:37]
	s_cbranch_vccnz .LBB54_80
; %bb.79:
	global_store_short v[8:9], v11, off
.LBB54_80:
	s_mov_b64 s[36:37], 0
.LBB54_81:
	s_andn2_b64 vcc, exec, s[36:37]
	s_cbranch_vccnz .LBB54_97
; %bb.82:
	v_mov_b32_e32 v2, 2
	v_cmp_lt_i16_sdwa s[40:41], s33, v2 src0_sel:BYTE_0 src1_sel:DWORD
	s_mov_b64 s[36:37], -1
	s_and_b64 vcc, exec, s[40:41]
	s_cbranch_vccnz .LBB54_92
; %bb.83:
	v_mov_b32_e32 v2, 3
	v_cmp_lt_i16_sdwa s[40:41], s33, v2 src0_sel:BYTE_0 src1_sel:DWORD
	s_and_b64 vcc, exec, s[40:41]
	s_cbranch_vccnz .LBB54_89
; %bb.84:
	v_cmp_gt_i16_sdwa s[40:41], s33, v2 src0_sel:BYTE_0 src1_sel:DWORD
	s_and_b64 vcc, exec, s[40:41]
	s_cbranch_vccz .LBB54_86
; %bb.85:
	global_store_dwordx2 v[8:9], v[4:5], off
	s_mov_b64 s[36:37], 0
.LBB54_86:
	s_andn2_b64 vcc, exec, s[36:37]
	s_cbranch_vccnz .LBB54_88
; %bb.87:
	global_store_dword v[8:9], v10, off
.LBB54_88:
	s_mov_b64 s[36:37], 0
.LBB54_89:
	s_andn2_b64 vcc, exec, s[36:37]
	s_cbranch_vccnz .LBB54_91
; %bb.90:
	global_store_short v[8:9], v10, off
.LBB54_91:
	s_mov_b64 s[36:37], 0
.LBB54_92:
	s_andn2_b64 vcc, exec, s[36:37]
	s_cbranch_vccnz .LBB54_97
; %bb.93:
	v_mov_b32_e32 v2, 0
	v_cmp_gt_i16_sdwa s[40:41], s33, v2 src0_sel:BYTE_0 src1_sel:DWORD
	s_mov_b64 s[36:37], -1
	s_and_b64 vcc, exec, s[40:41]
	s_cbranch_vccz .LBB54_95
; %bb.94:
	global_store_byte v[8:9], v10, off
	s_mov_b64 s[36:37], 0
.LBB54_95:
	s_andn2_b64 vcc, exec, s[36:37]
	s_cbranch_vccnz .LBB54_97
; %bb.96:
	global_store_byte v[8:9], v4, off
.LBB54_97:
	s_branch .LBB54_11
.LBB54_98:
	s_mov_b64 s[36:37], 0
                                        ; implicit-def: $vgpr15
.LBB54_99:
	s_and_b64 s[30:31], s[30:31], exec
	s_orn2_b64 s[36:37], s[36:37], exec
.LBB54_100:
	s_or_b64 exec, exec, s[34:35]
	s_mov_b64 s[40:41], 0
                                        ; implicit-def: $vgpr16
                                        ; implicit-def: $vgpr8_vgpr9
	s_and_saveexec_b64 s[34:35], s[36:37]
	s_cbranch_execz .LBB54_109
; %bb.101:
	v_cmp_gt_i32_e32 vcc, s48, v15
	s_mov_b64 s[42:43], -1
	s_mov_b64 s[36:37], s[30:31]
	s_and_saveexec_b64 s[38:39], vcc
	s_cbranch_execz .LBB54_204
; %bb.102:
	v_mul_lo_u32 v2, v15, s10
	v_ashrrev_i32_e32 v3, 31, v2
	v_mov_b32_e32 v9, s9
	v_add_co_u32_e32 v8, vcc, s8, v2
	v_mov_b32_e32 v2, 11
	v_addc_co_u32_e32 v9, vcc, v9, v3, vcc
	v_cmp_lt_i16_sdwa s[36:37], s33, v2 src0_sel:BYTE_0 src1_sel:DWORD
	s_and_b64 vcc, exec, s[36:37]
	s_cbranch_vccnz .LBB54_112
; %bb.103:
	v_mov_b32_e32 v2, 25
	v_cmp_gt_i16_sdwa s[36:37], s33, v2 src0_sel:BYTE_0 src1_sel:DWORD
	s_and_b64 vcc, exec, s[36:37]
	s_cbranch_vccz .LBB54_115
; %bb.104:
	v_mov_b32_e32 v2, 28
	v_cmp_gt_i16_sdwa s[36:37], s33, v2 src0_sel:BYTE_0 src1_sel:DWORD
	s_and_b64 vcc, exec, s[36:37]
	s_cbranch_vccz .LBB54_116
	;; [unrolled: 5-line block ×4, first 2 shown]
; %bb.107:
	v_mov_b32_e32 v2, 46
	v_cmp_eq_u16_sdwa s[40:41], s33, v2 src0_sel:BYTE_0 src1_sel:DWORD
	s_mov_b64 s[42:43], 0
	s_mov_b64 s[36:37], -1
	s_and_b64 vcc, exec, s[40:41]
	s_mov_b64 s[40:41], 0
	s_cbranch_vccz .LBB54_119
; %bb.108:
	v_mov_b32_e32 v2, s53
	global_store_dword v[8:9], v2, off
	s_mov_b64 s[40:41], -1
	s_mov_b64 s[36:37], 0
	s_branch .LBB54_119
.LBB54_109:
	s_or_b64 exec, exec, s[34:35]
	s_mov_b64 s[0:1], 0
	s_and_saveexec_b64 s[6:7], s[30:31]
	s_cbranch_execnz .LBB54_364
.LBB54_110:
	s_or_b64 exec, exec, s[6:7]
	s_and_saveexec_b64 s[6:7], s[38:39]
	s_xor_b64 s[6:7], exec, s[6:7]
	s_cbranch_execz .LBB54_365
.LBB54_111:
	global_store_byte v[8:9], v12, off
	s_or_b64 exec, exec, s[6:7]
	s_and_saveexec_b64 s[6:7], s[40:41]
	s_xor_b64 s[6:7], exec, s[6:7]
	s_cbranch_execz .LBB54_403
	s_branch .LBB54_366
.LBB54_112:
	s_mov_b64 s[36:37], s[30:31]
	s_and_b64 vcc, exec, s[42:43]
	s_cbranch_vccnz .LBB54_164
.LBB54_113:
	s_andn2_b64 vcc, exec, s[40:41]
	s_cbranch_vccnz .LBB54_202
.LBB54_114:
	v_add_u32_e32 v15, 0x80, v15
	s_mov_b64 s[40:41], -1
	s_branch .LBB54_203
.LBB54_115:
	s_mov_b64 s[36:37], s[30:31]
	s_branch .LBB54_141
.LBB54_116:
	s_mov_b64 s[36:37], s[30:31]
	s_branch .LBB54_127
.LBB54_117:
	s_mov_b64 s[36:37], s[30:31]
	s_branch .LBB54_123
.LBB54_118:
	s_mov_b64 s[36:37], s[30:31]
.LBB54_119:
	s_and_b64 vcc, exec, s[42:43]
	s_cbranch_vccz .LBB54_122
; %bb.120:
	v_mov_b32_e32 v2, 44
	v_cmp_eq_u16_sdwa s[42:43], s33, v2 src0_sel:BYTE_0 src1_sel:DWORD
	s_mov_b64 s[36:37], -1
	s_and_b64 vcc, exec, s[42:43]
	s_cbranch_vccz .LBB54_122
; %bb.121:
	v_mov_b32_e32 v2, 0xff
	v_cndmask_b32_e64 v2, v14, v2, s[0:1]
	s_mov_b64 s[40:41], -1
	s_mov_b64 s[36:37], 0
	global_store_byte v[8:9], v2, off
.LBB54_122:
	s_mov_b64 s[42:43], 0
.LBB54_123:
	s_and_b64 vcc, exec, s[42:43]
	s_cbranch_vccz .LBB54_126
; %bb.124:
	v_mov_b32_e32 v2, 29
	v_cmp_eq_u16_sdwa s[42:43], s33, v2 src0_sel:BYTE_0 src1_sel:DWORD
	s_mov_b64 s[36:37], -1
	s_and_b64 vcc, exec, s[42:43]
	s_cbranch_vccz .LBB54_126
; %bb.125:
	global_store_dwordx2 v[8:9], v[6:7], off
	s_mov_b64 s[40:41], -1
	s_mov_b64 s[36:37], 0
.LBB54_126:
	s_mov_b64 s[42:43], 0
.LBB54_127:
	s_and_b64 vcc, exec, s[42:43]
	s_cbranch_vccz .LBB54_140
; %bb.128:
	v_mov_b32_e32 v2, 27
	v_cmp_lt_i16_sdwa s[42:43], s33, v2 src0_sel:BYTE_0 src1_sel:DWORD
	s_mov_b64 s[40:41], -1
	s_and_b64 vcc, exec, s[42:43]
	s_cbranch_vccnz .LBB54_134
; %bb.129:
	v_cmp_gt_i16_sdwa s[42:43], s33, v2 src0_sel:BYTE_0 src1_sel:DWORD
	s_and_b64 vcc, exec, s[42:43]
	s_cbranch_vccz .LBB54_131
; %bb.130:
	s_mov_b64 s[40:41], 0
	global_store_dword v[8:9], v13, off
.LBB54_131:
	s_andn2_b64 vcc, exec, s[40:41]
	s_cbranch_vccnz .LBB54_133
; %bb.132:
	global_store_short v[8:9], v13, off
.LBB54_133:
	s_mov_b64 s[40:41], 0
.LBB54_134:
	s_andn2_b64 vcc, exec, s[40:41]
	s_cbranch_vccnz .LBB54_139
; %bb.135:
	s_andn2_b64 vcc, exec, s[26:27]
	s_movk_i32 s40, 0x80
	s_cbranch_vccnz .LBB54_138
; %bb.136:
	s_or_b64 s[40:41], s[24:25], s[28:29]
	s_andn2_b64 vcc, exec, s[40:41]
	s_mov_b32 s40, 0
	s_cbranch_vccnz .LBB54_138
; %bb.137:
	s_and_b64 s[40:41], s[24:25], exec
	s_cselect_b32 s40, s62, s63
	s_or_b32 s40, s40, s52
.LBB54_138:
	v_mov_b32_e32 v2, s40
	global_store_byte v[8:9], v2, off
.LBB54_139:
	s_mov_b64 s[40:41], -1
.LBB54_140:
	s_mov_b64 s[42:43], 0
.LBB54_141:
	s_and_b64 vcc, exec, s[42:43]
	s_cbranch_vccz .LBB54_163
; %bb.142:
	v_mov_b32_e32 v2, 22
	v_cmp_gt_i16_sdwa s[44:45], s33, v2 src0_sel:BYTE_0 src1_sel:DWORD
	s_mov_b64 s[42:43], -1
	s_and_b64 vcc, exec, s[44:45]
	s_cbranch_vccz .LBB54_155
; %bb.143:
	v_mov_b32_e32 v2, 24
	v_cmp_lt_i16_sdwa s[42:43], s33, v2 src0_sel:BYTE_0 src1_sel:DWORD
	s_mov_b64 s[40:41], -1
	s_and_b64 vcc, exec, s[42:43]
	s_cbranch_vccnz .LBB54_152
; %bb.144:
	v_cmp_gt_i16_sdwa s[42:43], s33, v2 src0_sel:BYTE_0 src1_sel:DWORD
	s_and_b64 vcc, exec, s[42:43]
	s_cbranch_vccz .LBB54_149
; %bb.145:
	s_andn2_b64 vcc, exec, s[20:21]
	s_movk_i32 s40, 0x80
	s_cbranch_vccnz .LBB54_148
; %bb.146:
	s_or_b64 s[40:41], s[18:19], s[22:23]
	s_andn2_b64 vcc, exec, s[40:41]
	s_mov_b32 s40, 0
	s_cbranch_vccnz .LBB54_148
; %bb.147:
	s_and_b64 s[40:41], s[18:19], exec
	s_cselect_b32 s40, s59, s61
	s_or_b32 s40, s40, s52
.LBB54_148:
	v_mov_b32_e32 v2, s40
	s_mov_b64 s[40:41], 0
	global_store_byte v[8:9], v2, off
.LBB54_149:
	s_and_b64 vcc, exec, s[40:41]
	s_cbranch_vccz .LBB54_151
; %bb.150:
	s_and_b64 s[40:41], s[16:17], exec
	s_cselect_b32 s42, s58, s57
	s_and_b64 s[40:41], s[14:15], exec
	s_cselect_b32 s40, s60, s42
	s_or_b32 s40, s40, s52
	v_mov_b32_e32 v2, s40
	global_store_byte v[8:9], v2, off
.LBB54_151:
	s_mov_b64 s[40:41], 0
.LBB54_152:
	s_andn2_b64 vcc, exec, s[40:41]
	s_cbranch_vccnz .LBB54_154
; %bb.153:
	s_and_b64 s[40:41], s[12:13], exec
	s_cselect_b32 s42, s55, s54
	s_and_b64 s[40:41], s[6:7], exec
	s_cselect_b32 s40, s56, s42
	s_or_b32 s40, s40, s52
	v_mov_b32_e32 v2, s40
	global_store_byte v[8:9], v2, off
.LBB54_154:
	s_mov_b64 s[42:43], 0
	s_mov_b64 s[40:41], -1
.LBB54_155:
	s_andn2_b64 vcc, exec, s[42:43]
	s_cbranch_vccnz .LBB54_163
; %bb.156:
	v_mov_b32_e32 v2, 14
	v_cmp_gt_i16_sdwa s[44:45], s33, v2 src0_sel:BYTE_0 src1_sel:DWORD
	s_mov_b64 s[42:43], -1
	s_and_b64 vcc, exec, s[44:45]
	s_cbranch_vccz .LBB54_160
; %bb.157:
	v_mov_b32_e32 v2, 15
	v_cmp_eq_u16_sdwa s[42:43], s33, v2 src0_sel:BYTE_0 src1_sel:DWORD
	s_mov_b64 s[36:37], -1
	s_and_b64 vcc, exec, s[42:43]
	s_cbranch_vccz .LBB54_159
; %bb.158:
	v_mov_b32_e32 v2, s53
	global_store_short v[8:9], v2, off
	s_mov_b64 s[40:41], -1
	s_mov_b64 s[36:37], 0
.LBB54_159:
	s_mov_b64 s[42:43], 0
.LBB54_160:
	s_and_b64 vcc, exec, s[42:43]
	s_cbranch_vccz .LBB54_163
; %bb.161:
	v_mov_b32_e32 v2, 11
	v_cmp_eq_u16_sdwa s[42:43], s33, v2 src0_sel:BYTE_0 src1_sel:DWORD
	s_mov_b64 s[36:37], -1
	s_and_b64 vcc, exec, s[42:43]
	s_cbranch_vccz .LBB54_163
; %bb.162:
	s_mov_b64 s[40:41], -1
	s_mov_b64 s[36:37], 0
	global_store_byte v[8:9], v12, off
.LBB54_163:
	s_branch .LBB54_113
.LBB54_164:
	v_mov_b32_e32 v2, 5
	v_cmp_lt_i16_sdwa s[42:43], s33, v2 src0_sel:BYTE_0 src1_sel:DWORD
	s_mov_b64 s[40:41], -1
	s_and_b64 vcc, exec, s[42:43]
	s_cbranch_vccnz .LBB54_185
; %bb.165:
	v_mov_b32_e32 v2, 8
	v_cmp_lt_i16_sdwa s[42:43], s33, v2 src0_sel:BYTE_0 src1_sel:DWORD
	s_and_b64 vcc, exec, s[42:43]
	s_cbranch_vccnz .LBB54_175
; %bb.166:
	v_mov_b32_e32 v2, 9
	v_cmp_lt_i16_sdwa s[42:43], s33, v2 src0_sel:BYTE_0 src1_sel:DWORD
	s_and_b64 vcc, exec, s[42:43]
	s_cbranch_vccnz .LBB54_172
; %bb.167:
	v_cmp_gt_i16_sdwa s[42:43], s33, v2 src0_sel:BYTE_0 src1_sel:DWORD
	s_and_b64 vcc, exec, s[42:43]
	s_cbranch_vccz .LBB54_169
; %bb.168:
	v_mov_b32_e32 v2, 0
	v_mov_b32_e32 v3, v2
	s_mov_b64 s[40:41], 0
	global_store_dwordx4 v[8:9], v[0:3], off
.LBB54_169:
	s_andn2_b64 vcc, exec, s[40:41]
	s_cbranch_vccnz .LBB54_171
; %bb.170:
	v_mov_b32_e32 v2, s11
	v_mov_b32_e32 v3, 0
	global_store_dwordx2 v[8:9], v[2:3], off
.LBB54_171:
	s_mov_b64 s[40:41], 0
.LBB54_172:
	s_andn2_b64 vcc, exec, s[40:41]
	s_cbranch_vccnz .LBB54_174
; %bb.173:
	global_store_dword v[8:9], v11, off
.LBB54_174:
	s_mov_b64 s[40:41], 0
.LBB54_175:
	s_andn2_b64 vcc, exec, s[40:41]
	s_cbranch_vccnz .LBB54_184
; %bb.176:
	v_mov_b32_e32 v2, 6
	v_cmp_lt_i16_sdwa s[42:43], s33, v2 src0_sel:BYTE_0 src1_sel:DWORD
	s_mov_b64 s[40:41], -1
	s_and_b64 vcc, exec, s[42:43]
	s_cbranch_vccnz .LBB54_182
; %bb.177:
	v_cmp_gt_i16_sdwa s[42:43], s33, v2 src0_sel:BYTE_0 src1_sel:DWORD
	s_and_b64 vcc, exec, s[42:43]
	s_cbranch_vccz .LBB54_179
; %bb.178:
	s_mov_b64 s[40:41], 0
	global_store_dwordx2 v[8:9], v[0:1], off
.LBB54_179:
	s_andn2_b64 vcc, exec, s[40:41]
	s_cbranch_vccnz .LBB54_181
; %bb.180:
	v_mov_b32_e32 v2, s11
	global_store_dword v[8:9], v2, off
.LBB54_181:
	s_mov_b64 s[40:41], 0
.LBB54_182:
	s_andn2_b64 vcc, exec, s[40:41]
	s_cbranch_vccnz .LBB54_184
; %bb.183:
	global_store_short v[8:9], v11, off
.LBB54_184:
	s_mov_b64 s[40:41], 0
.LBB54_185:
	s_andn2_b64 vcc, exec, s[40:41]
	s_cbranch_vccnz .LBB54_201
; %bb.186:
	v_mov_b32_e32 v2, 2
	v_cmp_lt_i16_sdwa s[42:43], s33, v2 src0_sel:BYTE_0 src1_sel:DWORD
	s_mov_b64 s[40:41], -1
	s_and_b64 vcc, exec, s[42:43]
	s_cbranch_vccnz .LBB54_196
; %bb.187:
	v_mov_b32_e32 v2, 3
	v_cmp_lt_i16_sdwa s[42:43], s33, v2 src0_sel:BYTE_0 src1_sel:DWORD
	s_and_b64 vcc, exec, s[42:43]
	s_cbranch_vccnz .LBB54_193
; %bb.188:
	v_cmp_gt_i16_sdwa s[42:43], s33, v2 src0_sel:BYTE_0 src1_sel:DWORD
	s_and_b64 vcc, exec, s[42:43]
	s_cbranch_vccz .LBB54_190
; %bb.189:
	s_mov_b64 s[40:41], 0
	global_store_dwordx2 v[8:9], v[4:5], off
.LBB54_190:
	s_andn2_b64 vcc, exec, s[40:41]
	s_cbranch_vccnz .LBB54_192
; %bb.191:
	global_store_dword v[8:9], v10, off
.LBB54_192:
	s_mov_b64 s[40:41], 0
.LBB54_193:
	s_andn2_b64 vcc, exec, s[40:41]
	s_cbranch_vccnz .LBB54_195
; %bb.194:
	global_store_short v[8:9], v10, off
.LBB54_195:
	s_mov_b64 s[40:41], 0
.LBB54_196:
	s_andn2_b64 vcc, exec, s[40:41]
	s_cbranch_vccnz .LBB54_201
; %bb.197:
	v_mov_b32_e32 v2, 0
	v_cmp_gt_i16_sdwa s[42:43], s33, v2 src0_sel:BYTE_0 src1_sel:DWORD
	s_mov_b64 s[40:41], -1
	s_and_b64 vcc, exec, s[42:43]
	s_cbranch_vccz .LBB54_199
; %bb.198:
	s_mov_b64 s[40:41], 0
	global_store_byte v[8:9], v10, off
.LBB54_199:
	s_andn2_b64 vcc, exec, s[40:41]
	s_cbranch_vccnz .LBB54_201
; %bb.200:
	global_store_byte v[8:9], v4, off
.LBB54_201:
	s_branch .LBB54_114
.LBB54_202:
	s_mov_b64 s[40:41], 0
                                        ; implicit-def: $vgpr15
.LBB54_203:
	s_andn2_b64 s[42:43], s[30:31], exec
	s_and_b64 s[36:37], s[36:37], exec
	s_or_b64 s[36:37], s[42:43], s[36:37]
	s_orn2_b64 s[42:43], s[40:41], exec
.LBB54_204:
	s_or_b64 exec, exec, s[38:39]
	s_mov_b64 s[44:45], 0
	s_mov_b64 s[40:41], 0
                                        ; implicit-def: $vgpr16
                                        ; implicit-def: $vgpr8_vgpr9
	s_and_saveexec_b64 s[38:39], s[42:43]
	s_cbranch_execz .LBB54_363
; %bb.205:
	v_cmp_gt_i32_e32 vcc, s48, v15
	s_mov_b64 s[46:47], -1
	s_mov_b64 s[42:43], s[36:37]
	s_and_saveexec_b64 s[40:41], vcc
	s_cbranch_execz .LBB54_306
; %bb.206:
	v_mul_lo_u32 v2, v15, s10
	v_ashrrev_i32_e32 v3, 31, v2
	v_mov_b32_e32 v9, s9
	v_add_co_u32_e32 v8, vcc, s8, v2
	v_mov_b32_e32 v2, 11
	v_addc_co_u32_e32 v9, vcc, v9, v3, vcc
	v_cmp_lt_i16_sdwa s[42:43], s33, v2 src0_sel:BYTE_0 src1_sel:DWORD
	s_and_b64 vcc, exec, s[42:43]
	s_cbranch_vccnz .LBB54_213
; %bb.207:
	v_mov_b32_e32 v2, 25
	v_cmp_gt_i16_sdwa s[42:43], s33, v2 src0_sel:BYTE_0 src1_sel:DWORD
	s_and_b64 vcc, exec, s[42:43]
	s_cbranch_vccz .LBB54_214
; %bb.208:
	v_mov_b32_e32 v2, 28
	v_cmp_gt_i16_sdwa s[42:43], s33, v2 src0_sel:BYTE_0 src1_sel:DWORD
	s_and_b64 vcc, exec, s[42:43]
	s_cbranch_vccz .LBB54_215
	;; [unrolled: 5-line block ×4, first 2 shown]
; %bb.211:
	v_mov_b32_e32 v2, 46
	v_cmp_eq_u16_sdwa s[44:45], s33, v2 src0_sel:BYTE_0 src1_sel:DWORD
	s_mov_b64 s[46:47], 0
	s_mov_b64 s[42:43], -1
	s_and_b64 vcc, exec, s[44:45]
	s_mov_b64 s[44:45], 0
	s_cbranch_vccz .LBB54_218
; %bb.212:
	v_mov_b32_e32 v2, s53
	global_store_dword v[8:9], v2, off
	s_mov_b64 s[44:45], -1
	s_mov_b64 s[42:43], 0
	s_branch .LBB54_218
.LBB54_213:
	s_mov_b64 s[42:43], s[36:37]
	s_branch .LBB54_263
.LBB54_214:
	s_mov_b64 s[42:43], s[36:37]
	s_branch .LBB54_240
.LBB54_215:
	s_mov_b64 s[42:43], s[36:37]
	s_branch .LBB54_226
.LBB54_216:
	s_mov_b64 s[42:43], s[36:37]
	s_branch .LBB54_222
.LBB54_217:
	s_mov_b64 s[42:43], s[36:37]
.LBB54_218:
	s_and_b64 vcc, exec, s[46:47]
	s_cbranch_vccz .LBB54_221
; %bb.219:
	v_mov_b32_e32 v2, 44
	v_cmp_eq_u16_sdwa s[46:47], s33, v2 src0_sel:BYTE_0 src1_sel:DWORD
	s_mov_b64 s[42:43], -1
	s_and_b64 vcc, exec, s[46:47]
	s_cbranch_vccz .LBB54_221
; %bb.220:
	v_mov_b32_e32 v2, 0xff
	v_cndmask_b32_e64 v2, v14, v2, s[0:1]
	s_mov_b64 s[44:45], -1
	s_mov_b64 s[42:43], 0
	global_store_byte v[8:9], v2, off
.LBB54_221:
	s_mov_b64 s[46:47], 0
.LBB54_222:
	s_and_b64 vcc, exec, s[46:47]
	s_cbranch_vccz .LBB54_225
; %bb.223:
	v_mov_b32_e32 v2, 29
	v_cmp_eq_u16_sdwa s[46:47], s33, v2 src0_sel:BYTE_0 src1_sel:DWORD
	s_mov_b64 s[42:43], -1
	s_and_b64 vcc, exec, s[46:47]
	s_cbranch_vccz .LBB54_225
; %bb.224:
	global_store_dwordx2 v[8:9], v[6:7], off
	s_mov_b64 s[44:45], -1
	s_mov_b64 s[42:43], 0
.LBB54_225:
	s_mov_b64 s[46:47], 0
.LBB54_226:
	s_and_b64 vcc, exec, s[46:47]
	s_cbranch_vccz .LBB54_239
; %bb.227:
	v_mov_b32_e32 v2, 27
	v_cmp_lt_i16_sdwa s[46:47], s33, v2 src0_sel:BYTE_0 src1_sel:DWORD
	s_mov_b64 s[44:45], -1
	s_and_b64 vcc, exec, s[46:47]
	s_cbranch_vccnz .LBB54_233
; %bb.228:
	v_cmp_gt_i16_sdwa s[46:47], s33, v2 src0_sel:BYTE_0 src1_sel:DWORD
	s_and_b64 vcc, exec, s[46:47]
	s_cbranch_vccz .LBB54_230
; %bb.229:
	s_mov_b64 s[44:45], 0
	global_store_dword v[8:9], v13, off
.LBB54_230:
	s_andn2_b64 vcc, exec, s[44:45]
	s_cbranch_vccnz .LBB54_232
; %bb.231:
	global_store_short v[8:9], v13, off
.LBB54_232:
	s_mov_b64 s[44:45], 0
.LBB54_233:
	s_andn2_b64 vcc, exec, s[44:45]
	s_cbranch_vccnz .LBB54_238
; %bb.234:
	s_andn2_b64 vcc, exec, s[26:27]
	s_movk_i32 s44, 0x80
	s_cbranch_vccnz .LBB54_237
; %bb.235:
	s_or_b64 s[44:45], s[24:25], s[28:29]
	s_andn2_b64 vcc, exec, s[44:45]
	s_mov_b32 s44, 0
	s_cbranch_vccnz .LBB54_237
; %bb.236:
	s_and_b64 s[44:45], s[24:25], exec
	s_cselect_b32 s44, s62, s63
	s_or_b32 s44, s44, s52
.LBB54_237:
	v_mov_b32_e32 v2, s44
	global_store_byte v[8:9], v2, off
.LBB54_238:
	s_mov_b64 s[44:45], -1
.LBB54_239:
	s_mov_b64 s[46:47], 0
.LBB54_240:
	s_and_b64 vcc, exec, s[46:47]
	s_cbranch_vccz .LBB54_262
; %bb.241:
	v_mov_b32_e32 v2, 22
	v_cmp_gt_i16_sdwa s[50:51], s33, v2 src0_sel:BYTE_0 src1_sel:DWORD
	s_mov_b64 s[46:47], -1
	s_and_b64 vcc, exec, s[50:51]
	s_cbranch_vccz .LBB54_254
; %bb.242:
	v_mov_b32_e32 v2, 24
	v_cmp_lt_i16_sdwa s[46:47], s33, v2 src0_sel:BYTE_0 src1_sel:DWORD
	s_mov_b64 s[44:45], -1
	s_and_b64 vcc, exec, s[46:47]
	s_cbranch_vccnz .LBB54_251
; %bb.243:
	v_cmp_gt_i16_sdwa s[46:47], s33, v2 src0_sel:BYTE_0 src1_sel:DWORD
	s_and_b64 vcc, exec, s[46:47]
	s_cbranch_vccz .LBB54_248
; %bb.244:
	s_andn2_b64 vcc, exec, s[20:21]
	s_movk_i32 s44, 0x80
	s_cbranch_vccnz .LBB54_247
; %bb.245:
	s_or_b64 s[44:45], s[18:19], s[22:23]
	s_andn2_b64 vcc, exec, s[44:45]
	s_mov_b32 s44, 0
	s_cbranch_vccnz .LBB54_247
; %bb.246:
	s_and_b64 s[44:45], s[18:19], exec
	s_cselect_b32 s44, s59, s61
	s_or_b32 s44, s44, s52
.LBB54_247:
	v_mov_b32_e32 v2, s44
	s_mov_b64 s[44:45], 0
	global_store_byte v[8:9], v2, off
.LBB54_248:
	s_and_b64 vcc, exec, s[44:45]
	s_cbranch_vccz .LBB54_250
; %bb.249:
	s_and_b64 s[44:45], s[16:17], exec
	s_cselect_b32 s46, s58, s57
	s_and_b64 s[44:45], s[14:15], exec
	s_cselect_b32 s44, s60, s46
	s_or_b32 s44, s44, s52
	v_mov_b32_e32 v2, s44
	global_store_byte v[8:9], v2, off
.LBB54_250:
	s_mov_b64 s[44:45], 0
.LBB54_251:
	s_andn2_b64 vcc, exec, s[44:45]
	s_cbranch_vccnz .LBB54_253
; %bb.252:
	s_and_b64 s[44:45], s[12:13], exec
	s_cselect_b32 s46, s55, s54
	s_and_b64 s[44:45], s[6:7], exec
	s_cselect_b32 s44, s56, s46
	s_or_b32 s44, s44, s52
	v_mov_b32_e32 v2, s44
	global_store_byte v[8:9], v2, off
.LBB54_253:
	s_mov_b64 s[46:47], 0
	s_mov_b64 s[44:45], -1
.LBB54_254:
	s_andn2_b64 vcc, exec, s[46:47]
	s_cbranch_vccnz .LBB54_262
; %bb.255:
	v_mov_b32_e32 v2, 14
	v_cmp_gt_i16_sdwa s[50:51], s33, v2 src0_sel:BYTE_0 src1_sel:DWORD
	s_mov_b64 s[46:47], -1
	s_and_b64 vcc, exec, s[50:51]
	s_cbranch_vccz .LBB54_259
; %bb.256:
	v_mov_b32_e32 v2, 15
	v_cmp_eq_u16_sdwa s[46:47], s33, v2 src0_sel:BYTE_0 src1_sel:DWORD
	s_mov_b64 s[42:43], -1
	s_and_b64 vcc, exec, s[46:47]
	s_cbranch_vccz .LBB54_258
; %bb.257:
	v_mov_b32_e32 v2, s53
	global_store_short v[8:9], v2, off
	s_mov_b64 s[44:45], -1
	s_mov_b64 s[42:43], 0
.LBB54_258:
	s_mov_b64 s[46:47], 0
.LBB54_259:
	s_and_b64 vcc, exec, s[46:47]
	s_cbranch_vccz .LBB54_262
; %bb.260:
	v_mov_b32_e32 v2, 11
	v_cmp_eq_u16_sdwa s[46:47], s33, v2 src0_sel:BYTE_0 src1_sel:DWORD
	s_mov_b64 s[42:43], -1
	s_and_b64 vcc, exec, s[46:47]
	s_cbranch_vccz .LBB54_262
; %bb.261:
	s_mov_b64 s[44:45], -1
	s_mov_b64 s[42:43], 0
	global_store_byte v[8:9], v12, off
.LBB54_262:
	s_mov_b64 s[46:47], 0
.LBB54_263:
	s_and_b64 vcc, exec, s[46:47]
	s_cbranch_vccz .LBB54_302
; %bb.264:
	v_mov_b32_e32 v2, 5
	v_cmp_lt_i16_sdwa s[46:47], s33, v2 src0_sel:BYTE_0 src1_sel:DWORD
	s_mov_b64 s[44:45], -1
	s_and_b64 vcc, exec, s[46:47]
	s_cbranch_vccnz .LBB54_285
; %bb.265:
	v_mov_b32_e32 v2, 8
	v_cmp_lt_i16_sdwa s[46:47], s33, v2 src0_sel:BYTE_0 src1_sel:DWORD
	s_and_b64 vcc, exec, s[46:47]
	s_cbranch_vccnz .LBB54_275
; %bb.266:
	v_mov_b32_e32 v2, 9
	v_cmp_lt_i16_sdwa s[46:47], s33, v2 src0_sel:BYTE_0 src1_sel:DWORD
	s_and_b64 vcc, exec, s[46:47]
	s_cbranch_vccnz .LBB54_272
; %bb.267:
	v_cmp_gt_i16_sdwa s[46:47], s33, v2 src0_sel:BYTE_0 src1_sel:DWORD
	s_and_b64 vcc, exec, s[46:47]
	s_cbranch_vccz .LBB54_269
; %bb.268:
	v_mov_b32_e32 v2, 0
	v_mov_b32_e32 v3, v2
	s_mov_b64 s[44:45], 0
	global_store_dwordx4 v[8:9], v[0:3], off
.LBB54_269:
	s_andn2_b64 vcc, exec, s[44:45]
	s_cbranch_vccnz .LBB54_271
; %bb.270:
	v_mov_b32_e32 v2, s11
	v_mov_b32_e32 v3, 0
	global_store_dwordx2 v[8:9], v[2:3], off
.LBB54_271:
	s_mov_b64 s[44:45], 0
.LBB54_272:
	s_andn2_b64 vcc, exec, s[44:45]
	s_cbranch_vccnz .LBB54_274
; %bb.273:
	global_store_dword v[8:9], v11, off
.LBB54_274:
	s_mov_b64 s[44:45], 0
.LBB54_275:
	s_andn2_b64 vcc, exec, s[44:45]
	s_cbranch_vccnz .LBB54_284
; %bb.276:
	v_mov_b32_e32 v2, 6
	v_cmp_lt_i16_sdwa s[46:47], s33, v2 src0_sel:BYTE_0 src1_sel:DWORD
	s_mov_b64 s[44:45], -1
	s_and_b64 vcc, exec, s[46:47]
	s_cbranch_vccnz .LBB54_282
; %bb.277:
	v_cmp_gt_i16_sdwa s[46:47], s33, v2 src0_sel:BYTE_0 src1_sel:DWORD
	s_and_b64 vcc, exec, s[46:47]
	s_cbranch_vccz .LBB54_279
; %bb.278:
	s_mov_b64 s[44:45], 0
	global_store_dwordx2 v[8:9], v[0:1], off
.LBB54_279:
	s_andn2_b64 vcc, exec, s[44:45]
	s_cbranch_vccnz .LBB54_281
; %bb.280:
	v_mov_b32_e32 v2, s11
	global_store_dword v[8:9], v2, off
.LBB54_281:
	s_mov_b64 s[44:45], 0
.LBB54_282:
	s_andn2_b64 vcc, exec, s[44:45]
	s_cbranch_vccnz .LBB54_284
; %bb.283:
	global_store_short v[8:9], v11, off
.LBB54_284:
	s_mov_b64 s[44:45], 0
.LBB54_285:
	s_andn2_b64 vcc, exec, s[44:45]
	s_cbranch_vccnz .LBB54_301
; %bb.286:
	v_mov_b32_e32 v2, 2
	v_cmp_lt_i16_sdwa s[46:47], s33, v2 src0_sel:BYTE_0 src1_sel:DWORD
	s_mov_b64 s[44:45], -1
	s_and_b64 vcc, exec, s[46:47]
	s_cbranch_vccnz .LBB54_296
; %bb.287:
	v_mov_b32_e32 v2, 3
	v_cmp_lt_i16_sdwa s[46:47], s33, v2 src0_sel:BYTE_0 src1_sel:DWORD
	s_and_b64 vcc, exec, s[46:47]
	s_cbranch_vccnz .LBB54_293
; %bb.288:
	v_cmp_gt_i16_sdwa s[46:47], s33, v2 src0_sel:BYTE_0 src1_sel:DWORD
	s_and_b64 vcc, exec, s[46:47]
	s_cbranch_vccz .LBB54_290
; %bb.289:
	s_mov_b64 s[44:45], 0
	global_store_dwordx2 v[8:9], v[4:5], off
.LBB54_290:
	s_andn2_b64 vcc, exec, s[44:45]
	s_cbranch_vccnz .LBB54_292
; %bb.291:
	global_store_dword v[8:9], v10, off
.LBB54_292:
	s_mov_b64 s[44:45], 0
.LBB54_293:
	s_andn2_b64 vcc, exec, s[44:45]
	s_cbranch_vccnz .LBB54_295
; %bb.294:
	global_store_short v[8:9], v10, off
.LBB54_295:
	s_mov_b64 s[44:45], 0
.LBB54_296:
	s_andn2_b64 vcc, exec, s[44:45]
	s_cbranch_vccnz .LBB54_301
; %bb.297:
	v_mov_b32_e32 v2, 0
	v_cmp_gt_i16_sdwa s[46:47], s33, v2 src0_sel:BYTE_0 src1_sel:DWORD
	s_mov_b64 s[44:45], -1
	s_and_b64 vcc, exec, s[46:47]
	s_cbranch_vccz .LBB54_299
; %bb.298:
	s_mov_b64 s[44:45], 0
	global_store_byte v[8:9], v10, off
.LBB54_299:
	s_andn2_b64 vcc, exec, s[44:45]
	s_cbranch_vccnz .LBB54_301
; %bb.300:
	global_store_byte v[8:9], v4, off
.LBB54_301:
	s_mov_b64 s[44:45], -1
.LBB54_302:
	s_andn2_b64 vcc, exec, s[44:45]
	s_cbranch_vccnz .LBB54_304
; %bb.303:
	v_add_u32_e32 v15, 0x80, v15
	s_mov_b64 s[44:45], -1
	s_branch .LBB54_305
.LBB54_304:
	s_mov_b64 s[44:45], 0
                                        ; implicit-def: $vgpr15
.LBB54_305:
	s_andn2_b64 s[46:47], s[36:37], exec
	s_and_b64 s[42:43], s[42:43], exec
	s_or_b64 s[42:43], s[46:47], s[42:43]
	s_orn2_b64 s[46:47], s[44:45], exec
.LBB54_306:
	s_or_b64 exec, exec, s[40:41]
	s_mov_b64 s[44:45], 0
	s_mov_b64 s[50:51], 0
                                        ; implicit-def: $vgpr16
                                        ; implicit-def: $vgpr8_vgpr9
	s_and_saveexec_b64 s[40:41], s[46:47]
	s_cbranch_execz .LBB54_362
; %bb.307:
	v_cmp_gt_i32_e32 vcc, s48, v15
	s_mov_b64 s[48:49], 0
	s_mov_b64 s[46:47], s[42:43]
                                        ; implicit-def: $vgpr16
                                        ; implicit-def: $vgpr8_vgpr9
	s_and_saveexec_b64 s[44:45], vcc
	s_cbranch_execz .LBB54_361
; %bb.308:
	v_mul_lo_u32 v2, v15, s10
	v_ashrrev_i32_e32 v3, 31, v2
	v_mov_b32_e32 v9, s9
	v_add_co_u32_e32 v8, vcc, s8, v2
	v_mov_b32_e32 v2, 0xff
	v_addc_co_u32_e32 v9, vcc, v9, v3, vcc
	v_and_b32_e32 v16, s33, v2
	v_cmp_gt_i16_e32 vcc, 11, v16
	s_cbranch_vccnz .LBB54_358
; %bb.309:
	v_cmp_lt_i16_e32 vcc, 25, v16
	s_mov_b64 s[48:49], -1
	s_mov_b64 s[46:47], s[42:43]
	s_cbranch_vccz .LBB54_337
; %bb.310:
	v_cmp_lt_i16_e32 vcc, 28, v16
	s_mov_b64 s[46:47], s[42:43]
	s_cbranch_vccz .LBB54_324
; %bb.311:
	v_cmp_lt_i16_e32 vcc, 43, v16
	;; [unrolled: 4-line block ×3, first 2 shown]
	s_mov_b64 s[46:47], s[42:43]
	s_cbranch_vccz .LBB54_316
; %bb.313:
	v_cmp_eq_u16_e32 vcc, 46, v16
	s_mov_b64 s[46:47], -1
	s_cbranch_vccz .LBB54_315
; %bb.314:
	v_mov_b32_e32 v2, s53
	global_store_dword v[8:9], v2, off
	s_mov_b64 s[46:47], 0
.LBB54_315:
	s_mov_b64 s[48:49], 0
.LBB54_316:
	s_and_b64 vcc, exec, s[48:49]
	s_cbranch_vccz .LBB54_319
; %bb.317:
	v_cmp_eq_u16_e32 vcc, 44, v16
	s_mov_b64 s[46:47], -1
	s_cbranch_vccz .LBB54_319
; %bb.318:
	v_mov_b32_e32 v2, 0xff
	v_cndmask_b32_e64 v2, v14, v2, s[0:1]
	global_store_byte v[8:9], v2, off
	s_mov_b64 s[46:47], 0
.LBB54_319:
	s_mov_b64 s[48:49], 0
.LBB54_320:
	s_and_b64 vcc, exec, s[48:49]
	s_cbranch_vccz .LBB54_323
; %bb.321:
	v_cmp_eq_u16_e32 vcc, 29, v16
	s_mov_b64 s[46:47], -1
	s_cbranch_vccz .LBB54_323
; %bb.322:
	global_store_dwordx2 v[8:9], v[6:7], off
	s_mov_b64 s[46:47], 0
.LBB54_323:
	s_mov_b64 s[48:49], 0
.LBB54_324:
	s_and_b64 vcc, exec, s[48:49]
	s_cbranch_vccz .LBB54_336
; %bb.325:
	v_cmp_gt_i16_e32 vcc, 27, v16
	s_mov_b64 s[0:1], -1
	s_cbranch_vccnz .LBB54_331
; %bb.326:
	v_cmp_lt_i16_e32 vcc, 27, v16
	s_cbranch_vccz .LBB54_328
; %bb.327:
	s_mov_b64 s[0:1], 0
	global_store_dword v[8:9], v13, off
.LBB54_328:
	s_andn2_b64 vcc, exec, s[0:1]
	s_cbranch_vccnz .LBB54_330
; %bb.329:
	global_store_short v[8:9], v13, off
.LBB54_330:
	s_mov_b64 s[0:1], 0
.LBB54_331:
	s_andn2_b64 vcc, exec, s[0:1]
	s_cbranch_vccnz .LBB54_336
; %bb.332:
	s_andn2_b64 vcc, exec, s[26:27]
	s_movk_i32 s0, 0x80
	s_cbranch_vccnz .LBB54_335
; %bb.333:
	s_or_b64 s[0:1], s[24:25], s[28:29]
	s_andn2_b64 vcc, exec, s[0:1]
	s_mov_b32 s0, 0
	s_cbranch_vccnz .LBB54_335
; %bb.334:
	s_and_b64 s[0:1], s[24:25], exec
	s_cselect_b32 s0, s62, s63
	s_or_b32 s0, s0, s52
.LBB54_335:
	v_mov_b32_e32 v2, s0
	global_store_byte v[8:9], v2, off
.LBB54_336:
	s_mov_b64 s[48:49], 0
.LBB54_337:
	s_mov_b64 s[0:1], 0
	s_and_b64 vcc, exec, s[48:49]
	s_cbranch_vccz .LBB54_359
; %bb.338:
	v_cmp_lt_i16_e32 vcc, 22, v16
	s_mov_b64 s[24:25], -1
	s_cbranch_vccz .LBB54_351
; %bb.339:
	v_cmp_gt_i16_e32 vcc, 24, v16
	s_cbranch_vccnz .LBB54_348
; %bb.340:
	v_cmp_lt_i16_e32 vcc, 24, v16
	s_cbranch_vccz .LBB54_345
; %bb.341:
	s_andn2_b64 vcc, exec, s[20:21]
	s_movk_i32 s20, 0x80
	s_cbranch_vccnz .LBB54_344
; %bb.342:
	s_or_b64 s[20:21], s[18:19], s[22:23]
	s_andn2_b64 vcc, exec, s[20:21]
	s_mov_b32 s20, 0
	s_cbranch_vccnz .LBB54_344
; %bb.343:
	s_and_b64 s[18:19], s[18:19], exec
	s_cselect_b32 s18, s59, s61
	s_or_b32 s20, s18, s52
.LBB54_344:
	v_mov_b32_e32 v2, s20
	s_mov_b64 s[24:25], 0
	global_store_byte v[8:9], v2, off
.LBB54_345:
	s_and_b64 vcc, exec, s[24:25]
	s_cbranch_vccz .LBB54_347
; %bb.346:
	s_and_b64 s[16:17], s[16:17], exec
	s_cselect_b32 s16, s58, s57
	s_and_b64 s[14:15], s[14:15], exec
	s_cselect_b32 s14, s60, s16
	s_or_b32 s14, s14, s52
	v_mov_b32_e32 v2, s14
	global_store_byte v[8:9], v2, off
.LBB54_347:
	s_mov_b64 s[24:25], 0
.LBB54_348:
	s_andn2_b64 vcc, exec, s[24:25]
	s_cbranch_vccnz .LBB54_350
; %bb.349:
	s_and_b64 s[12:13], s[12:13], exec
	s_cselect_b32 s12, s55, s54
	s_and_b64 s[6:7], s[6:7], exec
	s_cselect_b32 s6, s56, s12
	s_or_b32 s6, s6, s52
	v_mov_b32_e32 v2, s6
	global_store_byte v[8:9], v2, off
.LBB54_350:
	s_mov_b64 s[24:25], 0
.LBB54_351:
	s_andn2_b64 vcc, exec, s[24:25]
	s_mov_b64 s[6:7], 0
	s_cbranch_vccnz .LBB54_360
; %bb.352:
	v_cmp_lt_i16_e32 vcc, 14, v16
	s_mov_b64 s[12:13], -1
	s_cbranch_vccz .LBB54_356
; %bb.353:
	v_cmp_eq_u16_e32 vcc, 15, v16
	s_mov_b64 s[46:47], -1
	s_cbranch_vccz .LBB54_355
; %bb.354:
	v_mov_b32_e32 v2, s53
	global_store_short v[8:9], v2, off
	s_mov_b64 s[46:47], 0
.LBB54_355:
	s_mov_b64 s[12:13], 0
.LBB54_356:
	s_and_b64 vcc, exec, s[12:13]
	s_cbranch_vccz .LBB54_360
; %bb.357:
	v_cmp_ne_u16_e32 vcc, 11, v16
	s_andn2_b64 s[12:13], s[46:47], exec
	s_and_b64 s[14:15], vcc, exec
	s_mov_b64 s[6:7], -1
	s_or_b64 s[46:47], s[12:13], s[14:15]
	s_branch .LBB54_360
.LBB54_358:
	s_mov_b64 s[6:7], 0
	s_mov_b64 s[0:1], -1
	s_mov_b64 s[46:47], s[42:43]
	s_branch .LBB54_360
.LBB54_359:
	s_mov_b64 s[6:7], 0
.LBB54_360:
	s_and_b64 s[50:51], s[0:1], exec
	s_and_b64 s[48:49], s[6:7], exec
	s_andn2_b64 s[0:1], s[42:43], exec
	s_and_b64 s[6:7], s[46:47], exec
	s_or_b64 s[46:47], s[0:1], s[6:7]
.LBB54_361:
	s_or_b64 exec, exec, s[44:45]
	s_andn2_b64 s[0:1], s[42:43], exec
	s_and_b64 s[6:7], s[46:47], exec
	s_and_b64 s[50:51], s[50:51], exec
	;; [unrolled: 1-line block ×3, first 2 shown]
	s_or_b64 s[42:43], s[0:1], s[6:7]
.LBB54_362:
	s_or_b64 exec, exec, s[40:41]
	s_andn2_b64 s[0:1], s[36:37], exec
	s_and_b64 s[6:7], s[42:43], exec
	s_and_b64 s[40:41], s[50:51], exec
	;; [unrolled: 1-line block ×3, first 2 shown]
	s_or_b64 s[36:37], s[0:1], s[6:7]
.LBB54_363:
	s_or_b64 exec, exec, s[38:39]
	s_andn2_b64 s[0:1], s[30:31], exec
	s_and_b64 s[6:7], s[36:37], exec
	s_and_b64 s[40:41], s[40:41], exec
	;; [unrolled: 1-line block ×3, first 2 shown]
	s_or_b64 s[30:31], s[0:1], s[6:7]
	s_or_b64 exec, exec, s[34:35]
	s_mov_b64 s[0:1], 0
	s_and_saveexec_b64 s[6:7], s[30:31]
	s_cbranch_execz .LBB54_110
.LBB54_364:
	s_mov_b64 s[0:1], exec
	s_andn2_b64 s[38:39], s[38:39], exec
	s_trap 2
	s_or_b64 exec, exec, s[6:7]
	s_and_saveexec_b64 s[6:7], s[38:39]
	s_xor_b64 s[6:7], exec, s[6:7]
	s_cbranch_execnz .LBB54_111
.LBB54_365:
	s_or_b64 exec, exec, s[6:7]
	s_and_saveexec_b64 s[6:7], s[40:41]
	s_xor_b64 s[6:7], exec, s[6:7]
	s_cbranch_execz .LBB54_403
.LBB54_366:
	v_cmp_gt_i16_e32 vcc, 5, v16
	s_mov_b64 s[12:13], -1
	s_cbranch_vccnz .LBB54_387
; %bb.367:
	v_cmp_gt_i16_e32 vcc, 8, v16
	s_cbranch_vccnz .LBB54_377
; %bb.368:
	v_cmp_gt_i16_e32 vcc, 9, v16
	s_cbranch_vccnz .LBB54_374
; %bb.369:
	v_cmp_lt_i16_e32 vcc, 9, v16
	s_cbranch_vccz .LBB54_371
; %bb.370:
	v_mov_b32_e32 v2, 0
	v_mov_b32_e32 v3, v2
	s_mov_b64 s[12:13], 0
	global_store_dwordx4 v[8:9], v[0:3], off
.LBB54_371:
	s_andn2_b64 vcc, exec, s[12:13]
	s_cbranch_vccnz .LBB54_373
; %bb.372:
	v_mov_b32_e32 v2, s11
	v_mov_b32_e32 v3, 0
	global_store_dwordx2 v[8:9], v[2:3], off
.LBB54_373:
	s_mov_b64 s[12:13], 0
.LBB54_374:
	s_andn2_b64 vcc, exec, s[12:13]
	s_cbranch_vccnz .LBB54_376
; %bb.375:
	global_store_dword v[8:9], v11, off
.LBB54_376:
	s_mov_b64 s[12:13], 0
.LBB54_377:
	s_andn2_b64 vcc, exec, s[12:13]
	s_cbranch_vccnz .LBB54_386
; %bb.378:
	v_cmp_gt_i16_e32 vcc, 6, v16
	s_mov_b64 s[12:13], -1
	s_cbranch_vccnz .LBB54_384
; %bb.379:
	v_cmp_lt_i16_e32 vcc, 6, v16
	s_cbranch_vccz .LBB54_381
; %bb.380:
	s_mov_b64 s[12:13], 0
	global_store_dwordx2 v[8:9], v[0:1], off
.LBB54_381:
	s_andn2_b64 vcc, exec, s[12:13]
	s_cbranch_vccnz .LBB54_383
; %bb.382:
	v_mov_b32_e32 v0, s11
	global_store_dword v[8:9], v0, off
.LBB54_383:
	s_mov_b64 s[12:13], 0
.LBB54_384:
	s_andn2_b64 vcc, exec, s[12:13]
	s_cbranch_vccnz .LBB54_386
; %bb.385:
	global_store_short v[8:9], v11, off
.LBB54_386:
	s_mov_b64 s[12:13], 0
.LBB54_387:
	s_andn2_b64 vcc, exec, s[12:13]
	s_cbranch_vccnz .LBB54_403
; %bb.388:
	v_cmp_gt_i16_e32 vcc, 2, v16
	s_mov_b64 s[12:13], -1
	s_cbranch_vccnz .LBB54_398
; %bb.389:
	v_cmp_gt_i16_e32 vcc, 3, v16
	s_cbranch_vccnz .LBB54_395
; %bb.390:
	v_cmp_lt_i16_e32 vcc, 3, v16
	s_cbranch_vccz .LBB54_392
; %bb.391:
	s_mov_b64 s[12:13], 0
	global_store_dwordx2 v[8:9], v[4:5], off
.LBB54_392:
	s_andn2_b64 vcc, exec, s[12:13]
	s_cbranch_vccnz .LBB54_394
; %bb.393:
	global_store_dword v[8:9], v10, off
.LBB54_394:
	s_mov_b64 s[12:13], 0
.LBB54_395:
	s_andn2_b64 vcc, exec, s[12:13]
	s_cbranch_vccnz .LBB54_397
; %bb.396:
	global_store_short v[8:9], v10, off
.LBB54_397:
	s_mov_b64 s[12:13], 0
.LBB54_398:
	s_andn2_b64 vcc, exec, s[12:13]
	s_cbranch_vccnz .LBB54_403
; %bb.399:
	v_cmp_lt_i16_e32 vcc, 0, v16
	s_mov_b64 s[12:13], -1
	s_cbranch_vccz .LBB54_401
; %bb.400:
	s_mov_b64 s[12:13], 0
	global_store_byte v[8:9], v10, off
.LBB54_401:
	s_andn2_b64 vcc, exec, s[12:13]
	s_cbranch_vccnz .LBB54_403
; %bb.402:
	global_store_byte v[8:9], v4, off
.LBB54_403:
	s_or_b64 exec, exec, s[6:7]
	s_and_b64 s[0:1], s[0:1], exec
                                        ; implicit-def: $vgpr15
.LBB54_404:
	s_or_saveexec_b64 s[2:3], s[2:3]
	s_mov_b64 s[12:13], 0
                                        ; implicit-def: $vgpr2
                                        ; implicit-def: $vgpr0_vgpr1
	s_xor_b64 exec, exec, s[2:3]
	s_cbranch_execz .LBB54_412
; %bb.405:
	v_mul_lo_u32 v2, s10, v15
	v_ashrrev_i32_e32 v1, 31, v2
	v_mov_b32_e32 v3, s9
	v_add_co_u32_e32 v0, vcc, s8, v2
	v_addc_co_u32_e32 v1, vcc, v3, v1, vcc
	v_mov_b32_e32 v3, 11
	v_cmp_lt_i16_sdwa s[4:5], s33, v3 src0_sel:BYTE_0 src1_sel:DWORD
	s_and_b64 vcc, exec, s[4:5]
	s_cbranch_vccnz .LBB54_415
; %bb.406:
	v_mov_b32_e32 v3, 25
	v_cmp_gt_i16_sdwa s[4:5], s33, v3 src0_sel:BYTE_0 src1_sel:DWORD
	s_mov_b64 s[6:7], -1
	s_and_b64 vcc, exec, s[4:5]
	s_mov_b64 s[14:15], 0
	s_mov_b64 s[4:5], 0
	s_cbranch_vccz .LBB54_448
; %bb.407:
	v_mov_b32_e32 v3, 28
	v_cmp_gt_i16_sdwa s[4:5], s33, v3 src0_sel:BYTE_0 src1_sel:DWORD
	s_and_b64 vcc, exec, s[4:5]
	s_cbranch_vccz .LBB54_417
; %bb.408:
	v_mov_b32_e32 v3, 43
	v_cmp_gt_i16_sdwa s[4:5], s33, v3 src0_sel:BYTE_0 src1_sel:DWORD
	s_and_b64 vcc, exec, s[4:5]
	;; [unrolled: 5-line block ×3, first 2 shown]
	s_cbranch_vccz .LBB54_419
; %bb.410:
	v_mov_b32_e32 v3, 46
	v_cmp_eq_u16_sdwa s[14:15], s33, v3 src0_sel:BYTE_0 src1_sel:DWORD
	s_mov_b64 s[4:5], -1
	s_mov_b64 s[6:7], 0
	s_and_b64 vcc, exec, s[14:15]
	s_mov_b64 s[14:15], 0
	s_cbranch_vccz .LBB54_420
; %bb.411:
	s_bfe_u32 s4, s11, 0x10010
	s_add_i32 s4, s11, s4
	s_addk_i32 s4, 0x7fff
	s_lshr_b32 s14, s4, 16
	v_cmp_o_f32_e64 s[4:5], s11, s11
	s_and_b64 s[4:5], s[4:5], exec
	s_cselect_b32 s4, s14, 0x7fc0
	v_mov_b32_e32 v3, s4
	global_store_dword v[0:1], v3, off
	s_mov_b64 s[4:5], 0
	s_mov_b64 s[14:15], -1
	s_branch .LBB54_420
.LBB54_412:
	s_or_b64 exec, exec, s[2:3]
	s_and_saveexec_b64 s[2:3], s[0:1]
	s_cbranch_execz .LBB54_842
.LBB54_413:
	; divergent unreachable
	s_or_b64 exec, exec, s[2:3]
	s_and_saveexec_b64 s[0:1], s[4:5]
	s_xor_b64 s[0:1], exec, s[0:1]
	s_cbranch_execnz .LBB54_843
.LBB54_414:
	s_or_b64 exec, exec, s[0:1]
	s_and_saveexec_b64 s[0:1], s[12:13]
	s_cbranch_execnz .LBB54_844
	s_branch .LBB54_881
.LBB54_415:
	s_mov_b64 s[14:15], 0
	s_mov_b64 s[6:7], s[0:1]
	s_cbranch_execnz .LBB54_498
.LBB54_416:
	s_andn2_b64 vcc, exec, s[14:15]
	s_cbranch_vccz .LBB54_536
	s_branch .LBB54_840
.LBB54_417:
	s_mov_b64 s[4:5], 0
	s_branch .LBB54_429
.LBB54_418:
	s_mov_b64 s[4:5], 0
	s_and_b64 vcc, exec, s[6:7]
	s_cbranch_vccnz .LBB54_426
	s_branch .LBB54_428
.LBB54_419:
	s_mov_b64 s[4:5], 0
.LBB54_420:
	s_and_b64 vcc, exec, s[6:7]
	s_cbranch_vccz .LBB54_425
; %bb.421:
	v_mov_b32_e32 v3, 44
	v_cmp_eq_u16_sdwa s[6:7], s33, v3 src0_sel:BYTE_0 src1_sel:DWORD
	s_mov_b64 s[4:5], -1
	s_and_b64 vcc, exec, s[6:7]
	s_cbranch_vccz .LBB54_425
; %bb.422:
	s_bfe_u32 s4, s11, 0x80017
	s_cmpk_eq_i32 s4, 0xff
	v_mov_b32_e32 v3, 0xff
	s_cbranch_scc1 .LBB54_424
; %bb.423:
	s_lshr_b32 s14, s11, 23
	s_bitcmp1_b32 s11, 22
	s_cselect_b64 s[6:7], -1, 0
	s_and_b32 s5, s11, 0x3fffff
	s_or_b32 s4, s4, s5
	s_cmp_lg_u32 s4, 0
	s_cselect_b64 s[4:5], -1, 0
	s_and_b64 s[4:5], s[6:7], s[4:5]
	v_cndmask_b32_e64 v3, 0, 1, s[4:5]
	v_add_u32_e32 v3, s14, v3
.LBB54_424:
	s_mov_b64 s[4:5], 0
	s_mov_b64 s[14:15], -1
	global_store_byte v[0:1], v3, off
.LBB54_425:
	s_branch .LBB54_428
.LBB54_426:
	v_mov_b32_e32 v3, 29
	v_cmp_eq_u16_sdwa s[6:7], s33, v3 src0_sel:BYTE_0 src1_sel:DWORD
	s_mov_b64 s[4:5], -1
	s_and_b64 vcc, exec, s[6:7]
	s_cbranch_vccz .LBB54_428
; %bb.427:
	v_trunc_f32_e32 v3, s11
	v_mul_f32_e32 v4, 0x2f800000, v3
	v_floor_f32_e32 v4, v4
	v_fmac_f32_e32 v3, 0xcf800000, v4
	v_cvt_u32_f32_e32 v5, v4
	v_cvt_u32_f32_e32 v4, v3
	s_mov_b64 s[4:5], 0
	s_mov_b64 s[14:15], -1
	s_mov_b64 s[6:7], 0
	global_store_dwordx2 v[0:1], v[4:5], off
	s_branch .LBB54_429
.LBB54_428:
	s_mov_b64 s[6:7], 0
.LBB54_429:
	s_and_b64 vcc, exec, s[6:7]
	s_cbranch_vccz .LBB54_447
; %bb.430:
	v_mov_b32_e32 v3, 27
	v_cmp_lt_i16_sdwa s[14:15], s33, v3 src0_sel:BYTE_0 src1_sel:DWORD
	s_mov_b64 s[6:7], -1
	s_and_b64 vcc, exec, s[14:15]
	s_cbranch_vccnz .LBB54_436
; %bb.431:
	v_cmp_gt_i16_sdwa s[14:15], s33, v3 src0_sel:BYTE_0 src1_sel:DWORD
	s_and_b64 vcc, exec, s[14:15]
	s_cbranch_vccz .LBB54_433
; %bb.432:
	v_cvt_u32_f32_e32 v3, s11
	s_mov_b64 s[6:7], 0
	global_store_dword v[0:1], v3, off
.LBB54_433:
	s_andn2_b64 vcc, exec, s[6:7]
	s_cbranch_vccnz .LBB54_435
; %bb.434:
	v_cvt_u32_f32_e32 v3, s11
	global_store_short v[0:1], v3, off
.LBB54_435:
	s_mov_b64 s[6:7], 0
.LBB54_436:
	s_andn2_b64 vcc, exec, s[6:7]
	s_cbranch_vccnz .LBB54_446
; %bb.437:
	s_and_b32 s6, s11, 0x7fffffff
	s_cmp_gt_u32 s6, 0x437fffff
	v_mov_b32_e32 v4, 0x80
	s_cbranch_scc1 .LBB54_445
; %bb.438:
	s_cmp_gt_u32 s6, 0x3bffffff
	s_cbranch_scc0 .LBB54_440
; %bb.439:
	s_bfe_u32 s6, s11, 0x10014
	s_add_i32 s6, s11, s6
	s_add_i32 s6, s6, 0x487ffff
	s_lshr_b32 s16, s6, 20
	s_mov_b64 s[14:15], 0
	s_mov_b64 s[6:7], -1
	s_branch .LBB54_441
.LBB54_440:
	s_mov_b64 s[14:15], -1
	s_mov_b64 s[6:7], 0
                                        ; implicit-def: $sgpr16
.LBB54_441:
	s_andn2_b64 vcc, exec, s[14:15]
	v_mov_b32_e32 v3, s16
                                        ; implicit-def: $sgpr14
	s_cbranch_vccnz .LBB54_443
; %bb.442:
	v_mov_b32_e32 v3, 0x46000000
	v_add_f32_e64 v3, |s11|, v3
	v_and_b32_e32 v3, 0xff, v3
	s_mov_b32 s14, 0
	v_cmp_ne_u32_e64 s[6:7], 0, v3
.LBB54_443:
	s_andn2_b64 vcc, exec, s[6:7]
	v_mov_b32_e32 v4, s14
	s_cbranch_vccnz .LBB54_445
; %bb.444:
	s_lshr_b32 s6, s11, 24
	s_and_b32 s6, s6, 0x80
	v_or_b32_e32 v4, s6, v3
.LBB54_445:
	global_store_byte v[0:1], v4, off
.LBB54_446:
	s_mov_b64 s[14:15], -1
.LBB54_447:
	s_mov_b64 s[6:7], 0
.LBB54_448:
	s_and_b64 vcc, exec, s[6:7]
	s_cbranch_vccz .LBB54_494
; %bb.449:
	v_mov_b32_e32 v3, 22
	v_cmp_gt_i16_sdwa s[12:13], s33, v3 src0_sel:BYTE_0 src1_sel:DWORD
	s_mov_b64 s[6:7], -1
	s_and_b64 vcc, exec, s[12:13]
	s_cbranch_vccz .LBB54_487
; %bb.450:
	v_mov_b32_e32 v3, 24
	v_cmp_lt_i16_sdwa s[12:13], s33, v3 src0_sel:BYTE_0 src1_sel:DWORD
	s_and_b64 vcc, exec, s[12:13]
	s_cbranch_vccnz .LBB54_474
; %bb.451:
	v_cmp_gt_i16_sdwa s[12:13], s33, v3 src0_sel:BYTE_0 src1_sel:DWORD
	s_and_b64 vcc, exec, s[12:13]
	s_cbranch_vccz .LBB54_461
; %bb.452:
	s_and_b32 s6, s11, 0x7fffffff
	s_cmp_gt_u32 s6, 0x477fffff
	v_mov_b32_e32 v4, 0x80
	s_cbranch_scc1 .LBB54_460
; %bb.453:
	s_cmp_gt_u32 s6, 0x37ffffff
	s_cbranch_scc0 .LBB54_455
; %bb.454:
	s_bfe_u32 s6, s11, 0x10015
	s_add_i32 s6, s11, s6
	s_add_i32 s6, s6, 0x88fffff
	s_lshr_b32 s14, s6, 21
	s_mov_b64 s[12:13], 0
	s_mov_b64 s[6:7], -1
	s_branch .LBB54_456
.LBB54_455:
	s_mov_b64 s[12:13], -1
	s_mov_b64 s[6:7], 0
                                        ; implicit-def: $sgpr14
.LBB54_456:
	s_andn2_b64 vcc, exec, s[12:13]
	v_mov_b32_e32 v3, s14
                                        ; implicit-def: $sgpr12
	s_cbranch_vccnz .LBB54_458
; %bb.457:
	v_mov_b32_e32 v3, 0x42800000
	v_add_f32_e64 v3, |s11|, v3
	v_and_b32_e32 v3, 0xff, v3
	s_mov_b32 s12, 0
	v_cmp_ne_u32_e64 s[6:7], 0, v3
.LBB54_458:
	s_andn2_b64 vcc, exec, s[6:7]
	v_mov_b32_e32 v4, s12
	s_cbranch_vccnz .LBB54_460
; %bb.459:
	s_lshr_b32 s6, s11, 24
	s_and_b32 s6, s6, 0x80
	v_or_b32_e32 v4, s6, v3
.LBB54_460:
	s_mov_b64 s[6:7], 0
	global_store_byte v[0:1], v4, off
.LBB54_461:
	s_and_b64 vcc, exec, s[6:7]
	s_cbranch_vccz .LBB54_473
; %bb.462:
	s_and_b32 s12, s11, 0x7fffffff
	s_cmp_lt_u32 s12, 0x43f00000
	s_cbranch_scc0 .LBB54_465
; %bb.463:
	s_cmp_gt_u32 s12, 0x3c7fffff
	s_cbranch_scc0 .LBB54_466
; %bb.464:
	s_bfe_u32 s6, s11, 0x10014
	s_add_i32 s6, s11, s6
	s_add_i32 s6, s6, 0x407ffff
	s_lshr_b32 s7, s6, 20
	s_and_b32 s6, s6, 0xff00000
	s_cmp_lg_u32 s6, 0x7f00000
	s_cselect_b32 s13, s7, 0x7e
	s_mov_b64 s[6:7], 0
	s_branch .LBB54_467
.LBB54_465:
	s_mov_b64 s[6:7], -1
                                        ; implicit-def: $vgpr3
	s_branch .LBB54_470
.LBB54_466:
	s_mov_b64 s[6:7], -1
                                        ; implicit-def: $sgpr13
.LBB54_467:
	s_andn2_b64 vcc, exec, s[6:7]
	v_mov_b32_e32 v3, s13
	s_cbranch_vccnz .LBB54_469
; %bb.468:
	v_mov_b32_e32 v3, 0x46800000
	v_add_f32_e64 v3, |s11|, v3
.LBB54_469:
	s_mov_b64 s[6:7], 0
.LBB54_470:
	s_andn2_b64 vcc, exec, s[6:7]
	s_cbranch_vccnz .LBB54_472
; %bb.471:
	s_cmp_gt_u32 s12, 0x7f800000
	s_movk_i32 s6, 0x7f
	s_cselect_b32 s6, s6, 0x7e
	v_mov_b32_e32 v3, s6
.LBB54_472:
	s_lshr_b32 s6, s11, 24
	s_and_b32 s6, s6, 0x80
	v_or_b32_e32 v3, s6, v3
	global_store_byte v[0:1], v3, off
.LBB54_473:
	s_mov_b64 s[6:7], 0
.LBB54_474:
	s_andn2_b64 vcc, exec, s[6:7]
	s_cbranch_vccnz .LBB54_486
; %bb.475:
	s_and_b32 s12, s11, 0x7fffffff
	s_cmp_lt_u32 s12, 0x47800000
	s_cbranch_scc0 .LBB54_478
; %bb.476:
	s_cmp_gt_u32 s12, 0x387fffff
	s_cbranch_scc0 .LBB54_479
; %bb.477:
	s_bfe_u32 s6, s11, 0x10015
	s_add_i32 s6, s11, s6
	s_add_i32 s6, s6, 0x80fffff
	s_lshr_b32 s13, s6, 21
	s_mov_b64 s[6:7], 0
	s_branch .LBB54_480
.LBB54_478:
	s_mov_b64 s[6:7], -1
                                        ; implicit-def: $vgpr3
	s_branch .LBB54_483
.LBB54_479:
	s_mov_b64 s[6:7], -1
                                        ; implicit-def: $sgpr13
.LBB54_480:
	s_andn2_b64 vcc, exec, s[6:7]
	v_mov_b32_e32 v3, s13
	s_cbranch_vccnz .LBB54_482
; %bb.481:
	v_mov_b32_e32 v3, 0x43000000
	v_add_f32_e64 v3, |s11|, v3
.LBB54_482:
	s_mov_b64 s[6:7], 0
.LBB54_483:
	s_andn2_b64 vcc, exec, s[6:7]
	s_cbranch_vccnz .LBB54_485
; %bb.484:
	s_cmp_gt_u32 s12, 0x7f800000
	s_movk_i32 s6, 0x7f
	s_cselect_b32 s6, s6, 0x7c
	v_mov_b32_e32 v3, s6
.LBB54_485:
	s_lshr_b32 s6, s11, 24
	s_and_b32 s6, s6, 0x80
	v_or_b32_e32 v3, s6, v3
	global_store_byte v[0:1], v3, off
.LBB54_486:
	s_mov_b64 s[6:7], 0
	s_mov_b64 s[14:15], -1
.LBB54_487:
	s_andn2_b64 vcc, exec, s[6:7]
	s_mov_b64 s[12:13], 0
	s_cbranch_vccnz .LBB54_494
; %bb.488:
	v_mov_b32_e32 v3, 14
	v_cmp_gt_i16_sdwa s[12:13], s33, v3 src0_sel:BYTE_0 src1_sel:DWORD
	s_mov_b64 s[6:7], -1
	s_and_b64 vcc, exec, s[12:13]
	s_cbranch_vccz .LBB54_492
; %bb.489:
	v_mov_b32_e32 v3, 15
	v_cmp_eq_u16_sdwa s[6:7], s33, v3 src0_sel:BYTE_0 src1_sel:DWORD
	s_mov_b64 s[4:5], -1
	s_and_b64 vcc, exec, s[6:7]
	s_cbranch_vccz .LBB54_491
; %bb.490:
	s_bfe_u32 s4, s11, 0x10010
	s_add_i32 s4, s11, s4
	s_addk_i32 s4, 0x7fff
	s_lshr_b32 s6, s4, 16
	v_cmp_o_f32_e64 s[4:5], s11, s11
	s_and_b64 s[4:5], s[4:5], exec
	s_cselect_b32 s4, s6, 0x7fc0
	v_mov_b32_e32 v3, s4
	global_store_short v[0:1], v3, off
	s_mov_b64 s[4:5], 0
	s_mov_b64 s[14:15], -1
.LBB54_491:
	s_mov_b64 s[6:7], 0
.LBB54_492:
	s_mov_b64 s[12:13], 0
	s_and_b64 vcc, exec, s[6:7]
	s_cbranch_vccz .LBB54_494
; %bb.493:
	v_mov_b32_e32 v3, 11
	v_cmp_ne_u16_sdwa s[4:5], s33, v3 src0_sel:BYTE_0 src1_sel:DWORD
	s_mov_b64 s[12:13], -1
.LBB54_494:
	s_and_b64 vcc, exec, s[4:5]
	s_mov_b64 s[6:7], s[0:1]
	s_cbranch_vccnz .LBB54_547
; %bb.495:
	s_andn2_b64 vcc, exec, s[12:13]
	s_cbranch_vccnz .LBB54_497
.LBB54_496:
	v_cmp_neq_f32_e64 s[4:5], s11, 0
	v_cndmask_b32_e64 v3, 0, 1, s[4:5]
	s_mov_b64 s[14:15], -1
	global_store_byte v[0:1], v3, off
.LBB54_497:
	s_branch .LBB54_416
.LBB54_498:
	v_mov_b32_e32 v3, 5
	v_cmp_lt_i16_sdwa s[12:13], s33, v3 src0_sel:BYTE_0 src1_sel:DWORD
	s_mov_b64 s[4:5], -1
	s_and_b64 vcc, exec, s[12:13]
	s_cbranch_vccnz .LBB54_519
; %bb.499:
	v_mov_b32_e32 v3, 8
	v_cmp_lt_i16_sdwa s[12:13], s33, v3 src0_sel:BYTE_0 src1_sel:DWORD
	s_and_b64 vcc, exec, s[12:13]
	s_cbranch_vccnz .LBB54_509
; %bb.500:
	v_mov_b32_e32 v3, 9
	v_cmp_lt_i16_sdwa s[12:13], s33, v3 src0_sel:BYTE_0 src1_sel:DWORD
	s_and_b64 vcc, exec, s[12:13]
	s_cbranch_vccnz .LBB54_506
; %bb.501:
	v_cmp_gt_i16_sdwa s[12:13], s33, v3 src0_sel:BYTE_0 src1_sel:DWORD
	s_and_b64 vcc, exec, s[12:13]
	s_cbranch_vccz .LBB54_503
; %bb.502:
	v_mov_b32_e32 v6, 0
	v_cvt_f64_f32_e32 v[4:5], s11
	v_mov_b32_e32 v7, v6
	global_store_dwordx4 v[0:1], v[4:7], off
	s_mov_b64 s[4:5], 0
.LBB54_503:
	s_andn2_b64 vcc, exec, s[4:5]
	s_cbranch_vccnz .LBB54_505
; %bb.504:
	v_mov_b32_e32 v4, s11
	v_mov_b32_e32 v5, 0
	global_store_dwordx2 v[0:1], v[4:5], off
.LBB54_505:
	s_mov_b64 s[4:5], 0
.LBB54_506:
	s_andn2_b64 vcc, exec, s[4:5]
	s_cbranch_vccnz .LBB54_508
; %bb.507:
	v_cvt_f16_f32_e32 v3, s11
	global_store_dword v[0:1], v3, off
.LBB54_508:
	s_mov_b64 s[4:5], 0
.LBB54_509:
	s_andn2_b64 vcc, exec, s[4:5]
	s_cbranch_vccnz .LBB54_518
; %bb.510:
	v_mov_b32_e32 v3, 6
	v_cmp_lt_i16_sdwa s[12:13], s33, v3 src0_sel:BYTE_0 src1_sel:DWORD
	s_mov_b64 s[4:5], -1
	s_and_b64 vcc, exec, s[12:13]
	s_cbranch_vccnz .LBB54_516
; %bb.511:
	v_cmp_gt_i16_sdwa s[12:13], s33, v3 src0_sel:BYTE_0 src1_sel:DWORD
	s_and_b64 vcc, exec, s[12:13]
	s_cbranch_vccz .LBB54_513
; %bb.512:
	v_cvt_f64_f32_e32 v[4:5], s11
	global_store_dwordx2 v[0:1], v[4:5], off
	s_mov_b64 s[4:5], 0
.LBB54_513:
	s_andn2_b64 vcc, exec, s[4:5]
	s_cbranch_vccnz .LBB54_515
; %bb.514:
	v_mov_b32_e32 v3, s11
	global_store_dword v[0:1], v3, off
.LBB54_515:
	s_mov_b64 s[4:5], 0
.LBB54_516:
	s_andn2_b64 vcc, exec, s[4:5]
	s_cbranch_vccnz .LBB54_518
; %bb.517:
	v_cvt_f16_f32_e32 v3, s11
	global_store_short v[0:1], v3, off
.LBB54_518:
	s_mov_b64 s[4:5], 0
.LBB54_519:
	s_andn2_b64 vcc, exec, s[4:5]
	s_cbranch_vccnz .LBB54_535
; %bb.520:
	v_mov_b32_e32 v3, 2
	v_cmp_lt_i16_sdwa s[12:13], s33, v3 src0_sel:BYTE_0 src1_sel:DWORD
	s_mov_b64 s[4:5], -1
	s_and_b64 vcc, exec, s[12:13]
	s_cbranch_vccnz .LBB54_530
; %bb.521:
	v_mov_b32_e32 v3, 3
	v_cmp_lt_i16_sdwa s[12:13], s33, v3 src0_sel:BYTE_0 src1_sel:DWORD
	s_and_b64 vcc, exec, s[12:13]
	s_cbranch_vccnz .LBB54_527
; %bb.522:
	v_cmp_gt_i16_sdwa s[12:13], s33, v3 src0_sel:BYTE_0 src1_sel:DWORD
	s_and_b64 vcc, exec, s[12:13]
	s_cbranch_vccz .LBB54_524
; %bb.523:
	v_trunc_f32_e32 v3, s11
	s_mov_b32 s4, 0x2f800000
	v_mul_f32_e64 v4, |v3|, s4
	v_floor_f32_e32 v4, v4
	s_mov_b32 s4, 0xcf800000
	v_fma_f32 v5, v4, s4, |v3|
	v_cvt_u32_f32_e32 v5, v5
	v_cvt_u32_f32_e32 v4, v4
	v_ashrrev_i32_e32 v3, 31, v3
	s_mov_b64 s[4:5], 0
	v_xor_b32_e32 v5, v5, v3
	v_xor_b32_e32 v6, v4, v3
	v_sub_co_u32_e32 v4, vcc, v5, v3
	v_subb_co_u32_e32 v5, vcc, v6, v3, vcc
	global_store_dwordx2 v[0:1], v[4:5], off
.LBB54_524:
	s_andn2_b64 vcc, exec, s[4:5]
	s_cbranch_vccnz .LBB54_526
; %bb.525:
	v_cvt_i32_f32_e32 v3, s11
	global_store_dword v[0:1], v3, off
.LBB54_526:
	s_mov_b64 s[4:5], 0
.LBB54_527:
	s_andn2_b64 vcc, exec, s[4:5]
	s_cbranch_vccnz .LBB54_529
; %bb.528:
	v_cvt_i32_f32_e32 v3, s11
	global_store_short v[0:1], v3, off
.LBB54_529:
	s_mov_b64 s[4:5], 0
.LBB54_530:
	s_andn2_b64 vcc, exec, s[4:5]
	s_cbranch_vccnz .LBB54_535
; %bb.531:
	v_mov_b32_e32 v3, 0
	v_cmp_gt_i16_sdwa s[12:13], s33, v3 src0_sel:BYTE_0 src1_sel:DWORD
	s_mov_b64 s[4:5], -1
	s_and_b64 vcc, exec, s[12:13]
	s_cbranch_vccz .LBB54_533
; %bb.532:
	v_cvt_i32_f32_e32 v3, s11
	s_mov_b64 s[4:5], 0
	global_store_byte v[0:1], v3, off
.LBB54_533:
	s_andn2_b64 vcc, exec, s[4:5]
	s_cbranch_vccnz .LBB54_535
; %bb.534:
	v_trunc_f32_e32 v3, s11
	s_mov_b32 s4, 0x2f800000
	v_mul_f32_e64 v4, |v3|, s4
	v_floor_f32_e32 v4, v4
	s_mov_b32 s4, 0xcf800000
	v_fma_f32 v4, v4, s4, |v3|
	v_cvt_u32_f32_e32 v4, v4
	v_ashrrev_i32_e32 v3, 31, v3
	v_xor_b32_e32 v4, v4, v3
	v_sub_u32_e32 v3, v4, v3
	global_store_byte v[0:1], v3, off
.LBB54_535:
.LBB54_536:
	s_lshl_b32 s10, s10, 7
	v_add_u32_e32 v2, s10, v2
	v_ashrrev_i32_e32 v1, 31, v2
	v_mov_b32_e32 v3, s9
	v_add_co_u32_e32 v0, vcc, s8, v2
	v_addc_co_u32_e32 v1, vcc, v3, v1, vcc
	v_mov_b32_e32 v3, 11
	v_cmp_lt_i16_sdwa s[4:5], s33, v3 src0_sel:BYTE_0 src1_sel:DWORD
	s_and_b64 vcc, exec, s[4:5]
	s_cbranch_vccnz .LBB54_543
; %bb.537:
	v_mov_b32_e32 v3, 25
	v_cmp_gt_i16_sdwa s[4:5], s33, v3 src0_sel:BYTE_0 src1_sel:DWORD
	s_mov_b64 s[16:17], -1
	s_mov_b64 s[12:13], 0
	s_and_b64 vcc, exec, s[4:5]
	s_mov_b64 s[14:15], 0
	s_mov_b64 s[4:5], 0
	s_cbranch_vccz .LBB54_578
; %bb.538:
	v_mov_b32_e32 v3, 28
	v_cmp_gt_i16_sdwa s[4:5], s33, v3 src0_sel:BYTE_0 src1_sel:DWORD
	s_and_b64 vcc, exec, s[4:5]
	s_cbranch_vccz .LBB54_545
; %bb.539:
	v_mov_b32_e32 v3, 43
	v_cmp_gt_i16_sdwa s[4:5], s33, v3 src0_sel:BYTE_0 src1_sel:DWORD
	s_and_b64 vcc, exec, s[4:5]
	;; [unrolled: 5-line block ×3, first 2 shown]
	s_cbranch_vccz .LBB54_548
; %bb.541:
	v_mov_b32_e32 v3, 46
	v_cmp_eq_u16_sdwa s[14:15], s33, v3 src0_sel:BYTE_0 src1_sel:DWORD
	s_mov_b64 s[4:5], -1
	s_mov_b64 s[16:17], 0
	s_and_b64 vcc, exec, s[14:15]
	s_mov_b64 s[14:15], 0
	s_cbranch_vccz .LBB54_549
; %bb.542:
	s_bfe_u32 s4, s11, 0x10010
	s_add_i32 s4, s11, s4
	s_addk_i32 s4, 0x7fff
	s_lshr_b32 s14, s4, 16
	v_cmp_o_f32_e64 s[4:5], s11, s11
	s_and_b64 s[4:5], s[4:5], exec
	s_cselect_b32 s4, s14, 0x7fc0
	v_mov_b32_e32 v3, s4
	global_store_dword v[0:1], v3, off
	s_mov_b64 s[4:5], 0
	s_mov_b64 s[14:15], -1
	s_branch .LBB54_549
.LBB54_543:
	s_mov_b64 s[14:15], 0
	s_cbranch_execnz .LBB54_628
.LBB54_544:
	s_andn2_b64 vcc, exec, s[14:15]
	s_cbranch_vccz .LBB54_666
	s_branch .LBB54_840
.LBB54_545:
	s_mov_b64 s[4:5], 0
	s_branch .LBB54_559
.LBB54_546:
	s_mov_b64 s[4:5], 0
	s_branch .LBB54_555
.LBB54_547:
	s_or_b64 s[6:7], s[0:1], exec
	s_trap 2
	s_cbranch_execz .LBB54_496
	s_branch .LBB54_497
.LBB54_548:
	s_mov_b64 s[4:5], 0
.LBB54_549:
	s_and_b64 vcc, exec, s[16:17]
	s_cbranch_vccz .LBB54_554
; %bb.550:
	v_mov_b32_e32 v3, 44
	v_cmp_eq_u16_sdwa s[16:17], s33, v3 src0_sel:BYTE_0 src1_sel:DWORD
	s_mov_b64 s[4:5], -1
	s_and_b64 vcc, exec, s[16:17]
	s_cbranch_vccz .LBB54_554
; %bb.551:
	s_bfe_u32 s4, s11, 0x80017
	s_cmpk_eq_i32 s4, 0xff
	v_mov_b32_e32 v3, 0xff
	s_cbranch_scc1 .LBB54_553
; %bb.552:
	s_lshr_b32 s16, s11, 23
	s_bitcmp1_b32 s11, 22
	s_cselect_b64 s[14:15], -1, 0
	s_and_b32 s5, s11, 0x3fffff
	s_or_b32 s4, s4, s5
	s_cmp_lg_u32 s4, 0
	s_cselect_b64 s[4:5], -1, 0
	s_and_b64 s[4:5], s[14:15], s[4:5]
	v_cndmask_b32_e64 v3, 0, 1, s[4:5]
	v_add_u32_e32 v3, s16, v3
.LBB54_553:
	s_mov_b64 s[4:5], 0
	s_mov_b64 s[14:15], -1
	global_store_byte v[0:1], v3, off
.LBB54_554:
	s_mov_b64 s[16:17], 0
.LBB54_555:
	s_and_b64 vcc, exec, s[16:17]
	s_cbranch_vccz .LBB54_558
; %bb.556:
	v_mov_b32_e32 v3, 29
	v_cmp_eq_u16_sdwa s[16:17], s33, v3 src0_sel:BYTE_0 src1_sel:DWORD
	s_mov_b64 s[4:5], -1
	s_and_b64 vcc, exec, s[16:17]
	s_cbranch_vccz .LBB54_558
; %bb.557:
	v_trunc_f32_e32 v3, s11
	v_mul_f32_e32 v4, 0x2f800000, v3
	v_floor_f32_e32 v4, v4
	v_fmac_f32_e32 v3, 0xcf800000, v4
	v_cvt_u32_f32_e32 v5, v4
	v_cvt_u32_f32_e32 v4, v3
	s_mov_b64 s[4:5], 0
	s_mov_b64 s[14:15], -1
	s_mov_b64 s[16:17], 0
	global_store_dwordx2 v[0:1], v[4:5], off
	s_branch .LBB54_559
.LBB54_558:
	s_mov_b64 s[16:17], 0
.LBB54_559:
	s_and_b64 vcc, exec, s[16:17]
	s_cbranch_vccz .LBB54_577
; %bb.560:
	v_mov_b32_e32 v3, 27
	v_cmp_lt_i16_sdwa s[16:17], s33, v3 src0_sel:BYTE_0 src1_sel:DWORD
	s_mov_b64 s[14:15], -1
	s_and_b64 vcc, exec, s[16:17]
	s_cbranch_vccnz .LBB54_566
; %bb.561:
	v_cmp_gt_i16_sdwa s[16:17], s33, v3 src0_sel:BYTE_0 src1_sel:DWORD
	s_and_b64 vcc, exec, s[16:17]
	s_cbranch_vccz .LBB54_563
; %bb.562:
	v_cvt_u32_f32_e32 v3, s11
	s_mov_b64 s[14:15], 0
	global_store_dword v[0:1], v3, off
.LBB54_563:
	s_andn2_b64 vcc, exec, s[14:15]
	s_cbranch_vccnz .LBB54_565
; %bb.564:
	v_cvt_u32_f32_e32 v3, s11
	global_store_short v[0:1], v3, off
.LBB54_565:
	s_mov_b64 s[14:15], 0
.LBB54_566:
	s_andn2_b64 vcc, exec, s[14:15]
	s_cbranch_vccnz .LBB54_576
; %bb.567:
	s_and_b32 s14, s11, 0x7fffffff
	s_cmp_gt_u32 s14, 0x437fffff
	v_mov_b32_e32 v4, 0x80
	s_cbranch_scc1 .LBB54_575
; %bb.568:
	s_cmp_gt_u32 s14, 0x3bffffff
	s_cbranch_scc0 .LBB54_570
; %bb.569:
	s_bfe_u32 s14, s11, 0x10014
	s_add_i32 s14, s11, s14
	s_add_i32 s14, s14, 0x487ffff
	s_lshr_b32 s18, s14, 20
	s_mov_b64 s[16:17], 0
	s_mov_b64 s[14:15], -1
	s_branch .LBB54_571
.LBB54_570:
	s_mov_b64 s[16:17], -1
	s_mov_b64 s[14:15], 0
                                        ; implicit-def: $sgpr18
.LBB54_571:
	s_andn2_b64 vcc, exec, s[16:17]
	v_mov_b32_e32 v3, s18
                                        ; implicit-def: $sgpr16
	s_cbranch_vccnz .LBB54_573
; %bb.572:
	v_mov_b32_e32 v3, 0x46000000
	v_add_f32_e64 v3, |s11|, v3
	v_and_b32_e32 v3, 0xff, v3
	s_mov_b32 s16, 0
	v_cmp_ne_u32_e64 s[14:15], 0, v3
.LBB54_573:
	s_andn2_b64 vcc, exec, s[14:15]
	v_mov_b32_e32 v4, s16
	s_cbranch_vccnz .LBB54_575
; %bb.574:
	s_lshr_b32 s14, s11, 24
	s_and_b32 s14, s14, 0x80
	v_or_b32_e32 v4, s14, v3
.LBB54_575:
	global_store_byte v[0:1], v4, off
.LBB54_576:
	s_mov_b64 s[14:15], -1
.LBB54_577:
	s_mov_b64 s[16:17], 0
.LBB54_578:
	s_and_b64 vcc, exec, s[16:17]
	s_cbranch_vccz .LBB54_624
; %bb.579:
	v_mov_b32_e32 v3, 22
	v_cmp_gt_i16_sdwa s[16:17], s33, v3 src0_sel:BYTE_0 src1_sel:DWORD
	s_mov_b64 s[12:13], -1
	s_and_b64 vcc, exec, s[16:17]
	s_cbranch_vccz .LBB54_617
; %bb.580:
	v_mov_b32_e32 v3, 24
	v_cmp_lt_i16_sdwa s[14:15], s33, v3 src0_sel:BYTE_0 src1_sel:DWORD
	s_and_b64 vcc, exec, s[14:15]
	s_cbranch_vccnz .LBB54_604
; %bb.581:
	v_cmp_gt_i16_sdwa s[14:15], s33, v3 src0_sel:BYTE_0 src1_sel:DWORD
	s_and_b64 vcc, exec, s[14:15]
	s_cbranch_vccz .LBB54_591
; %bb.582:
	s_and_b32 s12, s11, 0x7fffffff
	s_cmp_gt_u32 s12, 0x477fffff
	v_mov_b32_e32 v4, 0x80
	s_cbranch_scc1 .LBB54_590
; %bb.583:
	s_cmp_gt_u32 s12, 0x37ffffff
	s_cbranch_scc0 .LBB54_585
; %bb.584:
	s_bfe_u32 s12, s11, 0x10015
	s_add_i32 s12, s11, s12
	s_add_i32 s12, s12, 0x88fffff
	s_lshr_b32 s16, s12, 21
	s_mov_b64 s[14:15], 0
	s_mov_b64 s[12:13], -1
	s_branch .LBB54_586
.LBB54_585:
	s_mov_b64 s[14:15], -1
	s_mov_b64 s[12:13], 0
                                        ; implicit-def: $sgpr16
.LBB54_586:
	s_andn2_b64 vcc, exec, s[14:15]
	v_mov_b32_e32 v3, s16
                                        ; implicit-def: $sgpr14
	s_cbranch_vccnz .LBB54_588
; %bb.587:
	v_mov_b32_e32 v3, 0x42800000
	v_add_f32_e64 v3, |s11|, v3
	v_and_b32_e32 v3, 0xff, v3
	s_mov_b32 s14, 0
	v_cmp_ne_u32_e64 s[12:13], 0, v3
.LBB54_588:
	s_andn2_b64 vcc, exec, s[12:13]
	v_mov_b32_e32 v4, s14
	s_cbranch_vccnz .LBB54_590
; %bb.589:
	s_lshr_b32 s12, s11, 24
	s_and_b32 s12, s12, 0x80
	v_or_b32_e32 v4, s12, v3
.LBB54_590:
	s_mov_b64 s[12:13], 0
	global_store_byte v[0:1], v4, off
.LBB54_591:
	s_and_b64 vcc, exec, s[12:13]
	s_cbranch_vccz .LBB54_603
; %bb.592:
	s_and_b32 s14, s11, 0x7fffffff
	s_cmp_lt_u32 s14, 0x43f00000
	s_cbranch_scc0 .LBB54_595
; %bb.593:
	s_cmp_gt_u32 s14, 0x3c7fffff
	s_cbranch_scc0 .LBB54_596
; %bb.594:
	s_bfe_u32 s12, s11, 0x10014
	s_add_i32 s12, s11, s12
	s_add_i32 s12, s12, 0x407ffff
	s_lshr_b32 s13, s12, 20
	s_and_b32 s12, s12, 0xff00000
	s_cmp_lg_u32 s12, 0x7f00000
	s_cselect_b32 s15, s13, 0x7e
	s_mov_b64 s[12:13], 0
	s_branch .LBB54_597
.LBB54_595:
	s_mov_b64 s[12:13], -1
                                        ; implicit-def: $vgpr3
	s_branch .LBB54_600
.LBB54_596:
	s_mov_b64 s[12:13], -1
                                        ; implicit-def: $sgpr15
.LBB54_597:
	s_andn2_b64 vcc, exec, s[12:13]
	v_mov_b32_e32 v3, s15
	s_cbranch_vccnz .LBB54_599
; %bb.598:
	v_mov_b32_e32 v3, 0x46800000
	v_add_f32_e64 v3, |s11|, v3
.LBB54_599:
	s_mov_b64 s[12:13], 0
.LBB54_600:
	s_andn2_b64 vcc, exec, s[12:13]
	s_cbranch_vccnz .LBB54_602
; %bb.601:
	s_cmp_gt_u32 s14, 0x7f800000
	s_movk_i32 s12, 0x7f
	s_cselect_b32 s12, s12, 0x7e
	v_mov_b32_e32 v3, s12
.LBB54_602:
	s_lshr_b32 s12, s11, 24
	s_and_b32 s12, s12, 0x80
	v_or_b32_e32 v3, s12, v3
	global_store_byte v[0:1], v3, off
.LBB54_603:
	s_mov_b64 s[12:13], 0
.LBB54_604:
	s_andn2_b64 vcc, exec, s[12:13]
	s_cbranch_vccnz .LBB54_616
; %bb.605:
	s_and_b32 s14, s11, 0x7fffffff
	s_cmp_lt_u32 s14, 0x47800000
	s_cbranch_scc0 .LBB54_608
; %bb.606:
	s_cmp_gt_u32 s14, 0x387fffff
	s_cbranch_scc0 .LBB54_609
; %bb.607:
	s_bfe_u32 s12, s11, 0x10015
	s_add_i32 s12, s11, s12
	s_add_i32 s12, s12, 0x80fffff
	s_lshr_b32 s15, s12, 21
	s_mov_b64 s[12:13], 0
	s_branch .LBB54_610
.LBB54_608:
	s_mov_b64 s[12:13], -1
                                        ; implicit-def: $vgpr3
	s_branch .LBB54_613
.LBB54_609:
	s_mov_b64 s[12:13], -1
                                        ; implicit-def: $sgpr15
.LBB54_610:
	s_andn2_b64 vcc, exec, s[12:13]
	v_mov_b32_e32 v3, s15
	s_cbranch_vccnz .LBB54_612
; %bb.611:
	v_mov_b32_e32 v3, 0x43000000
	v_add_f32_e64 v3, |s11|, v3
.LBB54_612:
	s_mov_b64 s[12:13], 0
.LBB54_613:
	s_andn2_b64 vcc, exec, s[12:13]
	s_cbranch_vccnz .LBB54_615
; %bb.614:
	s_cmp_gt_u32 s14, 0x7f800000
	s_movk_i32 s12, 0x7f
	s_cselect_b32 s12, s12, 0x7c
	v_mov_b32_e32 v3, s12
.LBB54_615:
	s_lshr_b32 s12, s11, 24
	s_and_b32 s12, s12, 0x80
	v_or_b32_e32 v3, s12, v3
	global_store_byte v[0:1], v3, off
.LBB54_616:
	s_mov_b64 s[12:13], 0
	s_mov_b64 s[14:15], -1
.LBB54_617:
	s_andn2_b64 vcc, exec, s[12:13]
	s_mov_b64 s[12:13], 0
	s_cbranch_vccnz .LBB54_624
; %bb.618:
	v_mov_b32_e32 v3, 14
	v_cmp_gt_i16_sdwa s[12:13], s33, v3 src0_sel:BYTE_0 src1_sel:DWORD
	s_mov_b64 s[16:17], -1
	s_and_b64 vcc, exec, s[12:13]
	s_cbranch_vccz .LBB54_622
; %bb.619:
	v_mov_b32_e32 v3, 15
	v_cmp_eq_u16_sdwa s[12:13], s33, v3 src0_sel:BYTE_0 src1_sel:DWORD
	s_mov_b64 s[4:5], -1
	s_and_b64 vcc, exec, s[12:13]
	s_cbranch_vccz .LBB54_621
; %bb.620:
	s_bfe_u32 s4, s11, 0x10010
	s_add_i32 s4, s11, s4
	s_addk_i32 s4, 0x7fff
	s_lshr_b32 s12, s4, 16
	v_cmp_o_f32_e64 s[4:5], s11, s11
	s_and_b64 s[4:5], s[4:5], exec
	s_cselect_b32 s4, s12, 0x7fc0
	v_mov_b32_e32 v3, s4
	global_store_short v[0:1], v3, off
	s_mov_b64 s[4:5], 0
	s_mov_b64 s[14:15], -1
.LBB54_621:
	s_mov_b64 s[16:17], 0
.LBB54_622:
	s_mov_b64 s[12:13], 0
	s_and_b64 vcc, exec, s[16:17]
	s_cbranch_vccz .LBB54_624
; %bb.623:
	v_mov_b32_e32 v3, 11
	v_cmp_ne_u16_sdwa s[4:5], s33, v3 src0_sel:BYTE_0 src1_sel:DWORD
	s_mov_b64 s[12:13], -1
.LBB54_624:
	s_and_b64 vcc, exec, s[4:5]
	s_cbranch_vccnz .LBB54_707
; %bb.625:
	s_andn2_b64 vcc, exec, s[12:13]
	s_cbranch_vccnz .LBB54_627
.LBB54_626:
	v_cmp_neq_f32_e64 s[4:5], s11, 0
	v_cndmask_b32_e64 v3, 0, 1, s[4:5]
	s_mov_b64 s[14:15], -1
	global_store_byte v[0:1], v3, off
.LBB54_627:
	s_branch .LBB54_544
.LBB54_628:
	v_mov_b32_e32 v3, 5
	v_cmp_lt_i16_sdwa s[12:13], s33, v3 src0_sel:BYTE_0 src1_sel:DWORD
	s_mov_b64 s[4:5], -1
	s_and_b64 vcc, exec, s[12:13]
	s_cbranch_vccnz .LBB54_649
; %bb.629:
	v_mov_b32_e32 v3, 8
	v_cmp_lt_i16_sdwa s[12:13], s33, v3 src0_sel:BYTE_0 src1_sel:DWORD
	s_and_b64 vcc, exec, s[12:13]
	s_cbranch_vccnz .LBB54_639
; %bb.630:
	v_mov_b32_e32 v3, 9
	v_cmp_lt_i16_sdwa s[12:13], s33, v3 src0_sel:BYTE_0 src1_sel:DWORD
	s_and_b64 vcc, exec, s[12:13]
	s_cbranch_vccnz .LBB54_636
; %bb.631:
	v_cmp_gt_i16_sdwa s[12:13], s33, v3 src0_sel:BYTE_0 src1_sel:DWORD
	s_and_b64 vcc, exec, s[12:13]
	s_cbranch_vccz .LBB54_633
; %bb.632:
	v_mov_b32_e32 v6, 0
	v_cvt_f64_f32_e32 v[4:5], s11
	v_mov_b32_e32 v7, v6
	global_store_dwordx4 v[0:1], v[4:7], off
	s_mov_b64 s[4:5], 0
.LBB54_633:
	s_andn2_b64 vcc, exec, s[4:5]
	s_cbranch_vccnz .LBB54_635
; %bb.634:
	v_mov_b32_e32 v4, s11
	v_mov_b32_e32 v5, 0
	global_store_dwordx2 v[0:1], v[4:5], off
.LBB54_635:
	s_mov_b64 s[4:5], 0
.LBB54_636:
	s_andn2_b64 vcc, exec, s[4:5]
	s_cbranch_vccnz .LBB54_638
; %bb.637:
	v_cvt_f16_f32_e32 v3, s11
	global_store_dword v[0:1], v3, off
.LBB54_638:
	s_mov_b64 s[4:5], 0
.LBB54_639:
	s_andn2_b64 vcc, exec, s[4:5]
	s_cbranch_vccnz .LBB54_648
; %bb.640:
	v_mov_b32_e32 v3, 6
	v_cmp_lt_i16_sdwa s[12:13], s33, v3 src0_sel:BYTE_0 src1_sel:DWORD
	s_mov_b64 s[4:5], -1
	s_and_b64 vcc, exec, s[12:13]
	s_cbranch_vccnz .LBB54_646
; %bb.641:
	v_cmp_gt_i16_sdwa s[12:13], s33, v3 src0_sel:BYTE_0 src1_sel:DWORD
	s_and_b64 vcc, exec, s[12:13]
	s_cbranch_vccz .LBB54_643
; %bb.642:
	v_cvt_f64_f32_e32 v[4:5], s11
	global_store_dwordx2 v[0:1], v[4:5], off
	s_mov_b64 s[4:5], 0
.LBB54_643:
	s_andn2_b64 vcc, exec, s[4:5]
	s_cbranch_vccnz .LBB54_645
; %bb.644:
	v_mov_b32_e32 v3, s11
	global_store_dword v[0:1], v3, off
.LBB54_645:
	s_mov_b64 s[4:5], 0
.LBB54_646:
	s_andn2_b64 vcc, exec, s[4:5]
	s_cbranch_vccnz .LBB54_648
; %bb.647:
	v_cvt_f16_f32_e32 v3, s11
	global_store_short v[0:1], v3, off
.LBB54_648:
	s_mov_b64 s[4:5], 0
.LBB54_649:
	s_andn2_b64 vcc, exec, s[4:5]
	s_cbranch_vccnz .LBB54_665
; %bb.650:
	v_mov_b32_e32 v3, 2
	v_cmp_lt_i16_sdwa s[12:13], s33, v3 src0_sel:BYTE_0 src1_sel:DWORD
	s_mov_b64 s[4:5], -1
	s_and_b64 vcc, exec, s[12:13]
	s_cbranch_vccnz .LBB54_660
; %bb.651:
	v_mov_b32_e32 v3, 3
	v_cmp_lt_i16_sdwa s[12:13], s33, v3 src0_sel:BYTE_0 src1_sel:DWORD
	s_and_b64 vcc, exec, s[12:13]
	s_cbranch_vccnz .LBB54_657
; %bb.652:
	v_cmp_gt_i16_sdwa s[12:13], s33, v3 src0_sel:BYTE_0 src1_sel:DWORD
	s_and_b64 vcc, exec, s[12:13]
	s_cbranch_vccz .LBB54_654
; %bb.653:
	v_trunc_f32_e32 v3, s11
	s_mov_b32 s4, 0x2f800000
	v_mul_f32_e64 v4, |v3|, s4
	v_floor_f32_e32 v4, v4
	s_mov_b32 s4, 0xcf800000
	v_fma_f32 v5, v4, s4, |v3|
	v_cvt_u32_f32_e32 v5, v5
	v_cvt_u32_f32_e32 v4, v4
	v_ashrrev_i32_e32 v3, 31, v3
	s_mov_b64 s[4:5], 0
	v_xor_b32_e32 v5, v5, v3
	v_xor_b32_e32 v6, v4, v3
	v_sub_co_u32_e32 v4, vcc, v5, v3
	v_subb_co_u32_e32 v5, vcc, v6, v3, vcc
	global_store_dwordx2 v[0:1], v[4:5], off
.LBB54_654:
	s_andn2_b64 vcc, exec, s[4:5]
	s_cbranch_vccnz .LBB54_656
; %bb.655:
	v_cvt_i32_f32_e32 v3, s11
	global_store_dword v[0:1], v3, off
.LBB54_656:
	s_mov_b64 s[4:5], 0
.LBB54_657:
	s_andn2_b64 vcc, exec, s[4:5]
	s_cbranch_vccnz .LBB54_659
; %bb.658:
	v_cvt_i32_f32_e32 v3, s11
	global_store_short v[0:1], v3, off
.LBB54_659:
	s_mov_b64 s[4:5], 0
.LBB54_660:
	s_andn2_b64 vcc, exec, s[4:5]
	s_cbranch_vccnz .LBB54_665
; %bb.661:
	v_mov_b32_e32 v3, 0
	v_cmp_gt_i16_sdwa s[12:13], s33, v3 src0_sel:BYTE_0 src1_sel:DWORD
	s_mov_b64 s[4:5], -1
	s_and_b64 vcc, exec, s[12:13]
	s_cbranch_vccz .LBB54_663
; %bb.662:
	v_cvt_i32_f32_e32 v3, s11
	s_mov_b64 s[4:5], 0
	global_store_byte v[0:1], v3, off
.LBB54_663:
	s_andn2_b64 vcc, exec, s[4:5]
	s_cbranch_vccnz .LBB54_665
; %bb.664:
	v_trunc_f32_e32 v3, s11
	s_mov_b32 s4, 0x2f800000
	v_mul_f32_e64 v4, |v3|, s4
	v_floor_f32_e32 v4, v4
	s_mov_b32 s4, 0xcf800000
	v_fma_f32 v4, v4, s4, |v3|
	v_cvt_u32_f32_e32 v4, v4
	v_ashrrev_i32_e32 v3, 31, v3
	v_xor_b32_e32 v4, v4, v3
	v_sub_u32_e32 v3, v4, v3
	global_store_byte v[0:1], v3, off
.LBB54_665:
.LBB54_666:
	v_add_u32_e32 v2, s10, v2
	v_ashrrev_i32_e32 v1, 31, v2
	v_mov_b32_e32 v3, s9
	v_add_co_u32_e32 v0, vcc, s8, v2
	v_addc_co_u32_e32 v1, vcc, v3, v1, vcc
	v_mov_b32_e32 v3, 11
	v_cmp_lt_i16_sdwa s[4:5], s33, v3 src0_sel:BYTE_0 src1_sel:DWORD
	s_and_b64 vcc, exec, s[4:5]
	s_cbranch_vccnz .LBB54_673
; %bb.667:
	v_mov_b32_e32 v3, 25
	v_cmp_gt_i16_sdwa s[4:5], s33, v3 src0_sel:BYTE_0 src1_sel:DWORD
	s_mov_b64 s[16:17], -1
	s_mov_b64 s[12:13], 0
	s_and_b64 vcc, exec, s[4:5]
	s_mov_b64 s[14:15], 0
	s_mov_b64 s[4:5], 0
	s_cbranch_vccz .LBB54_738
; %bb.668:
	v_mov_b32_e32 v3, 28
	v_cmp_gt_i16_sdwa s[4:5], s33, v3 src0_sel:BYTE_0 src1_sel:DWORD
	s_and_b64 vcc, exec, s[4:5]
	s_cbranch_vccz .LBB54_705
; %bb.669:
	v_mov_b32_e32 v3, 43
	v_cmp_gt_i16_sdwa s[4:5], s33, v3 src0_sel:BYTE_0 src1_sel:DWORD
	s_and_b64 vcc, exec, s[4:5]
	;; [unrolled: 5-line block ×3, first 2 shown]
	s_cbranch_vccz .LBB54_708
; %bb.671:
	v_mov_b32_e32 v3, 46
	v_cmp_eq_u16_sdwa s[14:15], s33, v3 src0_sel:BYTE_0 src1_sel:DWORD
	s_mov_b64 s[4:5], -1
	s_mov_b64 s[16:17], 0
	s_and_b64 vcc, exec, s[14:15]
	s_mov_b64 s[14:15], 0
	s_cbranch_vccz .LBB54_709
; %bb.672:
	s_bfe_u32 s4, s11, 0x10010
	s_add_i32 s4, s11, s4
	s_addk_i32 s4, 0x7fff
	s_lshr_b32 s14, s4, 16
	v_cmp_o_f32_e64 s[4:5], s11, s11
	s_and_b64 s[4:5], s[4:5], exec
	s_cselect_b32 s4, s14, 0x7fc0
	v_mov_b32_e32 v3, s4
	global_store_dword v[0:1], v3, off
	s_mov_b64 s[4:5], 0
	s_mov_b64 s[14:15], -1
	s_branch .LBB54_709
.LBB54_673:
	s_mov_b64 s[14:15], 0
	s_cbranch_execnz .LBB54_802
.LBB54_674:
	s_andn2_b64 vcc, exec, s[14:15]
	s_cbranch_vccnz .LBB54_840
.LBB54_675:
	v_add_u32_e32 v0, s10, v2
	v_ashrrev_i32_e32 v1, 31, v0
	v_mov_b32_e32 v2, s9
	v_add_co_u32_e32 v0, vcc, s8, v0
	v_addc_co_u32_e32 v1, vcc, v2, v1, vcc
	v_mov_b32_e32 v2, 0xff
	v_and_b32_e32 v2, s33, v2
	v_cmp_gt_i16_e32 vcc, 11, v2
	s_cbranch_vccnz .LBB54_704
; %bb.676:
	v_cmp_lt_i16_e32 vcc, 25, v2
	s_mov_b64 s[12:13], -1
	s_mov_b64 s[8:9], 0
	s_mov_b64 s[4:5], 0
	s_cbranch_vccz .LBB54_752
; %bb.677:
	v_cmp_lt_i16_e32 vcc, 28, v2
	s_cbranch_vccz .LBB54_693
; %bb.678:
	v_cmp_lt_i16_e32 vcc, 43, v2
	;; [unrolled: 3-line block ×3, first 2 shown]
	s_cbranch_vccz .LBB54_683
; %bb.680:
	v_cmp_eq_u16_e32 vcc, 46, v2
	s_mov_b64 s[4:5], -1
	s_cbranch_vccz .LBB54_682
; %bb.681:
	s_bfe_u32 s4, s11, 0x10010
	s_add_i32 s4, s11, s4
	s_addk_i32 s4, 0x7fff
	s_lshr_b32 s10, s4, 16
	v_cmp_o_f32_e64 s[4:5], s11, s11
	s_and_b64 s[4:5], s[4:5], exec
	s_cselect_b32 s4, s10, 0x7fc0
	v_mov_b32_e32 v3, s4
	global_store_dword v[0:1], v3, off
	s_mov_b64 s[4:5], 0
.LBB54_682:
	s_mov_b64 s[12:13], 0
.LBB54_683:
	s_and_b64 vcc, exec, s[12:13]
	s_cbranch_vccz .LBB54_688
; %bb.684:
	v_cmp_eq_u16_e32 vcc, 44, v2
	s_mov_b64 s[4:5], -1
	s_cbranch_vccz .LBB54_688
; %bb.685:
	s_bfe_u32 s4, s11, 0x80017
	s_cmpk_eq_i32 s4, 0xff
	v_mov_b32_e32 v3, 0xff
	s_cbranch_scc1 .LBB54_687
; %bb.686:
	s_lshr_b32 s10, s11, 23
	s_bitcmp1_b32 s11, 22
	s_cselect_b64 s[12:13], -1, 0
	s_and_b32 s5, s11, 0x3fffff
	s_or_b32 s4, s4, s5
	s_cmp_lg_u32 s4, 0
	s_cselect_b64 s[4:5], -1, 0
	s_and_b64 s[4:5], s[12:13], s[4:5]
	v_cndmask_b32_e64 v3, 0, 1, s[4:5]
	v_add_u32_e32 v3, s10, v3
.LBB54_687:
	s_mov_b64 s[4:5], 0
	global_store_byte v[0:1], v3, off
.LBB54_688:
	s_mov_b64 s[12:13], 0
.LBB54_689:
	s_and_b64 vcc, exec, s[12:13]
	s_cbranch_vccz .LBB54_692
; %bb.690:
	v_cmp_eq_u16_e32 vcc, 29, v2
	s_mov_b64 s[4:5], -1
	s_cbranch_vccz .LBB54_692
; %bb.691:
	v_trunc_f32_e32 v3, s11
	v_mul_f32_e32 v4, 0x2f800000, v3
	v_floor_f32_e32 v4, v4
	v_fmac_f32_e32 v3, 0xcf800000, v4
	v_cvt_u32_f32_e32 v5, v4
	v_cvt_u32_f32_e32 v4, v3
	s_mov_b64 s[4:5], 0
	global_store_dwordx2 v[0:1], v[4:5], off
.LBB54_692:
	s_mov_b64 s[12:13], 0
.LBB54_693:
	s_and_b64 vcc, exec, s[12:13]
	s_cbranch_vccz .LBB54_751
; %bb.694:
	v_cmp_gt_i16_e32 vcc, 27, v2
	s_mov_b64 s[12:13], -1
	s_cbranch_vccnz .LBB54_700
; %bb.695:
	v_cvt_u32_f32_e32 v3, s11
	v_cmp_lt_i16_e32 vcc, 27, v2
	s_cbranch_vccz .LBB54_697
; %bb.696:
	global_store_dword v[0:1], v3, off
	s_mov_b64 s[12:13], 0
.LBB54_697:
	s_andn2_b64 vcc, exec, s[12:13]
	s_cbranch_vccnz .LBB54_699
; %bb.698:
	global_store_short v[0:1], v3, off
.LBB54_699:
	s_mov_b64 s[12:13], 0
.LBB54_700:
	s_andn2_b64 vcc, exec, s[12:13]
	s_cbranch_vccnz .LBB54_751
; %bb.701:
	s_and_b32 s10, s11, 0x7fffffff
	s_cmp_gt_u32 s10, 0x437fffff
	v_mov_b32_e32 v4, 0x80
	s_cbranch_scc1 .LBB54_750
; %bb.702:
	s_cmp_gt_u32 s10, 0x3bffffff
	s_cbranch_scc0 .LBB54_745
; %bb.703:
	s_bfe_u32 s10, s11, 0x10014
	s_add_i32 s10, s11, s10
	s_add_i32 s10, s10, 0x487ffff
	s_lshr_b32 s10, s10, 20
	s_mov_b64 s[14:15], 0
	s_mov_b64 s[12:13], -1
	s_branch .LBB54_746
.LBB54_704:
	s_mov_b64 s[8:9], 0
	s_mov_b64 s[4:5], -1
	s_branch .LBB54_841
.LBB54_705:
	s_mov_b64 s[4:5], 0
	s_branch .LBB54_719
.LBB54_706:
	s_mov_b64 s[4:5], 0
	s_branch .LBB54_715
.LBB54_707:
	s_trap 2
	s_or_b64 s[6:7], s[6:7], exec
	s_cbranch_execz .LBB54_626
	s_branch .LBB54_627
.LBB54_708:
	s_mov_b64 s[4:5], 0
.LBB54_709:
	s_and_b64 vcc, exec, s[16:17]
	s_cbranch_vccz .LBB54_714
; %bb.710:
	v_mov_b32_e32 v3, 44
	v_cmp_eq_u16_sdwa s[16:17], s33, v3 src0_sel:BYTE_0 src1_sel:DWORD
	s_mov_b64 s[4:5], -1
	s_and_b64 vcc, exec, s[16:17]
	s_cbranch_vccz .LBB54_714
; %bb.711:
	s_bfe_u32 s4, s11, 0x80017
	s_cmpk_eq_i32 s4, 0xff
	v_mov_b32_e32 v3, 0xff
	s_cbranch_scc1 .LBB54_713
; %bb.712:
	s_lshr_b32 s16, s11, 23
	s_bitcmp1_b32 s11, 22
	s_cselect_b64 s[14:15], -1, 0
	s_and_b32 s5, s11, 0x3fffff
	s_or_b32 s4, s4, s5
	s_cmp_lg_u32 s4, 0
	s_cselect_b64 s[4:5], -1, 0
	s_and_b64 s[4:5], s[14:15], s[4:5]
	v_cndmask_b32_e64 v3, 0, 1, s[4:5]
	v_add_u32_e32 v3, s16, v3
.LBB54_713:
	s_mov_b64 s[4:5], 0
	s_mov_b64 s[14:15], -1
	global_store_byte v[0:1], v3, off
.LBB54_714:
	s_mov_b64 s[16:17], 0
.LBB54_715:
	s_and_b64 vcc, exec, s[16:17]
	s_cbranch_vccz .LBB54_718
; %bb.716:
	v_mov_b32_e32 v3, 29
	v_cmp_eq_u16_sdwa s[16:17], s33, v3 src0_sel:BYTE_0 src1_sel:DWORD
	s_mov_b64 s[4:5], -1
	s_and_b64 vcc, exec, s[16:17]
	s_cbranch_vccz .LBB54_718
; %bb.717:
	v_trunc_f32_e32 v3, s11
	v_mul_f32_e32 v4, 0x2f800000, v3
	v_floor_f32_e32 v4, v4
	v_fmac_f32_e32 v3, 0xcf800000, v4
	v_cvt_u32_f32_e32 v5, v4
	v_cvt_u32_f32_e32 v4, v3
	s_mov_b64 s[4:5], 0
	s_mov_b64 s[14:15], -1
	s_mov_b64 s[16:17], 0
	global_store_dwordx2 v[0:1], v[4:5], off
	s_branch .LBB54_719
.LBB54_718:
	s_mov_b64 s[16:17], 0
.LBB54_719:
	s_and_b64 vcc, exec, s[16:17]
	s_cbranch_vccz .LBB54_737
; %bb.720:
	v_mov_b32_e32 v3, 27
	v_cmp_lt_i16_sdwa s[16:17], s33, v3 src0_sel:BYTE_0 src1_sel:DWORD
	s_mov_b64 s[14:15], -1
	s_and_b64 vcc, exec, s[16:17]
	s_cbranch_vccnz .LBB54_726
; %bb.721:
	v_cmp_gt_i16_sdwa s[16:17], s33, v3 src0_sel:BYTE_0 src1_sel:DWORD
	s_and_b64 vcc, exec, s[16:17]
	s_cbranch_vccz .LBB54_723
; %bb.722:
	v_cvt_u32_f32_e32 v3, s11
	s_mov_b64 s[14:15], 0
	global_store_dword v[0:1], v3, off
.LBB54_723:
	s_andn2_b64 vcc, exec, s[14:15]
	s_cbranch_vccnz .LBB54_725
; %bb.724:
	v_cvt_u32_f32_e32 v3, s11
	global_store_short v[0:1], v3, off
.LBB54_725:
	s_mov_b64 s[14:15], 0
.LBB54_726:
	s_andn2_b64 vcc, exec, s[14:15]
	s_cbranch_vccnz .LBB54_736
; %bb.727:
	s_and_b32 s14, s11, 0x7fffffff
	s_cmp_gt_u32 s14, 0x437fffff
	v_mov_b32_e32 v4, 0x80
	s_cbranch_scc1 .LBB54_735
; %bb.728:
	s_cmp_gt_u32 s14, 0x3bffffff
	s_cbranch_scc0 .LBB54_730
; %bb.729:
	s_bfe_u32 s14, s11, 0x10014
	s_add_i32 s14, s11, s14
	s_add_i32 s14, s14, 0x487ffff
	s_lshr_b32 s18, s14, 20
	s_mov_b64 s[16:17], 0
	s_mov_b64 s[14:15], -1
	s_branch .LBB54_731
.LBB54_730:
	s_mov_b64 s[16:17], -1
	s_mov_b64 s[14:15], 0
                                        ; implicit-def: $sgpr18
.LBB54_731:
	s_andn2_b64 vcc, exec, s[16:17]
	v_mov_b32_e32 v3, s18
                                        ; implicit-def: $sgpr16
	s_cbranch_vccnz .LBB54_733
; %bb.732:
	v_mov_b32_e32 v3, 0x46000000
	v_add_f32_e64 v3, |s11|, v3
	v_and_b32_e32 v3, 0xff, v3
	s_mov_b32 s16, 0
	v_cmp_ne_u32_e64 s[14:15], 0, v3
.LBB54_733:
	s_andn2_b64 vcc, exec, s[14:15]
	v_mov_b32_e32 v4, s16
	s_cbranch_vccnz .LBB54_735
; %bb.734:
	s_lshr_b32 s14, s11, 24
	s_and_b32 s14, s14, 0x80
	v_or_b32_e32 v4, s14, v3
.LBB54_735:
	global_store_byte v[0:1], v4, off
.LBB54_736:
	s_mov_b64 s[14:15], -1
.LBB54_737:
	s_mov_b64 s[16:17], 0
.LBB54_738:
	s_and_b64 vcc, exec, s[16:17]
	s_cbranch_vccz .LBB54_798
; %bb.739:
	v_mov_b32_e32 v3, 22
	v_cmp_gt_i16_sdwa s[16:17], s33, v3 src0_sel:BYTE_0 src1_sel:DWORD
	s_mov_b64 s[12:13], -1
	s_and_b64 vcc, exec, s[16:17]
	s_cbranch_vccz .LBB54_791
; %bb.740:
	v_mov_b32_e32 v3, 24
	v_cmp_lt_i16_sdwa s[14:15], s33, v3 src0_sel:BYTE_0 src1_sel:DWORD
	s_and_b64 vcc, exec, s[14:15]
	s_cbranch_vccnz .LBB54_778
; %bb.741:
	v_cmp_gt_i16_sdwa s[14:15], s33, v3 src0_sel:BYTE_0 src1_sel:DWORD
	s_and_b64 vcc, exec, s[14:15]
	s_cbranch_vccz .LBB54_765
; %bb.742:
	s_and_b32 s12, s11, 0x7fffffff
	s_cmp_gt_u32 s12, 0x477fffff
	v_mov_b32_e32 v4, 0x80
	s_cbranch_scc1 .LBB54_764
; %bb.743:
	s_cmp_gt_u32 s12, 0x37ffffff
	s_cbranch_scc0 .LBB54_759
; %bb.744:
	s_bfe_u32 s12, s11, 0x10015
	s_add_i32 s12, s11, s12
	s_add_i32 s12, s12, 0x88fffff
	s_lshr_b32 s16, s12, 21
	s_mov_b64 s[14:15], 0
	s_mov_b64 s[12:13], -1
	s_branch .LBB54_760
.LBB54_745:
	s_mov_b64 s[14:15], -1
	s_mov_b64 s[12:13], 0
                                        ; implicit-def: $sgpr10
.LBB54_746:
	s_andn2_b64 vcc, exec, s[14:15]
	v_mov_b32_e32 v3, s10
                                        ; implicit-def: $sgpr10
	s_cbranch_vccnz .LBB54_748
; %bb.747:
	v_mov_b32_e32 v3, 0x46000000
	v_add_f32_e64 v3, |s11|, v3
	v_and_b32_e32 v3, 0xff, v3
	s_mov_b32 s10, 0
	v_cmp_ne_u32_e64 s[12:13], 0, v3
.LBB54_748:
	s_andn2_b64 vcc, exec, s[12:13]
	v_mov_b32_e32 v4, s10
	s_cbranch_vccnz .LBB54_750
; %bb.749:
	s_lshr_b32 s10, s11, 24
	s_and_b32 s10, s10, 0x80
	v_or_b32_e32 v4, s10, v3
.LBB54_750:
	global_store_byte v[0:1], v4, off
.LBB54_751:
	s_mov_b64 s[12:13], 0
.LBB54_752:
	s_and_b64 vcc, exec, s[12:13]
	s_cbranch_vccz .LBB54_922
; %bb.753:
	v_cmp_lt_i16_e32 vcc, 22, v2
	s_mov_b64 s[8:9], -1
	s_cbranch_vccz .LBB54_915
; %bb.754:
	v_cmp_gt_i16_e32 vcc, 24, v2
	s_cbranch_vccnz .LBB54_902
; %bb.755:
	v_cmp_lt_i16_e32 vcc, 24, v2
	s_cbranch_vccz .LBB54_889
; %bb.756:
	s_and_b32 s8, s11, 0x7fffffff
	s_cmp_gt_u32 s8, 0x477fffff
	v_mov_b32_e32 v4, 0x80
	s_cbranch_scc1 .LBB54_888
; %bb.757:
	s_cmp_gt_u32 s8, 0x37ffffff
	s_cbranch_scc0 .LBB54_883
; %bb.758:
	s_bfe_u32 s8, s11, 0x10015
	s_add_i32 s8, s11, s8
	s_add_i32 s8, s8, 0x88fffff
	s_lshr_b32 s10, s8, 21
	s_mov_b64 s[12:13], 0
	s_mov_b64 s[8:9], -1
	s_branch .LBB54_884
.LBB54_759:
	s_mov_b64 s[14:15], -1
	s_mov_b64 s[12:13], 0
                                        ; implicit-def: $sgpr16
.LBB54_760:
	s_andn2_b64 vcc, exec, s[14:15]
	v_mov_b32_e32 v3, s16
                                        ; implicit-def: $sgpr14
	s_cbranch_vccnz .LBB54_762
; %bb.761:
	v_mov_b32_e32 v3, 0x42800000
	v_add_f32_e64 v3, |s11|, v3
	v_and_b32_e32 v3, 0xff, v3
	s_mov_b32 s14, 0
	v_cmp_ne_u32_e64 s[12:13], 0, v3
.LBB54_762:
	s_andn2_b64 vcc, exec, s[12:13]
	v_mov_b32_e32 v4, s14
	s_cbranch_vccnz .LBB54_764
; %bb.763:
	s_lshr_b32 s12, s11, 24
	s_and_b32 s12, s12, 0x80
	v_or_b32_e32 v4, s12, v3
.LBB54_764:
	s_mov_b64 s[12:13], 0
	global_store_byte v[0:1], v4, off
.LBB54_765:
	s_and_b64 vcc, exec, s[12:13]
	s_cbranch_vccz .LBB54_777
; %bb.766:
	s_and_b32 s14, s11, 0x7fffffff
	s_cmp_lt_u32 s14, 0x43f00000
	s_cbranch_scc0 .LBB54_769
; %bb.767:
	s_cmp_gt_u32 s14, 0x3c7fffff
	s_cbranch_scc0 .LBB54_770
; %bb.768:
	s_bfe_u32 s12, s11, 0x10014
	s_add_i32 s12, s11, s12
	s_add_i32 s12, s12, 0x407ffff
	s_lshr_b32 s13, s12, 20
	s_and_b32 s12, s12, 0xff00000
	s_cmp_lg_u32 s12, 0x7f00000
	s_cselect_b32 s15, s13, 0x7e
	s_mov_b64 s[12:13], 0
	s_branch .LBB54_771
.LBB54_769:
	s_mov_b64 s[12:13], -1
                                        ; implicit-def: $vgpr3
	s_branch .LBB54_774
.LBB54_770:
	s_mov_b64 s[12:13], -1
                                        ; implicit-def: $sgpr15
.LBB54_771:
	s_andn2_b64 vcc, exec, s[12:13]
	v_mov_b32_e32 v3, s15
	s_cbranch_vccnz .LBB54_773
; %bb.772:
	v_mov_b32_e32 v3, 0x46800000
	v_add_f32_e64 v3, |s11|, v3
.LBB54_773:
	s_mov_b64 s[12:13], 0
.LBB54_774:
	s_andn2_b64 vcc, exec, s[12:13]
	s_cbranch_vccnz .LBB54_776
; %bb.775:
	s_cmp_gt_u32 s14, 0x7f800000
	s_movk_i32 s12, 0x7f
	s_cselect_b32 s12, s12, 0x7e
	v_mov_b32_e32 v3, s12
.LBB54_776:
	s_lshr_b32 s12, s11, 24
	s_and_b32 s12, s12, 0x80
	v_or_b32_e32 v3, s12, v3
	global_store_byte v[0:1], v3, off
.LBB54_777:
	s_mov_b64 s[12:13], 0
.LBB54_778:
	s_andn2_b64 vcc, exec, s[12:13]
	s_cbranch_vccnz .LBB54_790
; %bb.779:
	s_and_b32 s14, s11, 0x7fffffff
	s_cmp_lt_u32 s14, 0x47800000
	s_cbranch_scc0 .LBB54_782
; %bb.780:
	s_cmp_gt_u32 s14, 0x387fffff
	s_cbranch_scc0 .LBB54_783
; %bb.781:
	s_bfe_u32 s12, s11, 0x10015
	s_add_i32 s12, s11, s12
	s_add_i32 s12, s12, 0x80fffff
	s_lshr_b32 s15, s12, 21
	s_mov_b64 s[12:13], 0
	s_branch .LBB54_784
.LBB54_782:
	s_mov_b64 s[12:13], -1
                                        ; implicit-def: $vgpr3
	s_branch .LBB54_787
.LBB54_783:
	s_mov_b64 s[12:13], -1
                                        ; implicit-def: $sgpr15
.LBB54_784:
	s_andn2_b64 vcc, exec, s[12:13]
	v_mov_b32_e32 v3, s15
	s_cbranch_vccnz .LBB54_786
; %bb.785:
	v_mov_b32_e32 v3, 0x43000000
	v_add_f32_e64 v3, |s11|, v3
.LBB54_786:
	s_mov_b64 s[12:13], 0
.LBB54_787:
	s_andn2_b64 vcc, exec, s[12:13]
	s_cbranch_vccnz .LBB54_789
; %bb.788:
	s_cmp_gt_u32 s14, 0x7f800000
	s_movk_i32 s12, 0x7f
	s_cselect_b32 s12, s12, 0x7c
	v_mov_b32_e32 v3, s12
.LBB54_789:
	s_lshr_b32 s12, s11, 24
	s_and_b32 s12, s12, 0x80
	v_or_b32_e32 v3, s12, v3
	global_store_byte v[0:1], v3, off
.LBB54_790:
	s_mov_b64 s[12:13], 0
	s_mov_b64 s[14:15], -1
.LBB54_791:
	s_andn2_b64 vcc, exec, s[12:13]
	s_mov_b64 s[12:13], 0
	s_cbranch_vccnz .LBB54_798
; %bb.792:
	v_mov_b32_e32 v3, 14
	v_cmp_gt_i16_sdwa s[12:13], s33, v3 src0_sel:BYTE_0 src1_sel:DWORD
	s_mov_b64 s[16:17], -1
	s_and_b64 vcc, exec, s[12:13]
	s_cbranch_vccz .LBB54_796
; %bb.793:
	v_mov_b32_e32 v3, 15
	v_cmp_eq_u16_sdwa s[12:13], s33, v3 src0_sel:BYTE_0 src1_sel:DWORD
	s_mov_b64 s[4:5], -1
	s_and_b64 vcc, exec, s[12:13]
	s_cbranch_vccz .LBB54_795
; %bb.794:
	s_bfe_u32 s4, s11, 0x10010
	s_add_i32 s4, s11, s4
	s_addk_i32 s4, 0x7fff
	s_lshr_b32 s12, s4, 16
	v_cmp_o_f32_e64 s[4:5], s11, s11
	s_and_b64 s[4:5], s[4:5], exec
	s_cselect_b32 s4, s12, 0x7fc0
	v_mov_b32_e32 v3, s4
	global_store_short v[0:1], v3, off
	s_mov_b64 s[4:5], 0
	s_mov_b64 s[14:15], -1
.LBB54_795:
	s_mov_b64 s[16:17], 0
.LBB54_796:
	s_mov_b64 s[12:13], 0
	s_and_b64 vcc, exec, s[16:17]
	s_cbranch_vccz .LBB54_798
; %bb.797:
	v_mov_b32_e32 v3, 11
	v_cmp_ne_u16_sdwa s[4:5], s33, v3 src0_sel:BYTE_0 src1_sel:DWORD
	s_mov_b64 s[12:13], -1
.LBB54_798:
	s_and_b64 vcc, exec, s[4:5]
	s_cbranch_vccnz .LBB54_882
; %bb.799:
	s_andn2_b64 vcc, exec, s[12:13]
	s_cbranch_vccnz .LBB54_801
.LBB54_800:
	v_cmp_neq_f32_e64 s[4:5], s11, 0
	v_cndmask_b32_e64 v3, 0, 1, s[4:5]
	s_mov_b64 s[14:15], -1
	global_store_byte v[0:1], v3, off
.LBB54_801:
	s_branch .LBB54_674
.LBB54_802:
	v_mov_b32_e32 v3, 5
	v_cmp_lt_i16_sdwa s[12:13], s33, v3 src0_sel:BYTE_0 src1_sel:DWORD
	s_mov_b64 s[4:5], -1
	s_and_b64 vcc, exec, s[12:13]
	s_cbranch_vccnz .LBB54_823
; %bb.803:
	v_mov_b32_e32 v3, 8
	v_cmp_lt_i16_sdwa s[12:13], s33, v3 src0_sel:BYTE_0 src1_sel:DWORD
	s_and_b64 vcc, exec, s[12:13]
	s_cbranch_vccnz .LBB54_813
; %bb.804:
	v_mov_b32_e32 v3, 9
	v_cmp_lt_i16_sdwa s[12:13], s33, v3 src0_sel:BYTE_0 src1_sel:DWORD
	s_and_b64 vcc, exec, s[12:13]
	s_cbranch_vccnz .LBB54_810
; %bb.805:
	v_cmp_gt_i16_sdwa s[12:13], s33, v3 src0_sel:BYTE_0 src1_sel:DWORD
	s_and_b64 vcc, exec, s[12:13]
	s_cbranch_vccz .LBB54_807
; %bb.806:
	v_mov_b32_e32 v6, 0
	v_cvt_f64_f32_e32 v[4:5], s11
	v_mov_b32_e32 v7, v6
	global_store_dwordx4 v[0:1], v[4:7], off
	s_mov_b64 s[4:5], 0
.LBB54_807:
	s_andn2_b64 vcc, exec, s[4:5]
	s_cbranch_vccnz .LBB54_809
; %bb.808:
	v_mov_b32_e32 v4, s11
	v_mov_b32_e32 v5, 0
	global_store_dwordx2 v[0:1], v[4:5], off
.LBB54_809:
	s_mov_b64 s[4:5], 0
.LBB54_810:
	s_andn2_b64 vcc, exec, s[4:5]
	s_cbranch_vccnz .LBB54_812
; %bb.811:
	v_cvt_f16_f32_e32 v3, s11
	global_store_dword v[0:1], v3, off
.LBB54_812:
	s_mov_b64 s[4:5], 0
.LBB54_813:
	s_andn2_b64 vcc, exec, s[4:5]
	s_cbranch_vccnz .LBB54_822
; %bb.814:
	v_mov_b32_e32 v3, 6
	v_cmp_lt_i16_sdwa s[12:13], s33, v3 src0_sel:BYTE_0 src1_sel:DWORD
	s_mov_b64 s[4:5], -1
	s_and_b64 vcc, exec, s[12:13]
	s_cbranch_vccnz .LBB54_820
; %bb.815:
	v_cmp_gt_i16_sdwa s[12:13], s33, v3 src0_sel:BYTE_0 src1_sel:DWORD
	s_and_b64 vcc, exec, s[12:13]
	s_cbranch_vccz .LBB54_817
; %bb.816:
	v_cvt_f64_f32_e32 v[4:5], s11
	global_store_dwordx2 v[0:1], v[4:5], off
	s_mov_b64 s[4:5], 0
.LBB54_817:
	s_andn2_b64 vcc, exec, s[4:5]
	s_cbranch_vccnz .LBB54_819
; %bb.818:
	v_mov_b32_e32 v3, s11
	global_store_dword v[0:1], v3, off
.LBB54_819:
	s_mov_b64 s[4:5], 0
.LBB54_820:
	s_andn2_b64 vcc, exec, s[4:5]
	s_cbranch_vccnz .LBB54_822
; %bb.821:
	v_cvt_f16_f32_e32 v3, s11
	global_store_short v[0:1], v3, off
.LBB54_822:
	s_mov_b64 s[4:5], 0
.LBB54_823:
	s_andn2_b64 vcc, exec, s[4:5]
	s_cbranch_vccnz .LBB54_839
; %bb.824:
	v_mov_b32_e32 v3, 2
	v_cmp_lt_i16_sdwa s[12:13], s33, v3 src0_sel:BYTE_0 src1_sel:DWORD
	s_mov_b64 s[4:5], -1
	s_and_b64 vcc, exec, s[12:13]
	s_cbranch_vccnz .LBB54_834
; %bb.825:
	v_mov_b32_e32 v3, 3
	v_cmp_lt_i16_sdwa s[12:13], s33, v3 src0_sel:BYTE_0 src1_sel:DWORD
	s_and_b64 vcc, exec, s[12:13]
	s_cbranch_vccnz .LBB54_831
; %bb.826:
	v_cmp_gt_i16_sdwa s[12:13], s33, v3 src0_sel:BYTE_0 src1_sel:DWORD
	s_and_b64 vcc, exec, s[12:13]
	s_cbranch_vccz .LBB54_828
; %bb.827:
	v_trunc_f32_e32 v3, s11
	s_mov_b32 s4, 0x2f800000
	v_mul_f32_e64 v4, |v3|, s4
	v_floor_f32_e32 v4, v4
	s_mov_b32 s4, 0xcf800000
	v_fma_f32 v5, v4, s4, |v3|
	v_cvt_u32_f32_e32 v5, v5
	v_cvt_u32_f32_e32 v4, v4
	v_ashrrev_i32_e32 v3, 31, v3
	s_mov_b64 s[4:5], 0
	v_xor_b32_e32 v5, v5, v3
	v_xor_b32_e32 v6, v4, v3
	v_sub_co_u32_e32 v4, vcc, v5, v3
	v_subb_co_u32_e32 v5, vcc, v6, v3, vcc
	global_store_dwordx2 v[0:1], v[4:5], off
.LBB54_828:
	s_andn2_b64 vcc, exec, s[4:5]
	s_cbranch_vccnz .LBB54_830
; %bb.829:
	v_cvt_i32_f32_e32 v3, s11
	global_store_dword v[0:1], v3, off
.LBB54_830:
	s_mov_b64 s[4:5], 0
.LBB54_831:
	s_andn2_b64 vcc, exec, s[4:5]
	s_cbranch_vccnz .LBB54_833
; %bb.832:
	v_cvt_i32_f32_e32 v3, s11
	global_store_short v[0:1], v3, off
.LBB54_833:
	s_mov_b64 s[4:5], 0
.LBB54_834:
	s_andn2_b64 vcc, exec, s[4:5]
	s_cbranch_vccnz .LBB54_839
; %bb.835:
	v_mov_b32_e32 v3, 0
	v_cmp_gt_i16_sdwa s[12:13], s33, v3 src0_sel:BYTE_0 src1_sel:DWORD
	s_mov_b64 s[4:5], -1
	s_and_b64 vcc, exec, s[12:13]
	s_cbranch_vccz .LBB54_837
; %bb.836:
	v_cvt_i32_f32_e32 v3, s11
	s_mov_b64 s[4:5], 0
	global_store_byte v[0:1], v3, off
.LBB54_837:
	s_andn2_b64 vcc, exec, s[4:5]
	s_cbranch_vccnz .LBB54_839
; %bb.838:
	v_trunc_f32_e32 v3, s11
	s_mov_b32 s4, 0x2f800000
	v_mul_f32_e64 v4, |v3|, s4
	v_floor_f32_e32 v4, v4
	s_mov_b32 s4, 0xcf800000
	v_fma_f32 v4, v4, s4, |v3|
	v_cvt_u32_f32_e32 v4, v4
	v_ashrrev_i32_e32 v3, 31, v3
	v_xor_b32_e32 v4, v4, v3
	v_sub_u32_e32 v3, v4, v3
	global_store_byte v[0:1], v3, off
.LBB54_839:
	s_branch .LBB54_675
.LBB54_840:
	s_mov_b64 s[4:5], 0
	s_mov_b64 s[8:9], 0
                                        ; implicit-def: $vgpr2
                                        ; implicit-def: $vgpr0_vgpr1
.LBB54_841:
	s_andn2_b64 s[0:1], s[0:1], exec
	s_and_b64 s[6:7], s[6:7], exec
	s_and_b64 s[12:13], s[4:5], exec
	;; [unrolled: 1-line block ×3, first 2 shown]
	s_or_b64 s[0:1], s[0:1], s[6:7]
	s_or_b64 exec, exec, s[2:3]
	s_and_saveexec_b64 s[2:3], s[0:1]
	s_cbranch_execnz .LBB54_413
.LBB54_842:
	s_or_b64 exec, exec, s[2:3]
	s_and_saveexec_b64 s[0:1], s[4:5]
	s_xor_b64 s[0:1], exec, s[0:1]
	s_cbranch_execz .LBB54_414
.LBB54_843:
	v_cmp_neq_f32_e64 s[2:3], s11, 0
	v_cndmask_b32_e64 v3, 0, 1, s[2:3]
	global_store_byte v[0:1], v3, off
	s_or_b64 exec, exec, s[0:1]
	s_and_saveexec_b64 s[0:1], s[12:13]
	s_cbranch_execz .LBB54_881
.LBB54_844:
	v_cmp_gt_i16_e32 vcc, 5, v2
	s_mov_b64 s[0:1], -1
	s_cbranch_vccnz .LBB54_865
; %bb.845:
	v_cmp_gt_i16_e32 vcc, 8, v2
	s_cbranch_vccnz .LBB54_855
; %bb.846:
	v_cmp_gt_i16_e32 vcc, 9, v2
	s_cbranch_vccnz .LBB54_852
; %bb.847:
	v_cmp_lt_i16_e32 vcc, 9, v2
	s_cbranch_vccz .LBB54_849
; %bb.848:
	v_mov_b32_e32 v6, 0
	v_cvt_f64_f32_e32 v[4:5], s11
	v_mov_b32_e32 v7, v6
	global_store_dwordx4 v[0:1], v[4:7], off
	s_mov_b64 s[0:1], 0
.LBB54_849:
	s_andn2_b64 vcc, exec, s[0:1]
	s_cbranch_vccnz .LBB54_851
; %bb.850:
	v_mov_b32_e32 v4, s11
	v_mov_b32_e32 v5, 0
	global_store_dwordx2 v[0:1], v[4:5], off
.LBB54_851:
	s_mov_b64 s[0:1], 0
.LBB54_852:
	s_andn2_b64 vcc, exec, s[0:1]
	s_cbranch_vccnz .LBB54_854
; %bb.853:
	v_cvt_f16_f32_e32 v3, s11
	global_store_dword v[0:1], v3, off
.LBB54_854:
	s_mov_b64 s[0:1], 0
.LBB54_855:
	s_andn2_b64 vcc, exec, s[0:1]
	s_cbranch_vccnz .LBB54_864
; %bb.856:
	v_cmp_gt_i16_e32 vcc, 6, v2
	s_mov_b64 s[0:1], -1
	s_cbranch_vccnz .LBB54_862
; %bb.857:
	v_cmp_lt_i16_e32 vcc, 6, v2
	s_cbranch_vccz .LBB54_859
; %bb.858:
	v_cvt_f64_f32_e32 v[4:5], s11
	global_store_dwordx2 v[0:1], v[4:5], off
	s_mov_b64 s[0:1], 0
.LBB54_859:
	s_andn2_b64 vcc, exec, s[0:1]
	s_cbranch_vccnz .LBB54_861
; %bb.860:
	v_mov_b32_e32 v3, s11
	global_store_dword v[0:1], v3, off
.LBB54_861:
	s_mov_b64 s[0:1], 0
.LBB54_862:
	s_andn2_b64 vcc, exec, s[0:1]
	s_cbranch_vccnz .LBB54_864
; %bb.863:
	v_cvt_f16_f32_e32 v3, s11
	global_store_short v[0:1], v3, off
.LBB54_864:
	s_mov_b64 s[0:1], 0
.LBB54_865:
	s_andn2_b64 vcc, exec, s[0:1]
	s_cbranch_vccnz .LBB54_881
; %bb.866:
	v_cmp_gt_i16_e32 vcc, 2, v2
	s_mov_b64 s[0:1], -1
	s_cbranch_vccnz .LBB54_876
; %bb.867:
	v_cmp_gt_i16_e32 vcc, 3, v2
	s_cbranch_vccnz .LBB54_873
; %bb.868:
	v_cmp_lt_i16_e32 vcc, 3, v2
	s_cbranch_vccz .LBB54_870
; %bb.869:
	v_trunc_f32_e32 v3, s11
	s_mov_b32 s0, 0x2f800000
	v_mul_f32_e64 v4, |v3|, s0
	v_floor_f32_e32 v4, v4
	s_mov_b32 s0, 0xcf800000
	v_fma_f32 v5, v4, s0, |v3|
	v_cvt_u32_f32_e32 v5, v5
	v_cvt_u32_f32_e32 v4, v4
	v_ashrrev_i32_e32 v3, 31, v3
	s_mov_b64 s[0:1], 0
	v_xor_b32_e32 v5, v5, v3
	v_xor_b32_e32 v6, v4, v3
	v_sub_co_u32_e32 v4, vcc, v5, v3
	v_subb_co_u32_e32 v5, vcc, v6, v3, vcc
	global_store_dwordx2 v[0:1], v[4:5], off
.LBB54_870:
	s_andn2_b64 vcc, exec, s[0:1]
	s_cbranch_vccnz .LBB54_872
; %bb.871:
	v_cvt_i32_f32_e32 v3, s11
	global_store_dword v[0:1], v3, off
.LBB54_872:
	s_mov_b64 s[0:1], 0
.LBB54_873:
	s_andn2_b64 vcc, exec, s[0:1]
	s_cbranch_vccnz .LBB54_875
; %bb.874:
	v_cvt_i32_f32_e32 v3, s11
	global_store_short v[0:1], v3, off
.LBB54_875:
	s_mov_b64 s[0:1], 0
.LBB54_876:
	s_andn2_b64 vcc, exec, s[0:1]
	s_cbranch_vccnz .LBB54_881
; %bb.877:
	v_cmp_lt_i16_e32 vcc, 0, v2
	s_mov_b64 s[0:1], -1
	s_cbranch_vccz .LBB54_879
; %bb.878:
	v_cvt_i32_f32_e32 v2, s11
	s_mov_b64 s[0:1], 0
	global_store_byte v[0:1], v2, off
.LBB54_879:
	s_andn2_b64 vcc, exec, s[0:1]
	s_cbranch_vccnz .LBB54_881
; %bb.880:
	v_trunc_f32_e32 v2, s11
	s_mov_b32 s0, 0x2f800000
	v_mul_f32_e64 v3, |v2|, s0
	v_floor_f32_e32 v3, v3
	s_mov_b32 s0, 0xcf800000
	v_fma_f32 v3, v3, s0, |v2|
	v_cvt_u32_f32_e32 v3, v3
	v_ashrrev_i32_e32 v2, 31, v2
	v_xor_b32_e32 v3, v3, v2
	v_sub_u32_e32 v2, v3, v2
	global_store_byte v[0:1], v2, off
	s_endpgm
.LBB54_881:
	s_endpgm
.LBB54_882:
	s_trap 2
	s_or_b64 s[6:7], s[6:7], exec
	s_cbranch_execz .LBB54_800
	s_branch .LBB54_801
.LBB54_883:
	s_mov_b64 s[12:13], -1
	s_mov_b64 s[8:9], 0
                                        ; implicit-def: $sgpr10
.LBB54_884:
	s_andn2_b64 vcc, exec, s[12:13]
	v_mov_b32_e32 v3, s10
                                        ; implicit-def: $sgpr10
	s_cbranch_vccnz .LBB54_886
; %bb.885:
	v_mov_b32_e32 v3, 0x42800000
	v_add_f32_e64 v3, |s11|, v3
	v_and_b32_e32 v3, 0xff, v3
	s_mov_b32 s10, 0
	v_cmp_ne_u32_e64 s[8:9], 0, v3
.LBB54_886:
	s_andn2_b64 vcc, exec, s[8:9]
	v_mov_b32_e32 v4, s10
	s_cbranch_vccnz .LBB54_888
; %bb.887:
	s_lshr_b32 s8, s11, 24
	s_and_b32 s8, s8, 0x80
	v_or_b32_e32 v4, s8, v3
.LBB54_888:
	s_mov_b64 s[8:9], 0
	global_store_byte v[0:1], v4, off
.LBB54_889:
	s_and_b64 vcc, exec, s[8:9]
	s_cbranch_vccz .LBB54_901
; %bb.890:
	s_and_b32 s10, s11, 0x7fffffff
	s_cmp_lt_u32 s10, 0x43f00000
	s_cbranch_scc0 .LBB54_893
; %bb.891:
	s_cmp_gt_u32 s10, 0x3c7fffff
	s_cbranch_scc0 .LBB54_894
; %bb.892:
	s_bfe_u32 s8, s11, 0x10014
	s_add_i32 s8, s11, s8
	s_add_i32 s8, s8, 0x407ffff
	s_lshr_b32 s9, s8, 20
	s_and_b32 s8, s8, 0xff00000
	s_cmp_lg_u32 s8, 0x7f00000
	s_cselect_b32 s12, s9, 0x7e
	s_mov_b64 s[8:9], 0
	s_branch .LBB54_895
.LBB54_893:
	s_mov_b64 s[8:9], -1
                                        ; implicit-def: $vgpr3
	s_branch .LBB54_898
.LBB54_894:
	s_mov_b64 s[8:9], -1
                                        ; implicit-def: $sgpr12
.LBB54_895:
	s_andn2_b64 vcc, exec, s[8:9]
	v_mov_b32_e32 v3, s12
	s_cbranch_vccnz .LBB54_897
; %bb.896:
	v_mov_b32_e32 v3, 0x46800000
	v_add_f32_e64 v3, |s11|, v3
.LBB54_897:
	s_mov_b64 s[8:9], 0
.LBB54_898:
	s_andn2_b64 vcc, exec, s[8:9]
	s_cbranch_vccnz .LBB54_900
; %bb.899:
	s_cmp_gt_u32 s10, 0x7f800000
	s_movk_i32 s8, 0x7f
	s_cselect_b32 s8, s8, 0x7e
	v_mov_b32_e32 v3, s8
.LBB54_900:
	s_lshr_b32 s8, s11, 24
	s_and_b32 s8, s8, 0x80
	v_or_b32_e32 v3, s8, v3
	global_store_byte v[0:1], v3, off
.LBB54_901:
	s_mov_b64 s[8:9], 0
.LBB54_902:
	s_andn2_b64 vcc, exec, s[8:9]
	s_cbranch_vccnz .LBB54_914
; %bb.903:
	s_and_b32 s10, s11, 0x7fffffff
	s_cmp_lt_u32 s10, 0x47800000
	s_cbranch_scc0 .LBB54_906
; %bb.904:
	s_cmp_gt_u32 s10, 0x387fffff
	s_cbranch_scc0 .LBB54_907
; %bb.905:
	s_bfe_u32 s8, s11, 0x10015
	s_add_i32 s8, s11, s8
	s_add_i32 s8, s8, 0x80fffff
	s_lshr_b32 s12, s8, 21
	s_mov_b64 s[8:9], 0
	s_branch .LBB54_908
.LBB54_906:
	s_mov_b64 s[8:9], -1
                                        ; implicit-def: $vgpr3
	s_branch .LBB54_911
.LBB54_907:
	s_mov_b64 s[8:9], -1
                                        ; implicit-def: $sgpr12
.LBB54_908:
	s_andn2_b64 vcc, exec, s[8:9]
	v_mov_b32_e32 v3, s12
	s_cbranch_vccnz .LBB54_910
; %bb.909:
	v_mov_b32_e32 v3, 0x43000000
	v_add_f32_e64 v3, |s11|, v3
.LBB54_910:
	s_mov_b64 s[8:9], 0
.LBB54_911:
	s_andn2_b64 vcc, exec, s[8:9]
	s_cbranch_vccnz .LBB54_913
; %bb.912:
	s_cmp_gt_u32 s10, 0x7f800000
	s_movk_i32 s8, 0x7f
	s_cselect_b32 s8, s8, 0x7c
	v_mov_b32_e32 v3, s8
.LBB54_913:
	s_lshr_b32 s8, s11, 24
	s_and_b32 s8, s8, 0x80
	v_or_b32_e32 v3, s8, v3
	global_store_byte v[0:1], v3, off
.LBB54_914:
	s_mov_b64 s[8:9], 0
.LBB54_915:
	s_andn2_b64 vcc, exec, s[8:9]
	s_mov_b64 s[8:9], 0
	s_cbranch_vccnz .LBB54_922
; %bb.916:
	v_cmp_lt_i16_e32 vcc, 14, v2
	s_mov_b64 s[12:13], -1
	s_cbranch_vccz .LBB54_920
; %bb.917:
	v_cmp_eq_u16_e32 vcc, 15, v2
	s_mov_b64 s[4:5], -1
	s_cbranch_vccz .LBB54_919
; %bb.918:
	s_bfe_u32 s4, s11, 0x10010
	s_add_i32 s4, s11, s4
	s_addk_i32 s4, 0x7fff
	s_lshr_b32 s8, s4, 16
	v_cmp_o_f32_e64 s[4:5], s11, s11
	s_and_b64 s[4:5], s[4:5], exec
	s_cselect_b32 s4, s8, 0x7fc0
	v_mov_b32_e32 v3, s4
	global_store_short v[0:1], v3, off
	s_mov_b64 s[4:5], 0
.LBB54_919:
	s_mov_b64 s[12:13], 0
.LBB54_920:
	s_mov_b64 s[8:9], 0
	s_and_b64 vcc, exec, s[12:13]
	s_cbranch_vccz .LBB54_922
; %bb.921:
	v_cmp_ne_u16_e64 s[4:5], 11, v2
	s_mov_b64 s[8:9], -1
.LBB54_922:
	s_and_b64 vcc, exec, s[4:5]
	s_cbranch_vccnz .LBB54_924
.LBB54_923:
	s_mov_b64 s[4:5], 0
	s_branch .LBB54_841
.LBB54_924:
	s_mov_b64 s[8:9], 0
	s_or_b64 s[6:7], s[6:7], exec
	s_trap 2
	s_branch .LBB54_923
	.section	.rodata,"a",@progbits
	.p2align	6, 0x0
	.amdhsa_kernel _ZN2at6native32elementwise_kernel_manual_unrollILi128ELi4EZNS0_15gpu_kernel_implINS0_11FillFunctorIfEEEEvRNS_18TensorIteratorBaseERKT_EUlibE_EEviT1_
		.amdhsa_group_segment_fixed_size 0
		.amdhsa_private_segment_fixed_size 0
		.amdhsa_kernarg_size 32
		.amdhsa_user_sgpr_count 6
		.amdhsa_user_sgpr_private_segment_buffer 1
		.amdhsa_user_sgpr_dispatch_ptr 0
		.amdhsa_user_sgpr_queue_ptr 0
		.amdhsa_user_sgpr_kernarg_segment_ptr 1
		.amdhsa_user_sgpr_dispatch_id 0
		.amdhsa_user_sgpr_flat_scratch_init 0
		.amdhsa_user_sgpr_kernarg_preload_length 0
		.amdhsa_user_sgpr_kernarg_preload_offset 0
		.amdhsa_user_sgpr_private_segment_size 0
		.amdhsa_uses_dynamic_stack 0
		.amdhsa_system_sgpr_private_segment_wavefront_offset 0
		.amdhsa_system_sgpr_workgroup_id_x 1
		.amdhsa_system_sgpr_workgroup_id_y 0
		.amdhsa_system_sgpr_workgroup_id_z 0
		.amdhsa_system_sgpr_workgroup_info 0
		.amdhsa_system_vgpr_workitem_id 0
		.amdhsa_next_free_vgpr 17
		.amdhsa_next_free_sgpr 64
		.amdhsa_accum_offset 20
		.amdhsa_reserve_vcc 1
		.amdhsa_reserve_flat_scratch 0
		.amdhsa_float_round_mode_32 0
		.amdhsa_float_round_mode_16_64 0
		.amdhsa_float_denorm_mode_32 3
		.amdhsa_float_denorm_mode_16_64 3
		.amdhsa_dx10_clamp 1
		.amdhsa_ieee_mode 1
		.amdhsa_fp16_overflow 0
		.amdhsa_tg_split 0
		.amdhsa_exception_fp_ieee_invalid_op 0
		.amdhsa_exception_fp_denorm_src 0
		.amdhsa_exception_fp_ieee_div_zero 0
		.amdhsa_exception_fp_ieee_overflow 0
		.amdhsa_exception_fp_ieee_underflow 0
		.amdhsa_exception_fp_ieee_inexact 0
		.amdhsa_exception_int_div_zero 0
	.end_amdhsa_kernel
	.section	.text._ZN2at6native32elementwise_kernel_manual_unrollILi128ELi4EZNS0_15gpu_kernel_implINS0_11FillFunctorIfEEEEvRNS_18TensorIteratorBaseERKT_EUlibE_EEviT1_,"axG",@progbits,_ZN2at6native32elementwise_kernel_manual_unrollILi128ELi4EZNS0_15gpu_kernel_implINS0_11FillFunctorIfEEEEvRNS_18TensorIteratorBaseERKT_EUlibE_EEviT1_,comdat
.Lfunc_end54:
	.size	_ZN2at6native32elementwise_kernel_manual_unrollILi128ELi4EZNS0_15gpu_kernel_implINS0_11FillFunctorIfEEEEvRNS_18TensorIteratorBaseERKT_EUlibE_EEviT1_, .Lfunc_end54-_ZN2at6native32elementwise_kernel_manual_unrollILi128ELi4EZNS0_15gpu_kernel_implINS0_11FillFunctorIfEEEEvRNS_18TensorIteratorBaseERKT_EUlibE_EEviT1_
                                        ; -- End function
	.section	.AMDGPU.csdata,"",@progbits
; Kernel info:
; codeLenInByte = 14468
; NumSgprs: 68
; NumVgprs: 17
; NumAgprs: 0
; TotalNumVgprs: 17
; ScratchSize: 0
; MemoryBound: 0
; FloatMode: 240
; IeeeMode: 1
; LDSByteSize: 0 bytes/workgroup (compile time only)
; SGPRBlocks: 8
; VGPRBlocks: 2
; NumSGPRsForWavesPerEU: 68
; NumVGPRsForWavesPerEU: 17
; AccumOffset: 20
; Occupancy: 8
; WaveLimiterHint : 0
; COMPUTE_PGM_RSRC2:SCRATCH_EN: 0
; COMPUTE_PGM_RSRC2:USER_SGPR: 6
; COMPUTE_PGM_RSRC2:TRAP_HANDLER: 0
; COMPUTE_PGM_RSRC2:TGID_X_EN: 1
; COMPUTE_PGM_RSRC2:TGID_Y_EN: 0
; COMPUTE_PGM_RSRC2:TGID_Z_EN: 0
; COMPUTE_PGM_RSRC2:TIDIG_COMP_CNT: 0
; COMPUTE_PGM_RSRC3_GFX90A:ACCUM_OFFSET: 4
; COMPUTE_PGM_RSRC3_GFX90A:TG_SPLIT: 0
	.section	.text._ZN2at6native32elementwise_kernel_manual_unrollILi128ELi4EZNS0_15gpu_kernel_implINS0_11FillFunctorIfEEEEvRNS_18TensorIteratorBaseERKT_EUlibE0_EEviT1_,"axG",@progbits,_ZN2at6native32elementwise_kernel_manual_unrollILi128ELi4EZNS0_15gpu_kernel_implINS0_11FillFunctorIfEEEEvRNS_18TensorIteratorBaseERKT_EUlibE0_EEviT1_,comdat
	.protected	_ZN2at6native32elementwise_kernel_manual_unrollILi128ELi4EZNS0_15gpu_kernel_implINS0_11FillFunctorIfEEEEvRNS_18TensorIteratorBaseERKT_EUlibE0_EEviT1_ ; -- Begin function _ZN2at6native32elementwise_kernel_manual_unrollILi128ELi4EZNS0_15gpu_kernel_implINS0_11FillFunctorIfEEEEvRNS_18TensorIteratorBaseERKT_EUlibE0_EEviT1_
	.globl	_ZN2at6native32elementwise_kernel_manual_unrollILi128ELi4EZNS0_15gpu_kernel_implINS0_11FillFunctorIfEEEEvRNS_18TensorIteratorBaseERKT_EUlibE0_EEviT1_
	.p2align	8
	.type	_ZN2at6native32elementwise_kernel_manual_unrollILi128ELi4EZNS0_15gpu_kernel_implINS0_11FillFunctorIfEEEEvRNS_18TensorIteratorBaseERKT_EUlibE0_EEviT1_,@function
_ZN2at6native32elementwise_kernel_manual_unrollILi128ELi4EZNS0_15gpu_kernel_implINS0_11FillFunctorIfEEEEvRNS_18TensorIteratorBaseERKT_EUlibE0_EEviT1_: ; @_ZN2at6native32elementwise_kernel_manual_unrollILi128ELi4EZNS0_15gpu_kernel_implINS0_11FillFunctorIfEEEEvRNS_18TensorIteratorBaseERKT_EUlibE0_EEviT1_
; %bb.0:
	s_load_dword s93, s[4:5], 0x0
	s_load_dword s33, s[4:5], 0x8
	s_or_b32 s4, s4, 8
	v_lshl_or_b32 v12, s6, 9, v0
	v_or_b32_e32 v8, 0x180, v12
	s_waitcnt lgkmcnt(0)
	v_cmp_le_i32_e32 vcc, s93, v8
	s_add_i32 s80, s33, -1
	s_cmp_gt_u32 s80, 1
	s_cselect_b64 s[36:37], -1, 0
	s_mov_b64 s[34:35], 0
	s_mov_b64 s[6:7], 0
	s_and_saveexec_b64 s[0:1], vcc
	s_xor_b64 s[2:3], exec, s[0:1]
	s_cbranch_execz .LBB55_462
; %bb.1:
	s_cmp_lg_u32 s33, 0
	s_cselect_b64 s[64:65], -1, 0
	s_add_u32 s62, s4, 0xc4
	s_load_dwordx2 s[56:57], s[4:5], 0xc4
	s_load_dwordx4 s[16:19], s[4:5], 0x108
	s_load_dwordx4 s[20:23], s[4:5], 0x4
	s_load_dwordx2 s[58:59], s[4:5], 0x14
	s_addc_u32 s63, s5, 0
	s_min_u32 s94, s80, 15
	s_cmp_gt_u32 s33, 1
	s_cselect_b64 s[60:61], -1, 0
	s_waitcnt lgkmcnt(0)
	s_lshr_b32 s12, s18, 23
	s_bfe_u32 s8, s18, 0x80017
	s_cmpk_eq_i32 s8, 0xff
	s_cselect_b64 s[0:1], -1, 0
	s_bitcmp1_b32 s18, 22
	s_cselect_b64 s[6:7], -1, 0
	s_and_b32 s9, s18, 0x3fffff
	s_or_b32 s8, s8, s9
	s_cmp_lg_u32 s8, 0
	v_trunc_f32_e32 v2, s18
	s_cselect_b64 s[8:9], -1, 0
	v_mul_f32_e32 v0, 0x2f800000, v2
	s_and_b64 s[6:7], s[6:7], s[8:9]
	s_and_b32 s8, s18, 0x7fffffff
	v_floor_f32_e32 v0, v0
	v_mov_b32_e32 v1, v2
	s_cmp_lt_u32 s8, 0x43800000
	v_cvt_u32_f32_e32 v7, v0
	v_fmac_f32_e32 v1, 0xcf800000, v0
	v_cndmask_b32_e64 v0, 0, 1, s[6:7]
	s_cselect_b64 s[52:53], -1, 0
	s_cmp_gt_u32 s8, 0x3bffffff
	v_add_u32_e32 v15, s12, v0
	s_cselect_b64 s[50:51], -1, 0
	s_bfe_u32 s6, s18, 0x10014
	v_mov_b32_e32 v0, 0x46000000
	s_add_i32 s9, s18, s6
	v_add_f32_e64 v0, |s18|, v0
	s_add_i32 s6, s9, 0x487ffff
	v_readfirstlane_b32 s92, v0
	s_lshr_b32 s91, s6, 20
	s_and_b32 s6, s92, 0xff
	s_cmp_lg_u32 s6, 0
	s_cselect_b64 s[54:55], -1, 0
	s_lshr_b32 s6, s18, 24
	s_and_b32 s81, s6, 0x80
	s_cmp_gt_u32 s8, 0x477fffff
	s_cselect_b64 s[6:7], -1, 0
	s_cmp_lt_u32 s8, 0x47800000
	s_cselect_b64 s[46:47], -1, 0
	s_cmp_gt_u32 s8, 0x37ffffff
	s_cselect_b64 s[44:45], -1, 0
	s_bfe_u32 s12, s18, 0x10015
	v_mov_b32_e32 v0, 0x42800000
	s_add_i32 s12, s18, s12
	v_add_f32_e64 v0, |s18|, v0
	s_add_i32 s13, s12, 0x88fffff
	v_readfirstlane_b32 s90, v0
	s_lshr_b32 s88, s13, 21
	s_and_b32 s13, s90, 0xff
	s_cmp_lg_u32 s13, 0
	s_cselect_b64 s[48:49], -1, 0
	s_cmp_gt_u32 s8, 0x43efffff
	s_cselect_b64 s[40:41], -1, 0
	s_cmp_lt_u32 s8, 0x3c800000
	s_cselect_b64 s[42:43], -1, 0
	s_add_i32 s9, s9, 0x407ffff
	s_lshr_b32 s13, s9, 20
	s_and_b32 s9, s9, 0xff00000
	s_cmp_lg_u32 s9, 0x7f00000
	s_mov_b32 s10, 0x2f800000
	s_cselect_b32 s86, s13, 0x7e
	s_cmp_lt_u32 s8, 0x38800000
	s_cselect_b64 s[38:39], -1, 0
	s_add_i32 s12, s12, 0x80fffff
	v_mul_f32_e64 v3, |v2|, s10
	s_mov_b32 s11, 0xcf800000
	s_lshr_b32 s83, s12, 21
	v_floor_f32_e32 v3, v3
	s_cmp_gt_u32 s8, 0x7f800000
	s_movk_i32 s8, 0x7f
	v_fma_f32 v4, v3, s11, |v2|
	s_cselect_b32 s89, s8, 0x7e
	s_movk_i32 s8, 0x7c
	v_cvt_u32_f32_e32 v4, v4
	s_cselect_b32 s85, 0x7f, s8
	s_bfe_u32 s8, s18, 0x10010
	v_cvt_u32_f32_e32 v3, v3
	s_add_i32 s8, s18, s8
	v_mov_b32_e32 v0, 0x46800000
	s_addk_i32 s8, 0x7fff
	v_ashrrev_i32_e32 v2, 31, v2
	v_cvt_u32_f32_e32 v6, v1
	v_cvt_u32_f32_e32 v14, s18
	v_add_f32_e64 v0, |s18|, v0
	s_lshr_b32 s12, s8, 16
	v_cmp_o_f32_e64 s[8:9], s18, s18
	v_cvt_f16_f32_e32 v11, s18
	v_xor_b32_e32 v4, v4, v2
	v_cvt_i32_f32_e32 v10, s18
	v_readfirstlane_b32 s87, v0
	v_mov_b32_e32 v0, 0x43000000
	s_and_b64 s[8:9], s[8:9], exec
	v_xor_b32_e32 v3, v3, v2
	v_sub_co_u32_e32 v4, vcc, v4, v2
	v_add_f32_e64 v0, |s18|, v0
	v_cmp_neq_f32_e64 s[8:9], s18, 0
	v_subb_co_u32_e32 v5, vcc, v3, v2, vcc
	v_readfirstlane_b32 s84, v0
	s_cselect_b32 s82, s12, 0x7fc0
	v_cndmask_b32_e64 v13, 0, 1, s[8:9]
	v_cvt_f64_f32_e32 v[0:1], s18
	v_cmp_gt_i32_e32 vcc, s93, v12
	s_mov_b64 s[10:11], -1
	s_mov_b64 s[72:73], 0
	s_mov_b64 s[66:67], 0
	s_and_saveexec_b64 s[68:69], vcc
	s_cbranch_execz .LBB55_114
; %bb.2:
	s_andn2_b64 vcc, exec, s[36:37]
	s_cbranch_vccnz .LBB55_7
; %bb.3:
	s_andn2_b64 vcc, exec, s[64:65]
	s_cbranch_vccnz .LBB55_8
; %bb.4:
	s_add_i32 s75, s94, 1
	s_mov_b32 s74, 0
	s_cmp_eq_u32 s80, 2
	v_mov_b32_e32 v2, 0
	s_cbranch_scc1 .LBB55_9
; %bb.5:
	s_and_b32 s74, s75, 28
	s_mov_b32 s76, 0
	v_mov_b32_e32 v2, 0
	s_mov_b64 s[66:67], s[4:5]
	s_mov_b64 s[70:71], s[62:63]
	v_mov_b32_e32 v8, v12
.LBB55_6:                               ; =>This Inner Loop Header: Depth=1
	s_load_dwordx8 s[8:15], s[66:67], 0x4
	s_load_dwordx4 s[24:27], s[66:67], 0x24
	s_load_dwordx4 s[28:31], s[70:71], 0x0
	s_add_u32 s66, s66, 48
	s_addc_u32 s67, s67, 0
	s_waitcnt lgkmcnt(0)
	v_mul_hi_u32 v3, s9, v8
	v_add_u32_e32 v3, v8, v3
	v_lshrrev_b32_e32 v3, s10, v3
	v_mul_lo_u32 v9, v3, s8
	v_mul_hi_u32 v16, s12, v3
	v_sub_u32_e32 v8, v8, v9
	v_add_u32_e32 v9, v3, v16
	v_lshrrev_b32_e32 v9, s13, v9
	v_mul_lo_u32 v16, v9, s11
	v_mul_hi_u32 v17, s15, v9
	v_sub_u32_e32 v3, v3, v16
	v_add_u32_e32 v16, v9, v17
	v_mul_lo_u32 v8, v8, s28
	v_mul_lo_u32 v3, v3, s29
	v_lshrrev_b32_e32 v16, s24, v16
	v_add3_u32 v2, v8, v2, v3
	v_mul_hi_u32 v8, s26, v16
	v_add_u32_e32 v8, v16, v8
	v_mul_lo_u32 v3, v16, s14
	v_lshrrev_b32_e32 v8, s27, v8
	s_add_i32 s76, s76, 4
	v_sub_u32_e32 v3, v9, v3
	v_mul_lo_u32 v9, v8, s25
	s_add_u32 s70, s70, 16
	v_sub_u32_e32 v9, v16, v9
	s_addc_u32 s71, s71, 0
	v_mul_lo_u32 v3, v3, s30
	v_mul_lo_u32 v9, v9, s31
	s_cmp_lg_u32 s74, s76
	v_add3_u32 v2, v3, v2, v9
	s_cbranch_scc1 .LBB55_6
	s_branch .LBB55_10
.LBB55_7:
                                        ; implicit-def: $vgpr2
	s_branch .LBB55_14
.LBB55_8:
	v_mov_b32_e32 v2, 0
	s_branch .LBB55_13
.LBB55_9:
	v_mov_b32_e32 v8, v12
.LBB55_10:
	s_and_b32 s12, s75, 3
	s_cmp_eq_u32 s12, 0
	s_cbranch_scc1 .LBB55_13
; %bb.11:
	s_lshl_b32 s8, s74, 2
	s_add_u32 s8, s8, s4
	s_addc_u32 s9, s5, 0
	s_add_u32 s8, s8, 0xc4
	s_addc_u32 s9, s9, 0
	s_mul_i32 s10, s74, 12
	s_add_u32 s10, s4, s10
	s_addc_u32 s11, s5, 0
.LBB55_12:                              ; =>This Inner Loop Header: Depth=1
	s_load_dwordx2 s[14:15], s[10:11], 0x4
	s_load_dword s13, s[10:11], 0xc
	s_load_dword s24, s[8:9], 0x0
	s_add_u32 s10, s10, 12
	s_addc_u32 s11, s11, 0
	s_waitcnt lgkmcnt(0)
	v_mul_hi_u32 v3, s15, v8
	v_add_u32_e32 v3, v8, v3
	v_lshrrev_b32_e32 v3, s13, v3
	s_add_u32 s8, s8, 4
	v_mul_lo_u32 v9, v3, s14
	s_addc_u32 s9, s9, 0
	s_add_i32 s12, s12, -1
	v_sub_u32_e32 v9, v8, v9
	s_cmp_lg_u32 s12, 0
	v_mov_b32_e32 v8, v3
	v_mad_u64_u32 v[2:3], s[14:15], v9, s24, v[2:3]
	s_cbranch_scc1 .LBB55_12
.LBB55_13:
	s_cbranch_execnz .LBB55_16
.LBB55_14:
	v_mul_hi_u32 v2, s21, v12
	v_add_u32_e32 v2, v12, v2
	v_lshrrev_b32_e32 v3, s22, v2
	v_mul_lo_u32 v2, v3, s20
	v_sub_u32_e32 v2, v12, v2
	s_andn2_b64 vcc, exec, s[60:61]
	v_mul_lo_u32 v2, v2, s56
	s_cbranch_vccnz .LBB55_16
; %bb.15:
	v_mul_hi_u32 v8, s58, v3
	v_add_u32_e32 v8, v3, v8
	v_lshrrev_b32_e32 v8, s59, v8
	v_mul_lo_u32 v8, v8, s23
	v_sub_u32_e32 v3, v3, v8
	v_mad_u64_u32 v[2:3], s[8:9], v3, s57, v[2:3]
.LBB55_16:
	v_mov_b32_e32 v3, s17
	v_add_co_u32_e32 v8, vcc, s16, v2
	v_mov_b32_e32 v2, 11
	v_addc_co_u32_e32 v9, vcc, 0, v3, vcc
	v_cmp_lt_i16_sdwa s[8:9], s19, v2 src0_sel:BYTE_0 src1_sel:DWORD
	s_and_b64 vcc, exec, s[8:9]
	s_cbranch_vccnz .LBB55_23
; %bb.17:
	v_mov_b32_e32 v2, 25
	v_cmp_gt_i16_sdwa s[8:9], s19, v2 src0_sel:BYTE_0 src1_sel:DWORD
	s_and_b64 vcc, exec, s[8:9]
	s_cbranch_vccz .LBB55_26
; %bb.18:
	v_mov_b32_e32 v2, 28
	v_cmp_gt_i16_sdwa s[8:9], s19, v2 src0_sel:BYTE_0 src1_sel:DWORD
	s_and_b64 vcc, exec, s[8:9]
	s_cbranch_vccz .LBB55_27
	;; [unrolled: 5-line block ×4, first 2 shown]
; %bb.21:
	v_mov_b32_e32 v2, 46
	v_cmp_eq_u16_sdwa s[10:11], s19, v2 src0_sel:BYTE_0 src1_sel:DWORD
	s_mov_b64 s[12:13], 0
	s_mov_b64 s[8:9], -1
	s_and_b64 vcc, exec, s[10:11]
	s_mov_b64 s[10:11], 0
	s_cbranch_vccz .LBB55_30
; %bb.22:
	v_mov_b32_e32 v2, s82
	global_store_dword v[8:9], v2, off
	s_mov_b64 s[10:11], -1
	s_mov_b64 s[8:9], 0
	s_branch .LBB55_30
.LBB55_23:
	s_mov_b64 s[8:9], 0
	s_mov_b64 s[10:11], 0
	s_cbranch_execnz .LBB55_74
.LBB55_24:
	s_andn2_b64 vcc, exec, s[10:11]
	s_cbranch_vccnz .LBB55_112
.LBB55_25:
	v_add_u32_e32 v12, 0x80, v12
	s_mov_b64 s[10:11], -1
	s_branch .LBB55_113
.LBB55_26:
	s_mov_b64 s[8:9], 0
	s_mov_b64 s[10:11], 0
	s_cbranch_execnz .LBB55_52
	s_branch .LBB55_73
.LBB55_27:
	s_mov_b64 s[12:13], -1
	s_mov_b64 s[8:9], 0
	s_mov_b64 s[10:11], 0
	s_branch .LBB55_38
.LBB55_28:
	s_mov_b64 s[12:13], -1
	s_mov_b64 s[8:9], 0
	s_mov_b64 s[10:11], 0
	s_branch .LBB55_34
.LBB55_29:
	s_mov_b64 s[12:13], -1
	s_mov_b64 s[8:9], 0
	s_mov_b64 s[10:11], 0
.LBB55_30:
	s_and_b64 vcc, exec, s[12:13]
	s_cbranch_vccz .LBB55_33
; %bb.31:
	v_mov_b32_e32 v2, 44
	v_cmp_eq_u16_sdwa s[12:13], s19, v2 src0_sel:BYTE_0 src1_sel:DWORD
	s_mov_b64 s[8:9], -1
	s_and_b64 vcc, exec, s[12:13]
	s_cbranch_vccz .LBB55_33
; %bb.32:
	v_mov_b32_e32 v2, 0xff
	v_cndmask_b32_e64 v2, v15, v2, s[0:1]
	global_store_byte v[8:9], v2, off
	s_mov_b64 s[10:11], -1
	s_mov_b64 s[8:9], 0
.LBB55_33:
	s_mov_b64 s[12:13], 0
.LBB55_34:
	s_and_b64 vcc, exec, s[12:13]
	s_cbranch_vccz .LBB55_37
; %bb.35:
	v_mov_b32_e32 v2, 29
	v_cmp_eq_u16_sdwa s[12:13], s19, v2 src0_sel:BYTE_0 src1_sel:DWORD
	s_mov_b64 s[8:9], -1
	s_and_b64 vcc, exec, s[12:13]
	s_cbranch_vccz .LBB55_37
; %bb.36:
	global_store_dwordx2 v[8:9], v[6:7], off
	s_mov_b64 s[10:11], -1
	s_mov_b64 s[8:9], 0
.LBB55_37:
	s_mov_b64 s[12:13], 0
.LBB55_38:
	s_and_b64 vcc, exec, s[12:13]
	s_cbranch_vccz .LBB55_51
; %bb.39:
	v_mov_b32_e32 v2, 27
	v_cmp_lt_i16_sdwa s[12:13], s19, v2 src0_sel:BYTE_0 src1_sel:DWORD
	s_mov_b64 s[10:11], -1
	s_and_b64 vcc, exec, s[12:13]
	s_cbranch_vccnz .LBB55_45
; %bb.40:
	v_cmp_gt_i16_sdwa s[12:13], s19, v2 src0_sel:BYTE_0 src1_sel:DWORD
	s_and_b64 vcc, exec, s[12:13]
	s_cbranch_vccz .LBB55_42
; %bb.41:
	s_mov_b64 s[10:11], 0
	global_store_dword v[8:9], v14, off
.LBB55_42:
	s_andn2_b64 vcc, exec, s[10:11]
	s_cbranch_vccnz .LBB55_44
; %bb.43:
	global_store_short v[8:9], v14, off
.LBB55_44:
	s_mov_b64 s[10:11], 0
.LBB55_45:
	s_andn2_b64 vcc, exec, s[10:11]
	s_cbranch_vccnz .LBB55_50
; %bb.46:
	s_andn2_b64 vcc, exec, s[52:53]
	s_movk_i32 s10, 0x80
	s_cbranch_vccnz .LBB55_49
; %bb.47:
	s_or_b64 s[10:11], s[50:51], s[54:55]
	s_andn2_b64 vcc, exec, s[10:11]
	s_mov_b32 s10, 0
	s_cbranch_vccnz .LBB55_49
; %bb.48:
	s_and_b64 s[10:11], s[50:51], exec
	s_cselect_b32 s10, s91, s92
	s_or_b32 s10, s10, s81
.LBB55_49:
	v_mov_b32_e32 v2, s10
	global_store_byte v[8:9], v2, off
.LBB55_50:
	s_mov_b64 s[10:11], -1
.LBB55_51:
	s_branch .LBB55_73
.LBB55_52:
	v_mov_b32_e32 v2, 22
	v_cmp_gt_i16_sdwa s[14:15], s19, v2 src0_sel:BYTE_0 src1_sel:DWORD
	s_mov_b64 s[12:13], -1
	s_and_b64 vcc, exec, s[14:15]
	s_cbranch_vccz .LBB55_65
; %bb.53:
	v_mov_b32_e32 v2, 24
	v_cmp_lt_i16_sdwa s[12:13], s19, v2 src0_sel:BYTE_0 src1_sel:DWORD
	s_mov_b64 s[10:11], -1
	s_and_b64 vcc, exec, s[12:13]
	s_cbranch_vccnz .LBB55_62
; %bb.54:
	v_cmp_gt_i16_sdwa s[12:13], s19, v2 src0_sel:BYTE_0 src1_sel:DWORD
	s_and_b64 vcc, exec, s[12:13]
	s_cbranch_vccz .LBB55_59
; %bb.55:
	s_andn2_b64 vcc, exec, s[46:47]
	s_movk_i32 s10, 0x80
	s_cbranch_vccnz .LBB55_58
; %bb.56:
	s_or_b64 s[10:11], s[44:45], s[48:49]
	s_andn2_b64 vcc, exec, s[10:11]
	s_mov_b32 s10, 0
	s_cbranch_vccnz .LBB55_58
; %bb.57:
	s_and_b64 s[10:11], s[44:45], exec
	s_cselect_b32 s10, s88, s90
	s_or_b32 s10, s10, s81
.LBB55_58:
	v_mov_b32_e32 v2, s10
	s_mov_b64 s[10:11], 0
	global_store_byte v[8:9], v2, off
.LBB55_59:
	s_and_b64 vcc, exec, s[10:11]
	s_cbranch_vccz .LBB55_61
; %bb.60:
	s_and_b64 s[10:11], s[42:43], exec
	s_cselect_b32 s12, s87, s86
	s_and_b64 s[10:11], s[40:41], exec
	s_cselect_b32 s10, s89, s12
	s_or_b32 s10, s10, s81
	v_mov_b32_e32 v2, s10
	global_store_byte v[8:9], v2, off
.LBB55_61:
	s_mov_b64 s[10:11], 0
.LBB55_62:
	s_andn2_b64 vcc, exec, s[10:11]
	s_cbranch_vccnz .LBB55_64
; %bb.63:
	s_and_b64 s[10:11], s[38:39], exec
	s_cselect_b32 s12, s84, s83
	s_and_b64 s[10:11], s[6:7], exec
	s_cselect_b32 s10, s85, s12
	s_or_b32 s10, s10, s81
	v_mov_b32_e32 v2, s10
	global_store_byte v[8:9], v2, off
.LBB55_64:
	s_mov_b64 s[12:13], 0
	s_mov_b64 s[10:11], -1
.LBB55_65:
	s_andn2_b64 vcc, exec, s[12:13]
	s_cbranch_vccnz .LBB55_73
; %bb.66:
	v_mov_b32_e32 v2, 14
	v_cmp_gt_i16_sdwa s[14:15], s19, v2 src0_sel:BYTE_0 src1_sel:DWORD
	s_mov_b64 s[12:13], -1
	s_and_b64 vcc, exec, s[14:15]
	s_cbranch_vccz .LBB55_70
; %bb.67:
	v_mov_b32_e32 v2, 15
	v_cmp_eq_u16_sdwa s[12:13], s19, v2 src0_sel:BYTE_0 src1_sel:DWORD
	s_mov_b64 s[8:9], -1
	s_and_b64 vcc, exec, s[12:13]
	s_cbranch_vccz .LBB55_69
; %bb.68:
	v_mov_b32_e32 v2, s82
	global_store_short v[8:9], v2, off
	s_mov_b64 s[10:11], -1
	s_mov_b64 s[8:9], 0
.LBB55_69:
	s_mov_b64 s[12:13], 0
.LBB55_70:
	s_and_b64 vcc, exec, s[12:13]
	s_cbranch_vccz .LBB55_73
; %bb.71:
	v_mov_b32_e32 v2, 11
	v_cmp_eq_u16_sdwa s[12:13], s19, v2 src0_sel:BYTE_0 src1_sel:DWORD
	s_mov_b64 s[8:9], -1
	s_and_b64 vcc, exec, s[12:13]
	s_cbranch_vccz .LBB55_73
; %bb.72:
	s_mov_b64 s[10:11], -1
	s_mov_b64 s[8:9], 0
	global_store_byte v[8:9], v13, off
.LBB55_73:
	s_branch .LBB55_24
.LBB55_74:
	v_mov_b32_e32 v2, 5
	v_cmp_lt_i16_sdwa s[12:13], s19, v2 src0_sel:BYTE_0 src1_sel:DWORD
	s_mov_b64 s[10:11], -1
	s_and_b64 vcc, exec, s[12:13]
	s_cbranch_vccnz .LBB55_95
; %bb.75:
	v_mov_b32_e32 v2, 8
	v_cmp_lt_i16_sdwa s[12:13], s19, v2 src0_sel:BYTE_0 src1_sel:DWORD
	s_and_b64 vcc, exec, s[12:13]
	s_cbranch_vccnz .LBB55_85
; %bb.76:
	v_mov_b32_e32 v2, 9
	v_cmp_lt_i16_sdwa s[12:13], s19, v2 src0_sel:BYTE_0 src1_sel:DWORD
	s_and_b64 vcc, exec, s[12:13]
	s_cbranch_vccnz .LBB55_82
; %bb.77:
	v_cmp_gt_i16_sdwa s[12:13], s19, v2 src0_sel:BYTE_0 src1_sel:DWORD
	s_and_b64 vcc, exec, s[12:13]
	s_cbranch_vccz .LBB55_79
; %bb.78:
	v_mov_b32_e32 v2, 0
	v_mov_b32_e32 v3, v2
	global_store_dwordx4 v[8:9], v[0:3], off
	s_mov_b64 s[10:11], 0
.LBB55_79:
	s_andn2_b64 vcc, exec, s[10:11]
	s_cbranch_vccnz .LBB55_81
; %bb.80:
	v_mov_b32_e32 v2, s18
	v_mov_b32_e32 v3, 0
	global_store_dwordx2 v[8:9], v[2:3], off
.LBB55_81:
	s_mov_b64 s[10:11], 0
.LBB55_82:
	s_andn2_b64 vcc, exec, s[10:11]
	s_cbranch_vccnz .LBB55_84
; %bb.83:
	global_store_dword v[8:9], v11, off
.LBB55_84:
	s_mov_b64 s[10:11], 0
.LBB55_85:
	s_andn2_b64 vcc, exec, s[10:11]
	s_cbranch_vccnz .LBB55_94
; %bb.86:
	v_mov_b32_e32 v2, 6
	v_cmp_lt_i16_sdwa s[12:13], s19, v2 src0_sel:BYTE_0 src1_sel:DWORD
	s_mov_b64 s[10:11], -1
	s_and_b64 vcc, exec, s[12:13]
	s_cbranch_vccnz .LBB55_92
; %bb.87:
	v_cmp_gt_i16_sdwa s[12:13], s19, v2 src0_sel:BYTE_0 src1_sel:DWORD
	s_and_b64 vcc, exec, s[12:13]
	s_cbranch_vccz .LBB55_89
; %bb.88:
	global_store_dwordx2 v[8:9], v[0:1], off
	s_mov_b64 s[10:11], 0
.LBB55_89:
	s_andn2_b64 vcc, exec, s[10:11]
	s_cbranch_vccnz .LBB55_91
; %bb.90:
	v_mov_b32_e32 v2, s18
	global_store_dword v[8:9], v2, off
.LBB55_91:
	s_mov_b64 s[10:11], 0
.LBB55_92:
	s_andn2_b64 vcc, exec, s[10:11]
	s_cbranch_vccnz .LBB55_94
; %bb.93:
	global_store_short v[8:9], v11, off
.LBB55_94:
	s_mov_b64 s[10:11], 0
.LBB55_95:
	s_andn2_b64 vcc, exec, s[10:11]
	s_cbranch_vccnz .LBB55_111
; %bb.96:
	v_mov_b32_e32 v2, 2
	v_cmp_lt_i16_sdwa s[12:13], s19, v2 src0_sel:BYTE_0 src1_sel:DWORD
	s_mov_b64 s[10:11], -1
	s_and_b64 vcc, exec, s[12:13]
	s_cbranch_vccnz .LBB55_106
; %bb.97:
	v_mov_b32_e32 v2, 3
	v_cmp_lt_i16_sdwa s[12:13], s19, v2 src0_sel:BYTE_0 src1_sel:DWORD
	s_and_b64 vcc, exec, s[12:13]
	s_cbranch_vccnz .LBB55_103
; %bb.98:
	v_cmp_gt_i16_sdwa s[12:13], s19, v2 src0_sel:BYTE_0 src1_sel:DWORD
	s_and_b64 vcc, exec, s[12:13]
	s_cbranch_vccz .LBB55_100
; %bb.99:
	global_store_dwordx2 v[8:9], v[4:5], off
	s_mov_b64 s[10:11], 0
.LBB55_100:
	s_andn2_b64 vcc, exec, s[10:11]
	s_cbranch_vccnz .LBB55_102
; %bb.101:
	global_store_dword v[8:9], v10, off
.LBB55_102:
	s_mov_b64 s[10:11], 0
.LBB55_103:
	s_andn2_b64 vcc, exec, s[10:11]
	s_cbranch_vccnz .LBB55_105
; %bb.104:
	global_store_short v[8:9], v10, off
.LBB55_105:
	s_mov_b64 s[10:11], 0
.LBB55_106:
	s_andn2_b64 vcc, exec, s[10:11]
	s_cbranch_vccnz .LBB55_111
; %bb.107:
	v_mov_b32_e32 v2, 0
	v_cmp_gt_i16_sdwa s[12:13], s19, v2 src0_sel:BYTE_0 src1_sel:DWORD
	s_mov_b64 s[10:11], -1
	s_and_b64 vcc, exec, s[12:13]
	s_cbranch_vccz .LBB55_109
; %bb.108:
	global_store_byte v[8:9], v10, off
	s_mov_b64 s[10:11], 0
.LBB55_109:
	s_andn2_b64 vcc, exec, s[10:11]
	s_cbranch_vccnz .LBB55_111
; %bb.110:
	global_store_byte v[8:9], v4, off
.LBB55_111:
	s_branch .LBB55_25
.LBB55_112:
	s_mov_b64 s[10:11], 0
                                        ; implicit-def: $vgpr12
.LBB55_113:
	s_and_b64 s[66:67], s[8:9], exec
	s_orn2_b64 s[10:11], s[10:11], exec
.LBB55_114:
	s_or_b64 exec, exec, s[68:69]
	s_mov_b64 s[8:9], 0
                                        ; implicit-def: $vgpr16
                                        ; implicit-def: $vgpr8_vgpr9
	s_and_saveexec_b64 s[68:69], s[10:11]
	s_cbranch_execz .LBB55_121
; %bb.115:
	v_cmp_gt_i32_e32 vcc, s93, v12
	s_mov_b64 s[8:9], -1
	s_mov_b64 s[70:71], s[66:67]
	s_and_saveexec_b64 s[72:73], vcc
	s_cbranch_execz .LBB55_232
; %bb.116:
	s_andn2_b64 vcc, exec, s[36:37]
	s_cbranch_vccnz .LBB55_124
; %bb.117:
	s_andn2_b64 vcc, exec, s[64:65]
	s_cbranch_vccnz .LBB55_125
; %bb.118:
	s_add_i32 s77, s94, 1
	s_mov_b32 s76, 0
	s_cmp_eq_u32 s80, 2
	v_mov_b32_e32 v2, 0
	s_cbranch_scc1 .LBB55_126
; %bb.119:
	s_and_b32 s76, s77, 28
	s_mov_b32 s78, 0
	v_mov_b32_e32 v2, 0
	s_mov_b64 s[70:71], s[4:5]
	s_mov_b64 s[74:75], s[62:63]
	v_mov_b32_e32 v8, v12
.LBB55_120:                             ; =>This Inner Loop Header: Depth=1
	s_load_dwordx8 s[8:15], s[70:71], 0x4
	s_load_dwordx4 s[24:27], s[70:71], 0x24
	s_load_dwordx4 s[28:31], s[74:75], 0x0
	s_add_u32 s70, s70, 48
	s_addc_u32 s71, s71, 0
	s_waitcnt lgkmcnt(0)
	v_mul_hi_u32 v3, s9, v8
	v_add_u32_e32 v3, v8, v3
	v_lshrrev_b32_e32 v3, s10, v3
	v_mul_lo_u32 v9, v3, s8
	v_mul_hi_u32 v16, s12, v3
	v_sub_u32_e32 v8, v8, v9
	v_add_u32_e32 v9, v3, v16
	v_lshrrev_b32_e32 v9, s13, v9
	v_mul_lo_u32 v16, v9, s11
	v_mul_hi_u32 v17, s15, v9
	v_sub_u32_e32 v3, v3, v16
	v_add_u32_e32 v16, v9, v17
	v_mul_lo_u32 v8, v8, s28
	v_mul_lo_u32 v3, v3, s29
	v_lshrrev_b32_e32 v16, s24, v16
	v_add3_u32 v2, v8, v2, v3
	v_mul_hi_u32 v8, s26, v16
	v_add_u32_e32 v8, v16, v8
	v_mul_lo_u32 v3, v16, s14
	v_lshrrev_b32_e32 v8, s27, v8
	s_add_i32 s78, s78, 4
	v_sub_u32_e32 v3, v9, v3
	v_mul_lo_u32 v9, v8, s25
	s_add_u32 s74, s74, 16
	v_sub_u32_e32 v9, v16, v9
	s_addc_u32 s75, s75, 0
	v_mul_lo_u32 v3, v3, s30
	v_mul_lo_u32 v9, v9, s31
	s_cmp_eq_u32 s76, s78
	v_add3_u32 v2, v3, v2, v9
	s_cbranch_scc0 .LBB55_120
	s_branch .LBB55_127
.LBB55_121:
	s_or_b64 exec, exec, s[68:69]
	s_mov_b64 s[0:1], 0
	s_and_saveexec_b64 s[6:7], s[66:67]
	s_cbranch_execnz .LBB55_422
.LBB55_122:
	s_or_b64 exec, exec, s[6:7]
	s_and_saveexec_b64 s[6:7], s[72:73]
	s_xor_b64 s[6:7], exec, s[6:7]
	s_cbranch_execz .LBB55_423
.LBB55_123:
	global_store_byte v[8:9], v13, off
	s_or_b64 exec, exec, s[6:7]
	s_and_saveexec_b64 s[6:7], s[8:9]
	s_xor_b64 s[6:7], exec, s[6:7]
	s_cbranch_execz .LBB55_461
	s_branch .LBB55_424
.LBB55_124:
                                        ; implicit-def: $vgpr2
	s_andn2_b64 vcc, exec, s[8:9]
	s_cbranch_vccz .LBB55_131
	s_branch .LBB55_133
.LBB55_125:
	v_mov_b32_e32 v2, 0
	s_branch .LBB55_130
.LBB55_126:
	v_mov_b32_e32 v8, v12
.LBB55_127:
	s_and_b32 s12, s77, 3
	s_cmp_eq_u32 s12, 0
	s_cbranch_scc1 .LBB55_130
; %bb.128:
	s_lshl_b32 s8, s76, 2
	s_add_u32 s8, s8, s4
	s_addc_u32 s9, s5, 0
	s_add_u32 s8, s8, 0xc4
	s_addc_u32 s9, s9, 0
	s_mul_i32 s10, s76, 12
	s_add_u32 s10, s4, s10
	s_addc_u32 s11, s5, 0
.LBB55_129:                             ; =>This Inner Loop Header: Depth=1
	s_load_dwordx2 s[14:15], s[10:11], 0x4
	s_load_dword s13, s[10:11], 0xc
	s_load_dword s24, s[8:9], 0x0
	s_add_u32 s10, s10, 12
	s_addc_u32 s11, s11, 0
	s_waitcnt lgkmcnt(0)
	v_mul_hi_u32 v3, s15, v8
	v_add_u32_e32 v3, v8, v3
	v_lshrrev_b32_e32 v3, s13, v3
	s_add_u32 s8, s8, 4
	v_mul_lo_u32 v9, v3, s14
	s_addc_u32 s9, s9, 0
	s_add_i32 s12, s12, -1
	v_sub_u32_e32 v9, v8, v9
	s_cmp_lg_u32 s12, 0
	v_mov_b32_e32 v8, v3
	v_mad_u64_u32 v[2:3], s[14:15], v9, s24, v[2:3]
	s_cbranch_scc1 .LBB55_129
.LBB55_130:
	s_cbranch_execnz .LBB55_133
.LBB55_131:
	v_mul_hi_u32 v2, s21, v12
	v_add_u32_e32 v2, v12, v2
	v_lshrrev_b32_e32 v3, s22, v2
	v_mul_lo_u32 v2, v3, s20
	v_sub_u32_e32 v2, v12, v2
	s_andn2_b64 vcc, exec, s[60:61]
	v_mul_lo_u32 v2, v2, s56
	s_cbranch_vccnz .LBB55_133
; %bb.132:
	v_mul_hi_u32 v8, s58, v3
	v_add_u32_e32 v8, v3, v8
	v_lshrrev_b32_e32 v8, s59, v8
	v_mul_lo_u32 v8, v8, s23
	v_sub_u32_e32 v3, v3, v8
	v_mad_u64_u32 v[2:3], s[8:9], v3, s57, v[2:3]
.LBB55_133:
	v_mov_b32_e32 v3, s17
	v_add_co_u32_e32 v8, vcc, s16, v2
	v_mov_b32_e32 v2, 11
	v_addc_co_u32_e32 v9, vcc, 0, v3, vcc
	v_cmp_lt_i16_sdwa s[8:9], s19, v2 src0_sel:BYTE_0 src1_sel:DWORD
	s_and_b64 vcc, exec, s[8:9]
	s_cbranch_vccnz .LBB55_140
; %bb.134:
	v_mov_b32_e32 v2, 25
	v_cmp_gt_i16_sdwa s[8:9], s19, v2 src0_sel:BYTE_0 src1_sel:DWORD
	s_and_b64 vcc, exec, s[8:9]
	s_cbranch_vccz .LBB55_143
; %bb.135:
	v_mov_b32_e32 v2, 28
	v_cmp_gt_i16_sdwa s[8:9], s19, v2 src0_sel:BYTE_0 src1_sel:DWORD
	s_and_b64 vcc, exec, s[8:9]
	s_cbranch_vccz .LBB55_144
	;; [unrolled: 5-line block ×4, first 2 shown]
; %bb.138:
	v_mov_b32_e32 v2, 46
	v_cmp_eq_u16_sdwa s[10:11], s19, v2 src0_sel:BYTE_0 src1_sel:DWORD
	s_mov_b64 s[12:13], 0
	s_mov_b64 s[8:9], -1
	s_and_b64 vcc, exec, s[10:11]
	s_mov_b64 s[10:11], 0
	s_cbranch_vccz .LBB55_147
; %bb.139:
	v_mov_b32_e32 v2, s82
	global_store_dword v[8:9], v2, off
	s_mov_b64 s[10:11], -1
	s_mov_b64 s[8:9], 0
	s_branch .LBB55_147
.LBB55_140:
	s_mov_b64 s[10:11], 0
	s_mov_b64 s[8:9], s[66:67]
	s_cbranch_execnz .LBB55_192
.LBB55_141:
	s_andn2_b64 vcc, exec, s[10:11]
	s_cbranch_vccnz .LBB55_230
.LBB55_142:
	v_add_u32_e32 v12, 0x80, v12
	s_mov_b64 s[10:11], -1
	s_branch .LBB55_231
.LBB55_143:
	s_mov_b64 s[12:13], -1
	s_mov_b64 s[10:11], 0
	s_mov_b64 s[8:9], s[66:67]
	s_branch .LBB55_169
.LBB55_144:
	s_mov_b64 s[12:13], -1
	s_mov_b64 s[10:11], 0
	s_mov_b64 s[8:9], s[66:67]
	s_branch .LBB55_155
.LBB55_145:
	s_mov_b64 s[12:13], -1
	s_mov_b64 s[10:11], 0
	s_mov_b64 s[8:9], s[66:67]
	s_branch .LBB55_151
.LBB55_146:
	s_mov_b64 s[12:13], -1
	s_mov_b64 s[10:11], 0
	s_mov_b64 s[8:9], s[66:67]
.LBB55_147:
	s_and_b64 vcc, exec, s[12:13]
	s_cbranch_vccz .LBB55_150
; %bb.148:
	v_mov_b32_e32 v2, 44
	v_cmp_eq_u16_sdwa s[12:13], s19, v2 src0_sel:BYTE_0 src1_sel:DWORD
	s_mov_b64 s[8:9], -1
	s_and_b64 vcc, exec, s[12:13]
	s_cbranch_vccz .LBB55_150
; %bb.149:
	v_mov_b32_e32 v2, 0xff
	v_cndmask_b32_e64 v2, v15, v2, s[0:1]
	s_mov_b64 s[10:11], -1
	s_mov_b64 s[8:9], 0
	global_store_byte v[8:9], v2, off
.LBB55_150:
	s_mov_b64 s[12:13], 0
.LBB55_151:
	s_and_b64 vcc, exec, s[12:13]
	s_cbranch_vccz .LBB55_154
; %bb.152:
	v_mov_b32_e32 v2, 29
	v_cmp_eq_u16_sdwa s[12:13], s19, v2 src0_sel:BYTE_0 src1_sel:DWORD
	s_mov_b64 s[8:9], -1
	s_and_b64 vcc, exec, s[12:13]
	s_cbranch_vccz .LBB55_154
; %bb.153:
	global_store_dwordx2 v[8:9], v[6:7], off
	s_mov_b64 s[10:11], -1
	s_mov_b64 s[8:9], 0
.LBB55_154:
	s_mov_b64 s[12:13], 0
.LBB55_155:
	s_and_b64 vcc, exec, s[12:13]
	s_cbranch_vccz .LBB55_168
; %bb.156:
	v_mov_b32_e32 v2, 27
	v_cmp_lt_i16_sdwa s[12:13], s19, v2 src0_sel:BYTE_0 src1_sel:DWORD
	s_mov_b64 s[10:11], -1
	s_and_b64 vcc, exec, s[12:13]
	s_cbranch_vccnz .LBB55_162
; %bb.157:
	v_cmp_gt_i16_sdwa s[12:13], s19, v2 src0_sel:BYTE_0 src1_sel:DWORD
	s_and_b64 vcc, exec, s[12:13]
	s_cbranch_vccz .LBB55_159
; %bb.158:
	s_mov_b64 s[10:11], 0
	global_store_dword v[8:9], v14, off
.LBB55_159:
	s_andn2_b64 vcc, exec, s[10:11]
	s_cbranch_vccnz .LBB55_161
; %bb.160:
	global_store_short v[8:9], v14, off
.LBB55_161:
	s_mov_b64 s[10:11], 0
.LBB55_162:
	s_andn2_b64 vcc, exec, s[10:11]
	s_cbranch_vccnz .LBB55_167
; %bb.163:
	s_andn2_b64 vcc, exec, s[52:53]
	s_movk_i32 s10, 0x80
	s_cbranch_vccnz .LBB55_166
; %bb.164:
	s_or_b64 s[10:11], s[50:51], s[54:55]
	s_andn2_b64 vcc, exec, s[10:11]
	s_mov_b32 s10, 0
	s_cbranch_vccnz .LBB55_166
; %bb.165:
	s_and_b64 s[10:11], s[50:51], exec
	s_cselect_b32 s10, s91, s92
	s_or_b32 s10, s10, s81
.LBB55_166:
	v_mov_b32_e32 v2, s10
	global_store_byte v[8:9], v2, off
.LBB55_167:
	s_mov_b64 s[10:11], -1
.LBB55_168:
	s_mov_b64 s[12:13], 0
.LBB55_169:
	s_and_b64 vcc, exec, s[12:13]
	s_cbranch_vccz .LBB55_191
; %bb.170:
	v_mov_b32_e32 v2, 22
	v_cmp_gt_i16_sdwa s[14:15], s19, v2 src0_sel:BYTE_0 src1_sel:DWORD
	s_mov_b64 s[12:13], -1
	s_and_b64 vcc, exec, s[14:15]
	s_cbranch_vccz .LBB55_183
; %bb.171:
	v_mov_b32_e32 v2, 24
	v_cmp_lt_i16_sdwa s[12:13], s19, v2 src0_sel:BYTE_0 src1_sel:DWORD
	s_mov_b64 s[10:11], -1
	s_and_b64 vcc, exec, s[12:13]
	s_cbranch_vccnz .LBB55_180
; %bb.172:
	v_cmp_gt_i16_sdwa s[12:13], s19, v2 src0_sel:BYTE_0 src1_sel:DWORD
	s_and_b64 vcc, exec, s[12:13]
	s_cbranch_vccz .LBB55_177
; %bb.173:
	s_andn2_b64 vcc, exec, s[46:47]
	s_movk_i32 s10, 0x80
	s_cbranch_vccnz .LBB55_176
; %bb.174:
	s_or_b64 s[10:11], s[44:45], s[48:49]
	s_andn2_b64 vcc, exec, s[10:11]
	s_mov_b32 s10, 0
	s_cbranch_vccnz .LBB55_176
; %bb.175:
	s_and_b64 s[10:11], s[44:45], exec
	s_cselect_b32 s10, s88, s90
	s_or_b32 s10, s10, s81
.LBB55_176:
	v_mov_b32_e32 v2, s10
	s_mov_b64 s[10:11], 0
	global_store_byte v[8:9], v2, off
.LBB55_177:
	s_and_b64 vcc, exec, s[10:11]
	s_cbranch_vccz .LBB55_179
; %bb.178:
	s_and_b64 s[10:11], s[42:43], exec
	s_cselect_b32 s12, s87, s86
	s_and_b64 s[10:11], s[40:41], exec
	s_cselect_b32 s10, s89, s12
	s_or_b32 s10, s10, s81
	v_mov_b32_e32 v2, s10
	global_store_byte v[8:9], v2, off
.LBB55_179:
	s_mov_b64 s[10:11], 0
.LBB55_180:
	s_andn2_b64 vcc, exec, s[10:11]
	s_cbranch_vccnz .LBB55_182
; %bb.181:
	s_and_b64 s[10:11], s[38:39], exec
	s_cselect_b32 s12, s84, s83
	s_and_b64 s[10:11], s[6:7], exec
	s_cselect_b32 s10, s85, s12
	s_or_b32 s10, s10, s81
	v_mov_b32_e32 v2, s10
	global_store_byte v[8:9], v2, off
.LBB55_182:
	s_mov_b64 s[12:13], 0
	s_mov_b64 s[10:11], -1
.LBB55_183:
	s_andn2_b64 vcc, exec, s[12:13]
	s_cbranch_vccnz .LBB55_191
; %bb.184:
	v_mov_b32_e32 v2, 14
	v_cmp_gt_i16_sdwa s[14:15], s19, v2 src0_sel:BYTE_0 src1_sel:DWORD
	s_mov_b64 s[12:13], -1
	s_and_b64 vcc, exec, s[14:15]
	s_cbranch_vccz .LBB55_188
; %bb.185:
	v_mov_b32_e32 v2, 15
	v_cmp_eq_u16_sdwa s[12:13], s19, v2 src0_sel:BYTE_0 src1_sel:DWORD
	s_mov_b64 s[8:9], -1
	s_and_b64 vcc, exec, s[12:13]
	s_cbranch_vccz .LBB55_187
; %bb.186:
	v_mov_b32_e32 v2, s82
	global_store_short v[8:9], v2, off
	s_mov_b64 s[10:11], -1
	s_mov_b64 s[8:9], 0
.LBB55_187:
	s_mov_b64 s[12:13], 0
.LBB55_188:
	s_and_b64 vcc, exec, s[12:13]
	s_cbranch_vccz .LBB55_191
; %bb.189:
	v_mov_b32_e32 v2, 11
	v_cmp_eq_u16_sdwa s[12:13], s19, v2 src0_sel:BYTE_0 src1_sel:DWORD
	s_mov_b64 s[8:9], -1
	s_and_b64 vcc, exec, s[12:13]
	s_cbranch_vccz .LBB55_191
; %bb.190:
	s_mov_b64 s[10:11], -1
	s_mov_b64 s[8:9], 0
	global_store_byte v[8:9], v13, off
.LBB55_191:
	s_branch .LBB55_141
.LBB55_192:
	v_mov_b32_e32 v2, 5
	v_cmp_lt_i16_sdwa s[12:13], s19, v2 src0_sel:BYTE_0 src1_sel:DWORD
	s_mov_b64 s[10:11], -1
	s_and_b64 vcc, exec, s[12:13]
	s_cbranch_vccnz .LBB55_213
; %bb.193:
	v_mov_b32_e32 v2, 8
	v_cmp_lt_i16_sdwa s[12:13], s19, v2 src0_sel:BYTE_0 src1_sel:DWORD
	s_and_b64 vcc, exec, s[12:13]
	s_cbranch_vccnz .LBB55_203
; %bb.194:
	v_mov_b32_e32 v2, 9
	v_cmp_lt_i16_sdwa s[12:13], s19, v2 src0_sel:BYTE_0 src1_sel:DWORD
	s_and_b64 vcc, exec, s[12:13]
	s_cbranch_vccnz .LBB55_200
; %bb.195:
	v_cmp_gt_i16_sdwa s[12:13], s19, v2 src0_sel:BYTE_0 src1_sel:DWORD
	s_and_b64 vcc, exec, s[12:13]
	s_cbranch_vccz .LBB55_197
; %bb.196:
	v_mov_b32_e32 v2, 0
	v_mov_b32_e32 v3, v2
	s_mov_b64 s[10:11], 0
	global_store_dwordx4 v[8:9], v[0:3], off
.LBB55_197:
	s_andn2_b64 vcc, exec, s[10:11]
	s_cbranch_vccnz .LBB55_199
; %bb.198:
	v_mov_b32_e32 v2, s18
	v_mov_b32_e32 v3, 0
	global_store_dwordx2 v[8:9], v[2:3], off
.LBB55_199:
	s_mov_b64 s[10:11], 0
.LBB55_200:
	s_andn2_b64 vcc, exec, s[10:11]
	s_cbranch_vccnz .LBB55_202
; %bb.201:
	global_store_dword v[8:9], v11, off
.LBB55_202:
	s_mov_b64 s[10:11], 0
.LBB55_203:
	s_andn2_b64 vcc, exec, s[10:11]
	s_cbranch_vccnz .LBB55_212
; %bb.204:
	v_mov_b32_e32 v2, 6
	v_cmp_lt_i16_sdwa s[12:13], s19, v2 src0_sel:BYTE_0 src1_sel:DWORD
	s_mov_b64 s[10:11], -1
	s_and_b64 vcc, exec, s[12:13]
	s_cbranch_vccnz .LBB55_210
; %bb.205:
	v_cmp_gt_i16_sdwa s[12:13], s19, v2 src0_sel:BYTE_0 src1_sel:DWORD
	s_and_b64 vcc, exec, s[12:13]
	s_cbranch_vccz .LBB55_207
; %bb.206:
	s_mov_b64 s[10:11], 0
	global_store_dwordx2 v[8:9], v[0:1], off
.LBB55_207:
	s_andn2_b64 vcc, exec, s[10:11]
	s_cbranch_vccnz .LBB55_209
; %bb.208:
	v_mov_b32_e32 v2, s18
	global_store_dword v[8:9], v2, off
.LBB55_209:
	s_mov_b64 s[10:11], 0
.LBB55_210:
	s_andn2_b64 vcc, exec, s[10:11]
	s_cbranch_vccnz .LBB55_212
; %bb.211:
	global_store_short v[8:9], v11, off
.LBB55_212:
	s_mov_b64 s[10:11], 0
.LBB55_213:
	s_andn2_b64 vcc, exec, s[10:11]
	s_cbranch_vccnz .LBB55_229
; %bb.214:
	v_mov_b32_e32 v2, 2
	v_cmp_lt_i16_sdwa s[12:13], s19, v2 src0_sel:BYTE_0 src1_sel:DWORD
	s_mov_b64 s[10:11], -1
	s_and_b64 vcc, exec, s[12:13]
	s_cbranch_vccnz .LBB55_224
; %bb.215:
	v_mov_b32_e32 v2, 3
	v_cmp_lt_i16_sdwa s[12:13], s19, v2 src0_sel:BYTE_0 src1_sel:DWORD
	s_and_b64 vcc, exec, s[12:13]
	s_cbranch_vccnz .LBB55_221
; %bb.216:
	v_cmp_gt_i16_sdwa s[12:13], s19, v2 src0_sel:BYTE_0 src1_sel:DWORD
	s_and_b64 vcc, exec, s[12:13]
	s_cbranch_vccz .LBB55_218
; %bb.217:
	s_mov_b64 s[10:11], 0
	global_store_dwordx2 v[8:9], v[4:5], off
.LBB55_218:
	s_andn2_b64 vcc, exec, s[10:11]
	s_cbranch_vccnz .LBB55_220
; %bb.219:
	global_store_dword v[8:9], v10, off
.LBB55_220:
	s_mov_b64 s[10:11], 0
.LBB55_221:
	s_andn2_b64 vcc, exec, s[10:11]
	s_cbranch_vccnz .LBB55_223
; %bb.222:
	global_store_short v[8:9], v10, off
.LBB55_223:
	s_mov_b64 s[10:11], 0
.LBB55_224:
	s_andn2_b64 vcc, exec, s[10:11]
	s_cbranch_vccnz .LBB55_229
; %bb.225:
	v_mov_b32_e32 v2, 0
	v_cmp_gt_i16_sdwa s[12:13], s19, v2 src0_sel:BYTE_0 src1_sel:DWORD
	s_mov_b64 s[10:11], -1
	s_and_b64 vcc, exec, s[12:13]
	s_cbranch_vccz .LBB55_227
; %bb.226:
	s_mov_b64 s[10:11], 0
	global_store_byte v[8:9], v10, off
.LBB55_227:
	s_andn2_b64 vcc, exec, s[10:11]
	s_cbranch_vccnz .LBB55_229
; %bb.228:
	global_store_byte v[8:9], v4, off
.LBB55_229:
	s_branch .LBB55_142
.LBB55_230:
	s_mov_b64 s[10:11], 0
                                        ; implicit-def: $vgpr12
.LBB55_231:
	s_andn2_b64 s[12:13], s[66:67], exec
	s_and_b64 s[8:9], s[8:9], exec
	s_or_b64 s[70:71], s[12:13], s[8:9]
	s_orn2_b64 s[8:9], s[10:11], exec
.LBB55_232:
	s_or_b64 exec, exec, s[72:73]
	s_mov_b64 s[10:11], 0
	s_mov_b64 s[12:13], 0
                                        ; implicit-def: $vgpr16
                                        ; implicit-def: $vgpr8_vgpr9
	s_and_saveexec_b64 s[72:73], s[8:9]
	s_cbranch_execz .LBB55_421
; %bb.233:
	v_cmp_gt_i32_e32 vcc, s93, v12
	s_mov_b64 s[10:11], -1
	s_mov_b64 s[76:77], s[70:71]
	s_and_saveexec_b64 s[74:75], vcc
	s_cbranch_execz .LBB55_349
; %bb.234:
	s_andn2_b64 vcc, exec, s[36:37]
	s_cbranch_vccnz .LBB55_239
; %bb.235:
	s_andn2_b64 vcc, exec, s[64:65]
	s_cbranch_vccnz .LBB55_240
; %bb.236:
	s_add_i32 vcc_lo, s94, 1
	s_mov_b32 s95, 0
	s_cmp_eq_u32 s80, 2
	v_mov_b32_e32 v2, 0
	s_cbranch_scc1 .LBB55_241
; %bb.237:
	s_and_b32 s95, vcc_lo, 28
	s_mov_b32 vcc_hi, 0
	v_mov_b32_e32 v2, 0
	s_mov_b64 s[76:77], s[4:5]
	s_mov_b64 s[78:79], s[62:63]
	v_mov_b32_e32 v8, v12
.LBB55_238:                             ; =>This Inner Loop Header: Depth=1
	s_load_dwordx8 s[8:15], s[76:77], 0x4
	s_load_dwordx4 s[24:27], s[76:77], 0x24
	s_load_dwordx4 s[28:31], s[78:79], 0x0
	s_add_u32 s76, s76, 48
	s_addc_u32 s77, s77, 0
	s_waitcnt lgkmcnt(0)
	v_mul_hi_u32 v3, s9, v8
	v_add_u32_e32 v3, v8, v3
	v_lshrrev_b32_e32 v3, s10, v3
	v_mul_lo_u32 v9, v3, s8
	v_mul_hi_u32 v16, s12, v3
	v_sub_u32_e32 v8, v8, v9
	v_add_u32_e32 v9, v3, v16
	v_lshrrev_b32_e32 v9, s13, v9
	v_mul_lo_u32 v16, v9, s11
	v_mul_hi_u32 v17, s15, v9
	v_sub_u32_e32 v3, v3, v16
	v_add_u32_e32 v16, v9, v17
	v_mul_lo_u32 v8, v8, s28
	v_mul_lo_u32 v3, v3, s29
	v_lshrrev_b32_e32 v16, s24, v16
	v_add3_u32 v2, v8, v2, v3
	v_mul_hi_u32 v8, s26, v16
	v_add_u32_e32 v8, v16, v8
	v_mul_lo_u32 v3, v16, s14
	v_lshrrev_b32_e32 v8, s27, v8
	s_add_i32 vcc_hi, vcc_hi, 4
	v_sub_u32_e32 v3, v9, v3
	v_mul_lo_u32 v9, v8, s25
	s_add_u32 s78, s78, 16
	v_sub_u32_e32 v9, v16, v9
	s_addc_u32 s79, s79, 0
	v_mul_lo_u32 v3, v3, s30
	v_mul_lo_u32 v9, v9, s31
	s_cmp_eq_u32 s95, vcc_hi
	v_add3_u32 v2, v3, v2, v9
	s_cbranch_scc0 .LBB55_238
	s_branch .LBB55_242
.LBB55_239:
	s_mov_b64 s[8:9], -1
                                        ; implicit-def: $vgpr2
	s_branch .LBB55_246
.LBB55_240:
	v_mov_b32_e32 v2, 0
	s_branch .LBB55_245
.LBB55_241:
	v_mov_b32_e32 v8, v12
.LBB55_242:
	s_and_b32 s12, vcc_lo, 3
	s_cmp_eq_u32 s12, 0
	s_cbranch_scc1 .LBB55_245
; %bb.243:
	s_lshl_b32 s8, s95, 2
	s_add_u32 s8, s8, s4
	s_addc_u32 s9, s5, 0
	s_add_u32 s8, s8, 0xc4
	s_addc_u32 s9, s9, 0
	s_mul_i32 s10, s95, 12
	s_add_u32 s10, s4, s10
	s_addc_u32 s11, s5, 0
.LBB55_244:                             ; =>This Inner Loop Header: Depth=1
	s_load_dwordx2 s[14:15], s[10:11], 0x4
	s_load_dword s13, s[10:11], 0xc
	s_load_dword s24, s[8:9], 0x0
	s_add_u32 s10, s10, 12
	s_addc_u32 s11, s11, 0
	s_waitcnt lgkmcnt(0)
	v_mul_hi_u32 v3, s15, v8
	v_add_u32_e32 v3, v8, v3
	v_lshrrev_b32_e32 v3, s13, v3
	s_add_u32 s8, s8, 4
	v_mul_lo_u32 v9, v3, s14
	s_addc_u32 s9, s9, 0
	s_add_i32 s12, s12, -1
	v_sub_u32_e32 v9, v8, v9
	s_cmp_lg_u32 s12, 0
	v_mov_b32_e32 v8, v3
	v_mad_u64_u32 v[2:3], s[14:15], v9, s24, v[2:3]
	s_cbranch_scc1 .LBB55_244
.LBB55_245:
	s_mov_b64 s[8:9], 0
.LBB55_246:
	s_andn2_b64 vcc, exec, s[8:9]
	s_cbranch_vccnz .LBB55_249
; %bb.247:
	v_mul_hi_u32 v2, s21, v12
	v_add_u32_e32 v2, v12, v2
	v_lshrrev_b32_e32 v3, s22, v2
	v_mul_lo_u32 v2, v3, s20
	v_sub_u32_e32 v2, v12, v2
	s_andn2_b64 vcc, exec, s[60:61]
	v_mul_lo_u32 v2, v2, s56
	s_cbranch_vccnz .LBB55_249
; %bb.248:
	v_mul_hi_u32 v8, s58, v3
	v_add_u32_e32 v8, v3, v8
	v_lshrrev_b32_e32 v8, s59, v8
	v_mul_lo_u32 v8, v8, s23
	v_sub_u32_e32 v3, v3, v8
	v_mad_u64_u32 v[2:3], s[8:9], v3, s57, v[2:3]
.LBB55_249:
	v_mov_b32_e32 v3, s17
	v_add_co_u32_e32 v8, vcc, s16, v2
	v_mov_b32_e32 v2, 11
	v_addc_co_u32_e32 v9, vcc, 0, v3, vcc
	v_cmp_lt_i16_sdwa s[8:9], s19, v2 src0_sel:BYTE_0 src1_sel:DWORD
	s_and_b64 vcc, exec, s[8:9]
	s_cbranch_vccnz .LBB55_256
; %bb.250:
	v_mov_b32_e32 v2, 25
	v_cmp_gt_i16_sdwa s[8:9], s19, v2 src0_sel:BYTE_0 src1_sel:DWORD
	s_and_b64 vcc, exec, s[8:9]
	s_cbranch_vccz .LBB55_257
; %bb.251:
	v_mov_b32_e32 v2, 28
	v_cmp_gt_i16_sdwa s[8:9], s19, v2 src0_sel:BYTE_0 src1_sel:DWORD
	s_and_b64 vcc, exec, s[8:9]
	s_cbranch_vccz .LBB55_258
	;; [unrolled: 5-line block ×4, first 2 shown]
; %bb.254:
	v_mov_b32_e32 v2, 46
	v_cmp_eq_u16_sdwa s[10:11], s19, v2 src0_sel:BYTE_0 src1_sel:DWORD
	s_mov_b64 s[12:13], 0
	s_mov_b64 s[8:9], -1
	s_and_b64 vcc, exec, s[10:11]
	s_mov_b64 s[10:11], 0
	s_cbranch_vccz .LBB55_261
; %bb.255:
	v_mov_b32_e32 v2, s82
	global_store_dword v[8:9], v2, off
	s_mov_b64 s[10:11], -1
	s_mov_b64 s[8:9], 0
	s_branch .LBB55_261
.LBB55_256:
	s_mov_b64 s[12:13], -1
	s_mov_b64 s[10:11], 0
	s_mov_b64 s[8:9], s[70:71]
	s_branch .LBB55_306
.LBB55_257:
	s_mov_b64 s[12:13], -1
	s_mov_b64 s[10:11], 0
	s_mov_b64 s[8:9], s[70:71]
	s_branch .LBB55_283
.LBB55_258:
	s_mov_b64 s[12:13], -1
	s_mov_b64 s[10:11], 0
	s_mov_b64 s[8:9], s[70:71]
	s_branch .LBB55_269
.LBB55_259:
	s_mov_b64 s[12:13], -1
	s_mov_b64 s[10:11], 0
	s_mov_b64 s[8:9], s[70:71]
	s_branch .LBB55_265
.LBB55_260:
	s_mov_b64 s[12:13], -1
	s_mov_b64 s[10:11], 0
	s_mov_b64 s[8:9], s[70:71]
.LBB55_261:
	s_and_b64 vcc, exec, s[12:13]
	s_cbranch_vccz .LBB55_264
; %bb.262:
	v_mov_b32_e32 v2, 44
	v_cmp_eq_u16_sdwa s[12:13], s19, v2 src0_sel:BYTE_0 src1_sel:DWORD
	s_mov_b64 s[8:9], -1
	s_and_b64 vcc, exec, s[12:13]
	s_cbranch_vccz .LBB55_264
; %bb.263:
	v_mov_b32_e32 v2, 0xff
	v_cndmask_b32_e64 v2, v15, v2, s[0:1]
	s_mov_b64 s[10:11], -1
	s_mov_b64 s[8:9], 0
	global_store_byte v[8:9], v2, off
.LBB55_264:
	s_mov_b64 s[12:13], 0
.LBB55_265:
	s_and_b64 vcc, exec, s[12:13]
	s_cbranch_vccz .LBB55_268
; %bb.266:
	v_mov_b32_e32 v2, 29
	v_cmp_eq_u16_sdwa s[12:13], s19, v2 src0_sel:BYTE_0 src1_sel:DWORD
	s_mov_b64 s[8:9], -1
	s_and_b64 vcc, exec, s[12:13]
	s_cbranch_vccz .LBB55_268
; %bb.267:
	global_store_dwordx2 v[8:9], v[6:7], off
	s_mov_b64 s[10:11], -1
	s_mov_b64 s[8:9], 0
.LBB55_268:
	s_mov_b64 s[12:13], 0
.LBB55_269:
	s_and_b64 vcc, exec, s[12:13]
	s_cbranch_vccz .LBB55_282
; %bb.270:
	v_mov_b32_e32 v2, 27
	v_cmp_lt_i16_sdwa s[12:13], s19, v2 src0_sel:BYTE_0 src1_sel:DWORD
	s_mov_b64 s[10:11], -1
	s_and_b64 vcc, exec, s[12:13]
	s_cbranch_vccnz .LBB55_276
; %bb.271:
	v_cmp_gt_i16_sdwa s[12:13], s19, v2 src0_sel:BYTE_0 src1_sel:DWORD
	s_and_b64 vcc, exec, s[12:13]
	s_cbranch_vccz .LBB55_273
; %bb.272:
	s_mov_b64 s[10:11], 0
	global_store_dword v[8:9], v14, off
.LBB55_273:
	s_andn2_b64 vcc, exec, s[10:11]
	s_cbranch_vccnz .LBB55_275
; %bb.274:
	global_store_short v[8:9], v14, off
.LBB55_275:
	s_mov_b64 s[10:11], 0
.LBB55_276:
	s_andn2_b64 vcc, exec, s[10:11]
	s_cbranch_vccnz .LBB55_281
; %bb.277:
	s_andn2_b64 vcc, exec, s[52:53]
	s_movk_i32 s10, 0x80
	s_cbranch_vccnz .LBB55_280
; %bb.278:
	s_or_b64 s[10:11], s[50:51], s[54:55]
	s_andn2_b64 vcc, exec, s[10:11]
	s_mov_b32 s10, 0
	s_cbranch_vccnz .LBB55_280
; %bb.279:
	s_and_b64 s[10:11], s[50:51], exec
	s_cselect_b32 s10, s91, s92
	s_or_b32 s10, s10, s81
.LBB55_280:
	v_mov_b32_e32 v2, s10
	global_store_byte v[8:9], v2, off
.LBB55_281:
	s_mov_b64 s[10:11], -1
.LBB55_282:
	s_mov_b64 s[12:13], 0
.LBB55_283:
	s_and_b64 vcc, exec, s[12:13]
	s_cbranch_vccz .LBB55_305
; %bb.284:
	v_mov_b32_e32 v2, 22
	v_cmp_gt_i16_sdwa s[14:15], s19, v2 src0_sel:BYTE_0 src1_sel:DWORD
	s_mov_b64 s[12:13], -1
	s_and_b64 vcc, exec, s[14:15]
	s_cbranch_vccz .LBB55_297
; %bb.285:
	v_mov_b32_e32 v2, 24
	v_cmp_lt_i16_sdwa s[12:13], s19, v2 src0_sel:BYTE_0 src1_sel:DWORD
	s_mov_b64 s[10:11], -1
	s_and_b64 vcc, exec, s[12:13]
	s_cbranch_vccnz .LBB55_294
; %bb.286:
	v_cmp_gt_i16_sdwa s[12:13], s19, v2 src0_sel:BYTE_0 src1_sel:DWORD
	s_and_b64 vcc, exec, s[12:13]
	s_cbranch_vccz .LBB55_291
; %bb.287:
	s_andn2_b64 vcc, exec, s[46:47]
	s_movk_i32 s10, 0x80
	s_cbranch_vccnz .LBB55_290
; %bb.288:
	s_or_b64 s[10:11], s[44:45], s[48:49]
	s_andn2_b64 vcc, exec, s[10:11]
	s_mov_b32 s10, 0
	s_cbranch_vccnz .LBB55_290
; %bb.289:
	s_and_b64 s[10:11], s[44:45], exec
	s_cselect_b32 s10, s88, s90
	s_or_b32 s10, s10, s81
.LBB55_290:
	v_mov_b32_e32 v2, s10
	s_mov_b64 s[10:11], 0
	global_store_byte v[8:9], v2, off
.LBB55_291:
	s_and_b64 vcc, exec, s[10:11]
	s_cbranch_vccz .LBB55_293
; %bb.292:
	s_and_b64 s[10:11], s[42:43], exec
	s_cselect_b32 s12, s87, s86
	s_and_b64 s[10:11], s[40:41], exec
	s_cselect_b32 s10, s89, s12
	s_or_b32 s10, s10, s81
	v_mov_b32_e32 v2, s10
	global_store_byte v[8:9], v2, off
.LBB55_293:
	s_mov_b64 s[10:11], 0
.LBB55_294:
	s_andn2_b64 vcc, exec, s[10:11]
	s_cbranch_vccnz .LBB55_296
; %bb.295:
	s_and_b64 s[10:11], s[38:39], exec
	s_cselect_b32 s12, s84, s83
	s_and_b64 s[10:11], s[6:7], exec
	s_cselect_b32 s10, s85, s12
	s_or_b32 s10, s10, s81
	v_mov_b32_e32 v2, s10
	global_store_byte v[8:9], v2, off
.LBB55_296:
	s_mov_b64 s[12:13], 0
	s_mov_b64 s[10:11], -1
.LBB55_297:
	s_andn2_b64 vcc, exec, s[12:13]
	s_cbranch_vccnz .LBB55_305
; %bb.298:
	v_mov_b32_e32 v2, 14
	v_cmp_gt_i16_sdwa s[14:15], s19, v2 src0_sel:BYTE_0 src1_sel:DWORD
	s_mov_b64 s[12:13], -1
	s_and_b64 vcc, exec, s[14:15]
	s_cbranch_vccz .LBB55_302
; %bb.299:
	v_mov_b32_e32 v2, 15
	v_cmp_eq_u16_sdwa s[12:13], s19, v2 src0_sel:BYTE_0 src1_sel:DWORD
	s_mov_b64 s[8:9], -1
	s_and_b64 vcc, exec, s[12:13]
	s_cbranch_vccz .LBB55_301
; %bb.300:
	v_mov_b32_e32 v2, s82
	global_store_short v[8:9], v2, off
	s_mov_b64 s[10:11], -1
	s_mov_b64 s[8:9], 0
.LBB55_301:
	s_mov_b64 s[12:13], 0
.LBB55_302:
	s_and_b64 vcc, exec, s[12:13]
	s_cbranch_vccz .LBB55_305
; %bb.303:
	v_mov_b32_e32 v2, 11
	v_cmp_eq_u16_sdwa s[12:13], s19, v2 src0_sel:BYTE_0 src1_sel:DWORD
	s_mov_b64 s[8:9], -1
	s_and_b64 vcc, exec, s[12:13]
	s_cbranch_vccz .LBB55_305
; %bb.304:
	s_mov_b64 s[10:11], -1
	s_mov_b64 s[8:9], 0
	global_store_byte v[8:9], v13, off
.LBB55_305:
	s_mov_b64 s[12:13], 0
.LBB55_306:
	s_and_b64 vcc, exec, s[12:13]
	s_cbranch_vccz .LBB55_345
; %bb.307:
	v_mov_b32_e32 v2, 5
	v_cmp_lt_i16_sdwa s[12:13], s19, v2 src0_sel:BYTE_0 src1_sel:DWORD
	s_mov_b64 s[10:11], -1
	s_and_b64 vcc, exec, s[12:13]
	s_cbranch_vccnz .LBB55_328
; %bb.308:
	v_mov_b32_e32 v2, 8
	v_cmp_lt_i16_sdwa s[12:13], s19, v2 src0_sel:BYTE_0 src1_sel:DWORD
	s_and_b64 vcc, exec, s[12:13]
	s_cbranch_vccnz .LBB55_318
; %bb.309:
	v_mov_b32_e32 v2, 9
	v_cmp_lt_i16_sdwa s[12:13], s19, v2 src0_sel:BYTE_0 src1_sel:DWORD
	s_and_b64 vcc, exec, s[12:13]
	s_cbranch_vccnz .LBB55_315
; %bb.310:
	v_cmp_gt_i16_sdwa s[12:13], s19, v2 src0_sel:BYTE_0 src1_sel:DWORD
	s_and_b64 vcc, exec, s[12:13]
	s_cbranch_vccz .LBB55_312
; %bb.311:
	v_mov_b32_e32 v2, 0
	v_mov_b32_e32 v3, v2
	s_mov_b64 s[10:11], 0
	global_store_dwordx4 v[8:9], v[0:3], off
.LBB55_312:
	s_andn2_b64 vcc, exec, s[10:11]
	s_cbranch_vccnz .LBB55_314
; %bb.313:
	v_mov_b32_e32 v2, s18
	v_mov_b32_e32 v3, 0
	global_store_dwordx2 v[8:9], v[2:3], off
.LBB55_314:
	s_mov_b64 s[10:11], 0
.LBB55_315:
	s_andn2_b64 vcc, exec, s[10:11]
	s_cbranch_vccnz .LBB55_317
; %bb.316:
	global_store_dword v[8:9], v11, off
.LBB55_317:
	s_mov_b64 s[10:11], 0
.LBB55_318:
	s_andn2_b64 vcc, exec, s[10:11]
	s_cbranch_vccnz .LBB55_327
; %bb.319:
	v_mov_b32_e32 v2, 6
	v_cmp_lt_i16_sdwa s[12:13], s19, v2 src0_sel:BYTE_0 src1_sel:DWORD
	s_mov_b64 s[10:11], -1
	s_and_b64 vcc, exec, s[12:13]
	s_cbranch_vccnz .LBB55_325
; %bb.320:
	v_cmp_gt_i16_sdwa s[12:13], s19, v2 src0_sel:BYTE_0 src1_sel:DWORD
	s_and_b64 vcc, exec, s[12:13]
	s_cbranch_vccz .LBB55_322
; %bb.321:
	s_mov_b64 s[10:11], 0
	global_store_dwordx2 v[8:9], v[0:1], off
.LBB55_322:
	s_andn2_b64 vcc, exec, s[10:11]
	s_cbranch_vccnz .LBB55_324
; %bb.323:
	v_mov_b32_e32 v2, s18
	global_store_dword v[8:9], v2, off
.LBB55_324:
	s_mov_b64 s[10:11], 0
.LBB55_325:
	s_andn2_b64 vcc, exec, s[10:11]
	s_cbranch_vccnz .LBB55_327
; %bb.326:
	global_store_short v[8:9], v11, off
.LBB55_327:
	s_mov_b64 s[10:11], 0
.LBB55_328:
	s_andn2_b64 vcc, exec, s[10:11]
	s_cbranch_vccnz .LBB55_344
; %bb.329:
	v_mov_b32_e32 v2, 2
	v_cmp_lt_i16_sdwa s[12:13], s19, v2 src0_sel:BYTE_0 src1_sel:DWORD
	s_mov_b64 s[10:11], -1
	s_and_b64 vcc, exec, s[12:13]
	s_cbranch_vccnz .LBB55_339
; %bb.330:
	v_mov_b32_e32 v2, 3
	v_cmp_lt_i16_sdwa s[12:13], s19, v2 src0_sel:BYTE_0 src1_sel:DWORD
	s_and_b64 vcc, exec, s[12:13]
	s_cbranch_vccnz .LBB55_336
; %bb.331:
	v_cmp_gt_i16_sdwa s[12:13], s19, v2 src0_sel:BYTE_0 src1_sel:DWORD
	s_and_b64 vcc, exec, s[12:13]
	s_cbranch_vccz .LBB55_333
; %bb.332:
	s_mov_b64 s[10:11], 0
	global_store_dwordx2 v[8:9], v[4:5], off
.LBB55_333:
	s_andn2_b64 vcc, exec, s[10:11]
	s_cbranch_vccnz .LBB55_335
; %bb.334:
	global_store_dword v[8:9], v10, off
.LBB55_335:
	s_mov_b64 s[10:11], 0
.LBB55_336:
	s_andn2_b64 vcc, exec, s[10:11]
	s_cbranch_vccnz .LBB55_338
; %bb.337:
	global_store_short v[8:9], v10, off
.LBB55_338:
	s_mov_b64 s[10:11], 0
.LBB55_339:
	s_andn2_b64 vcc, exec, s[10:11]
	s_cbranch_vccnz .LBB55_344
; %bb.340:
	v_mov_b32_e32 v2, 0
	v_cmp_gt_i16_sdwa s[12:13], s19, v2 src0_sel:BYTE_0 src1_sel:DWORD
	s_mov_b64 s[10:11], -1
	s_and_b64 vcc, exec, s[12:13]
	s_cbranch_vccz .LBB55_342
; %bb.341:
	s_mov_b64 s[10:11], 0
	global_store_byte v[8:9], v10, off
.LBB55_342:
	s_andn2_b64 vcc, exec, s[10:11]
	s_cbranch_vccnz .LBB55_344
; %bb.343:
	global_store_byte v[8:9], v4, off
.LBB55_344:
	s_mov_b64 s[10:11], -1
.LBB55_345:
	s_andn2_b64 vcc, exec, s[10:11]
	s_cbranch_vccnz .LBB55_347
; %bb.346:
	v_add_u32_e32 v12, 0x80, v12
	s_mov_b64 s[10:11], -1
	s_branch .LBB55_348
.LBB55_347:
	s_mov_b64 s[10:11], 0
                                        ; implicit-def: $vgpr12
.LBB55_348:
	s_andn2_b64 s[12:13], s[70:71], exec
	s_and_b64 s[8:9], s[8:9], exec
	s_or_b64 s[76:77], s[12:13], s[8:9]
	s_orn2_b64 s[10:11], s[10:11], exec
.LBB55_349:
	s_or_b64 exec, exec, s[74:75]
	s_mov_b64 s[8:9], 0
	s_mov_b64 s[14:15], 0
                                        ; implicit-def: $vgpr16
                                        ; implicit-def: $vgpr8_vgpr9
	s_and_saveexec_b64 s[74:75], s[10:11]
	s_cbranch_execz .LBB55_420
; %bb.350:
	v_cmp_gt_i32_e32 vcc, s93, v12
	s_mov_b64 s[10:11], 0
	s_mov_b64 s[12:13], s[76:77]
                                        ; implicit-def: $vgpr16
                                        ; implicit-def: $vgpr8_vgpr9
	s_and_saveexec_b64 s[78:79], vcc
	s_cbranch_execz .LBB55_419
; %bb.351:
	s_andn2_b64 vcc, exec, s[36:37]
	s_cbranch_vccnz .LBB55_356
; %bb.352:
	s_andn2_b64 vcc, exec, s[64:65]
	s_cbranch_vccnz .LBB55_357
; %bb.353:
	s_add_i32 s94, s94, 1
	s_mov_b32 s93, 0
	s_cmp_eq_u32 s80, 2
	v_mov_b32_e32 v2, 0
	s_cbranch_scc1 .LBB55_358
; %bb.354:
	s_and_b32 s93, s94, 28
	s_mov_b32 s95, 0
	v_mov_b32_e32 v2, 0
	s_mov_b64 s[64:65], s[4:5]
	v_mov_b32_e32 v8, v12
.LBB55_355:                             ; =>This Inner Loop Header: Depth=1
	s_load_dwordx8 s[8:15], s[64:65], 0x4
	s_load_dwordx4 s[24:27], s[64:65], 0x24
	s_load_dwordx4 s[28:31], s[62:63], 0x0
	s_add_u32 s64, s64, 48
	s_addc_u32 s65, s65, 0
	s_waitcnt lgkmcnt(0)
	v_mul_hi_u32 v3, s9, v8
	v_add_u32_e32 v3, v8, v3
	v_lshrrev_b32_e32 v3, s10, v3
	v_mul_lo_u32 v9, v3, s8
	v_mul_hi_u32 v16, s12, v3
	v_sub_u32_e32 v8, v8, v9
	v_add_u32_e32 v9, v3, v16
	v_lshrrev_b32_e32 v9, s13, v9
	v_mul_lo_u32 v16, v9, s11
	v_mul_hi_u32 v17, s15, v9
	v_sub_u32_e32 v3, v3, v16
	v_add_u32_e32 v16, v9, v17
	v_mul_lo_u32 v8, v8, s28
	v_mul_lo_u32 v3, v3, s29
	v_lshrrev_b32_e32 v16, s24, v16
	v_add3_u32 v2, v8, v2, v3
	v_mul_hi_u32 v8, s26, v16
	v_add_u32_e32 v8, v16, v8
	v_mul_lo_u32 v3, v16, s14
	v_lshrrev_b32_e32 v8, s27, v8
	s_add_i32 s95, s95, 4
	v_sub_u32_e32 v3, v9, v3
	v_mul_lo_u32 v9, v8, s25
	s_add_u32 s62, s62, 16
	v_sub_u32_e32 v9, v16, v9
	s_addc_u32 s63, s63, 0
	v_mul_lo_u32 v3, v3, s30
	v_mul_lo_u32 v9, v9, s31
	s_cmp_eq_u32 s93, s95
	v_add3_u32 v2, v3, v2, v9
	s_cbranch_scc0 .LBB55_355
	s_branch .LBB55_359
.LBB55_356:
	s_mov_b64 s[8:9], -1
                                        ; implicit-def: $vgpr2
	s_branch .LBB55_363
.LBB55_357:
	v_mov_b32_e32 v2, 0
	s_branch .LBB55_362
.LBB55_358:
	v_mov_b32_e32 v8, v12
.LBB55_359:
	s_and_b32 s12, s94, 3
	s_cmp_eq_u32 s12, 0
	s_cbranch_scc1 .LBB55_362
; %bb.360:
	s_lshl_b32 s8, s93, 2
	s_add_u32 s8, s8, s4
	s_addc_u32 s9, s5, 0
	s_add_u32 s8, s8, 0xc4
	s_addc_u32 s9, s9, 0
	s_mul_i32 s10, s93, 12
	s_add_u32 s10, s4, s10
	s_addc_u32 s11, s5, 0
.LBB55_361:                             ; =>This Inner Loop Header: Depth=1
	s_load_dwordx2 s[14:15], s[10:11], 0x4
	s_load_dword s13, s[10:11], 0xc
	s_load_dword s24, s[8:9], 0x0
	s_add_u32 s10, s10, 12
	s_addc_u32 s11, s11, 0
	s_waitcnt lgkmcnt(0)
	v_mul_hi_u32 v3, s15, v8
	v_add_u32_e32 v3, v8, v3
	v_lshrrev_b32_e32 v3, s13, v3
	s_add_u32 s8, s8, 4
	v_mul_lo_u32 v9, v3, s14
	s_addc_u32 s9, s9, 0
	s_add_i32 s12, s12, -1
	v_sub_u32_e32 v9, v8, v9
	s_cmp_lg_u32 s12, 0
	v_mov_b32_e32 v8, v3
	v_mad_u64_u32 v[2:3], s[14:15], v9, s24, v[2:3]
	s_cbranch_scc1 .LBB55_361
.LBB55_362:
	s_mov_b64 s[8:9], 0
.LBB55_363:
	s_andn2_b64 vcc, exec, s[8:9]
	s_cbranch_vccnz .LBB55_366
; %bb.364:
	v_mul_hi_u32 v2, s21, v12
	v_add_u32_e32 v2, v12, v2
	v_lshrrev_b32_e32 v3, s22, v2
	v_mul_lo_u32 v2, v3, s20
	v_sub_u32_e32 v2, v12, v2
	s_andn2_b64 vcc, exec, s[60:61]
	v_mul_lo_u32 v2, v2, s56
	s_cbranch_vccnz .LBB55_366
; %bb.365:
	v_mul_hi_u32 v8, s58, v3
	v_add_u32_e32 v8, v3, v8
	v_lshrrev_b32_e32 v8, s59, v8
	v_mul_lo_u32 v8, v8, s23
	v_sub_u32_e32 v3, v3, v8
	v_mad_u64_u32 v[2:3], s[8:9], v3, s57, v[2:3]
.LBB55_366:
	v_mov_b32_e32 v3, s17
	v_add_co_u32_e32 v8, vcc, s16, v2
	v_mov_b32_e32 v2, 0xff
	v_addc_co_u32_e32 v9, vcc, 0, v3, vcc
	v_and_b32_e32 v16, s19, v2
	v_cmp_gt_i16_e32 vcc, 11, v16
	s_cbranch_vccnz .LBB55_416
; %bb.367:
	v_cmp_lt_i16_e32 vcc, 25, v16
	s_mov_b64 s[10:11], -1
	s_mov_b64 s[8:9], s[76:77]
	s_cbranch_vccz .LBB55_395
; %bb.368:
	v_cmp_lt_i16_e32 vcc, 28, v16
	s_mov_b64 s[8:9], s[76:77]
	s_cbranch_vccz .LBB55_382
; %bb.369:
	v_cmp_lt_i16_e32 vcc, 43, v16
	s_mov_b64 s[8:9], s[76:77]
	s_cbranch_vccz .LBB55_378
; %bb.370:
	v_cmp_lt_i16_e32 vcc, 45, v16
	s_mov_b64 s[8:9], s[76:77]
	s_cbranch_vccz .LBB55_374
; %bb.371:
	v_cmp_eq_u16_e32 vcc, 46, v16
	s_mov_b64 s[8:9], -1
	s_cbranch_vccz .LBB55_373
; %bb.372:
	v_mov_b32_e32 v2, s82
	global_store_dword v[8:9], v2, off
	s_mov_b64 s[8:9], 0
.LBB55_373:
	s_mov_b64 s[10:11], 0
.LBB55_374:
	s_and_b64 vcc, exec, s[10:11]
	s_cbranch_vccz .LBB55_377
; %bb.375:
	v_cmp_eq_u16_e32 vcc, 44, v16
	s_mov_b64 s[8:9], -1
	s_cbranch_vccz .LBB55_377
; %bb.376:
	v_mov_b32_e32 v2, 0xff
	v_cndmask_b32_e64 v2, v15, v2, s[0:1]
	global_store_byte v[8:9], v2, off
	s_mov_b64 s[8:9], 0
.LBB55_377:
	s_mov_b64 s[10:11], 0
.LBB55_378:
	s_and_b64 vcc, exec, s[10:11]
	s_cbranch_vccz .LBB55_381
; %bb.379:
	v_cmp_eq_u16_e32 vcc, 29, v16
	s_mov_b64 s[8:9], -1
	s_cbranch_vccz .LBB55_381
; %bb.380:
	global_store_dwordx2 v[8:9], v[6:7], off
	s_mov_b64 s[8:9], 0
.LBB55_381:
	s_mov_b64 s[10:11], 0
.LBB55_382:
	s_and_b64 vcc, exec, s[10:11]
	s_cbranch_vccz .LBB55_394
; %bb.383:
	v_cmp_gt_i16_e32 vcc, 27, v16
	s_mov_b64 s[0:1], -1
	s_cbranch_vccnz .LBB55_389
; %bb.384:
	v_cmp_lt_i16_e32 vcc, 27, v16
	s_cbranch_vccz .LBB55_386
; %bb.385:
	s_mov_b64 s[0:1], 0
	global_store_dword v[8:9], v14, off
.LBB55_386:
	s_andn2_b64 vcc, exec, s[0:1]
	s_cbranch_vccnz .LBB55_388
; %bb.387:
	global_store_short v[8:9], v14, off
.LBB55_388:
	s_mov_b64 s[0:1], 0
.LBB55_389:
	s_andn2_b64 vcc, exec, s[0:1]
	s_cbranch_vccnz .LBB55_394
; %bb.390:
	s_andn2_b64 vcc, exec, s[52:53]
	s_movk_i32 s0, 0x80
	s_cbranch_vccnz .LBB55_393
; %bb.391:
	s_or_b64 s[0:1], s[50:51], s[54:55]
	s_andn2_b64 vcc, exec, s[0:1]
	s_mov_b32 s0, 0
	s_cbranch_vccnz .LBB55_393
; %bb.392:
	s_and_b64 s[0:1], s[50:51], exec
	s_cselect_b32 s0, s91, s92
	s_or_b32 s0, s0, s81
.LBB55_393:
	v_mov_b32_e32 v2, s0
	global_store_byte v[8:9], v2, off
.LBB55_394:
	s_mov_b64 s[10:11], 0
.LBB55_395:
	s_mov_b64 s[0:1], 0
	s_and_b64 vcc, exec, s[10:11]
	s_cbranch_vccz .LBB55_417
; %bb.396:
	v_cmp_lt_i16_e32 vcc, 22, v16
	s_mov_b64 s[10:11], -1
	s_cbranch_vccz .LBB55_409
; %bb.397:
	v_cmp_gt_i16_e32 vcc, 24, v16
	s_cbranch_vccnz .LBB55_406
; %bb.398:
	v_cmp_lt_i16_e32 vcc, 24, v16
	s_cbranch_vccz .LBB55_403
; %bb.399:
	s_andn2_b64 vcc, exec, s[46:47]
	s_movk_i32 s10, 0x80
	s_cbranch_vccnz .LBB55_402
; %bb.400:
	s_or_b64 s[10:11], s[44:45], s[48:49]
	s_andn2_b64 vcc, exec, s[10:11]
	s_mov_b32 s10, 0
	s_cbranch_vccnz .LBB55_402
; %bb.401:
	s_and_b64 s[10:11], s[44:45], exec
	s_cselect_b32 s10, s88, s90
	s_or_b32 s10, s10, s81
.LBB55_402:
	v_mov_b32_e32 v2, s10
	s_mov_b64 s[10:11], 0
	global_store_byte v[8:9], v2, off
.LBB55_403:
	s_and_b64 vcc, exec, s[10:11]
	s_cbranch_vccz .LBB55_405
; %bb.404:
	s_and_b64 s[10:11], s[42:43], exec
	s_cselect_b32 s12, s87, s86
	s_and_b64 s[10:11], s[40:41], exec
	s_cselect_b32 s10, s89, s12
	s_or_b32 s10, s10, s81
	v_mov_b32_e32 v2, s10
	global_store_byte v[8:9], v2, off
.LBB55_405:
	s_mov_b64 s[10:11], 0
.LBB55_406:
	s_andn2_b64 vcc, exec, s[10:11]
	s_cbranch_vccnz .LBB55_408
; %bb.407:
	s_and_b64 s[10:11], s[38:39], exec
	s_cselect_b32 s10, s84, s83
	s_and_b64 s[6:7], s[6:7], exec
	s_cselect_b32 s6, s85, s10
	s_or_b32 s6, s6, s81
	v_mov_b32_e32 v2, s6
	global_store_byte v[8:9], v2, off
.LBB55_408:
	s_mov_b64 s[10:11], 0
.LBB55_409:
	s_andn2_b64 vcc, exec, s[10:11]
	s_mov_b64 s[6:7], 0
	s_cbranch_vccnz .LBB55_418
; %bb.410:
	v_cmp_lt_i16_e32 vcc, 14, v16
	s_mov_b64 s[10:11], -1
	s_cbranch_vccz .LBB55_414
; %bb.411:
	v_cmp_eq_u16_e32 vcc, 15, v16
	s_mov_b64 s[8:9], -1
	s_cbranch_vccz .LBB55_413
; %bb.412:
	v_mov_b32_e32 v2, s82
	global_store_short v[8:9], v2, off
	s_mov_b64 s[8:9], 0
.LBB55_413:
	s_mov_b64 s[10:11], 0
.LBB55_414:
	s_and_b64 vcc, exec, s[10:11]
	s_cbranch_vccz .LBB55_418
; %bb.415:
	v_cmp_ne_u16_e32 vcc, 11, v16
	s_andn2_b64 s[8:9], s[8:9], exec
	s_and_b64 s[10:11], vcc, exec
	s_mov_b64 s[6:7], -1
	s_or_b64 s[8:9], s[8:9], s[10:11]
	s_branch .LBB55_418
.LBB55_416:
	s_mov_b64 s[6:7], 0
	s_mov_b64 s[0:1], -1
	s_mov_b64 s[8:9], s[76:77]
	s_branch .LBB55_418
.LBB55_417:
	s_mov_b64 s[6:7], 0
.LBB55_418:
	s_and_b64 s[14:15], s[0:1], exec
	s_and_b64 s[10:11], s[6:7], exec
	s_andn2_b64 s[0:1], s[76:77], exec
	s_and_b64 s[6:7], s[8:9], exec
	s_or_b64 s[12:13], s[0:1], s[6:7]
.LBB55_419:
	s_or_b64 exec, exec, s[78:79]
	s_andn2_b64 s[0:1], s[76:77], exec
	s_and_b64 s[6:7], s[12:13], exec
	s_and_b64 s[14:15], s[14:15], exec
	;; [unrolled: 1-line block ×3, first 2 shown]
	s_or_b64 s[76:77], s[0:1], s[6:7]
.LBB55_420:
	s_or_b64 exec, exec, s[74:75]
	s_andn2_b64 s[0:1], s[70:71], exec
	s_and_b64 s[6:7], s[76:77], exec
	s_and_b64 s[12:13], s[14:15], exec
	;; [unrolled: 1-line block ×3, first 2 shown]
	s_or_b64 s[70:71], s[0:1], s[6:7]
.LBB55_421:
	s_or_b64 exec, exec, s[72:73]
	s_andn2_b64 s[0:1], s[66:67], exec
	s_and_b64 s[6:7], s[70:71], exec
	s_and_b64 s[8:9], s[12:13], exec
	;; [unrolled: 1-line block ×3, first 2 shown]
	s_or_b64 s[66:67], s[0:1], s[6:7]
	s_or_b64 exec, exec, s[68:69]
	s_mov_b64 s[0:1], 0
	s_and_saveexec_b64 s[6:7], s[66:67]
	s_cbranch_execz .LBB55_122
.LBB55_422:
	s_mov_b64 s[0:1], exec
	s_andn2_b64 s[72:73], s[72:73], exec
	s_trap 2
	s_or_b64 exec, exec, s[6:7]
	s_and_saveexec_b64 s[6:7], s[72:73]
	s_xor_b64 s[6:7], exec, s[6:7]
	s_cbranch_execnz .LBB55_123
.LBB55_423:
	s_or_b64 exec, exec, s[6:7]
	s_and_saveexec_b64 s[6:7], s[8:9]
	s_xor_b64 s[6:7], exec, s[6:7]
	s_cbranch_execz .LBB55_461
.LBB55_424:
	v_cmp_gt_i16_e32 vcc, 5, v16
	s_mov_b64 s[8:9], -1
	s_cbranch_vccnz .LBB55_445
; %bb.425:
	v_cmp_gt_i16_e32 vcc, 8, v16
	s_cbranch_vccnz .LBB55_435
; %bb.426:
	v_cmp_gt_i16_e32 vcc, 9, v16
	s_cbranch_vccnz .LBB55_432
; %bb.427:
	v_cmp_lt_i16_e32 vcc, 9, v16
	s_cbranch_vccz .LBB55_429
; %bb.428:
	v_mov_b32_e32 v2, 0
	v_mov_b32_e32 v3, v2
	s_mov_b64 s[8:9], 0
	global_store_dwordx4 v[8:9], v[0:3], off
.LBB55_429:
	s_andn2_b64 vcc, exec, s[8:9]
	s_cbranch_vccnz .LBB55_431
; %bb.430:
	v_mov_b32_e32 v2, s18
	v_mov_b32_e32 v3, 0
	global_store_dwordx2 v[8:9], v[2:3], off
.LBB55_431:
	s_mov_b64 s[8:9], 0
.LBB55_432:
	s_andn2_b64 vcc, exec, s[8:9]
	s_cbranch_vccnz .LBB55_434
; %bb.433:
	global_store_dword v[8:9], v11, off
.LBB55_434:
	s_mov_b64 s[8:9], 0
.LBB55_435:
	s_andn2_b64 vcc, exec, s[8:9]
	s_cbranch_vccnz .LBB55_444
; %bb.436:
	v_cmp_gt_i16_e32 vcc, 6, v16
	s_mov_b64 s[8:9], -1
	s_cbranch_vccnz .LBB55_442
; %bb.437:
	v_cmp_lt_i16_e32 vcc, 6, v16
	s_cbranch_vccz .LBB55_439
; %bb.438:
	s_mov_b64 s[8:9], 0
	global_store_dwordx2 v[8:9], v[0:1], off
.LBB55_439:
	s_andn2_b64 vcc, exec, s[8:9]
	s_cbranch_vccnz .LBB55_441
; %bb.440:
	v_mov_b32_e32 v0, s18
	global_store_dword v[8:9], v0, off
.LBB55_441:
	s_mov_b64 s[8:9], 0
.LBB55_442:
	s_andn2_b64 vcc, exec, s[8:9]
	s_cbranch_vccnz .LBB55_444
; %bb.443:
	global_store_short v[8:9], v11, off
.LBB55_444:
	s_mov_b64 s[8:9], 0
.LBB55_445:
	s_andn2_b64 vcc, exec, s[8:9]
	s_cbranch_vccnz .LBB55_461
; %bb.446:
	v_cmp_gt_i16_e32 vcc, 2, v16
	s_mov_b64 s[8:9], -1
	s_cbranch_vccnz .LBB55_456
; %bb.447:
	v_cmp_gt_i16_e32 vcc, 3, v16
	s_cbranch_vccnz .LBB55_453
; %bb.448:
	v_cmp_lt_i16_e32 vcc, 3, v16
	s_cbranch_vccz .LBB55_450
; %bb.449:
	s_mov_b64 s[8:9], 0
	global_store_dwordx2 v[8:9], v[4:5], off
.LBB55_450:
	s_andn2_b64 vcc, exec, s[8:9]
	s_cbranch_vccnz .LBB55_452
; %bb.451:
	global_store_dword v[8:9], v10, off
.LBB55_452:
	s_mov_b64 s[8:9], 0
.LBB55_453:
	s_andn2_b64 vcc, exec, s[8:9]
	s_cbranch_vccnz .LBB55_455
; %bb.454:
	global_store_short v[8:9], v10, off
.LBB55_455:
	s_mov_b64 s[8:9], 0
.LBB55_456:
	s_andn2_b64 vcc, exec, s[8:9]
	s_cbranch_vccnz .LBB55_461
; %bb.457:
	v_cmp_lt_i16_e32 vcc, 0, v16
	s_mov_b64 s[8:9], -1
	s_cbranch_vccz .LBB55_459
; %bb.458:
	s_mov_b64 s[8:9], 0
	global_store_byte v[8:9], v10, off
.LBB55_459:
	s_andn2_b64 vcc, exec, s[8:9]
	s_cbranch_vccnz .LBB55_461
; %bb.460:
	global_store_byte v[8:9], v4, off
.LBB55_461:
	s_or_b64 exec, exec, s[6:7]
	s_and_b64 s[6:7], s[0:1], exec
                                        ; implicit-def: $vgpr8
                                        ; implicit-def: $vgpr12
.LBB55_462:
	s_or_saveexec_b64 s[24:25], s[2:3]
	s_mov_b64 s[0:1], 0
                                        ; implicit-def: $sgpr3
                                        ; implicit-def: $vgpr0_vgpr1
                                        ; implicit-def: $sgpr2
	s_xor_b64 exec, exec, s[24:25]
	s_cbranch_execz .LBB55_952
; %bb.463:
	v_cndmask_b32_e64 v0, 0, 1, s[36:37]
	v_cmp_ne_u32_e64 s[0:1], 1, v0
	s_andn2_b64 vcc, exec, s[36:37]
	s_cbranch_vccnz .LBB55_469
; %bb.464:
	s_mov_b32 s28, 0
	s_cmp_eq_u32 s33, 0
	v_mov_b32_e32 v6, 0
	s_cbranch_scc1 .LBB55_473
; %bb.465:
	s_min_u32 s29, s80, 15
	s_add_i32 s29, s29, 1
	s_cmp_eq_u32 s80, 2
	v_mov_b32_e32 v6, 0
	s_cbranch_scc1 .LBB55_470
; %bb.466:
	s_add_u32 s2, s4, 0xc4
	s_addc_u32 s3, s5, 0
	s_and_b32 s28, s29, 28
	s_mov_b32 s30, 0
	v_mov_b32_e32 v6, 0
	s_mov_b64 s[26:27], s[4:5]
	v_mov_b32_e32 v0, v12
.LBB55_467:                             ; =>This Inner Loop Header: Depth=1
	s_load_dwordx8 s[8:15], s[26:27], 0x4
	s_load_dwordx4 s[16:19], s[26:27], 0x24
	s_load_dwordx4 s[20:23], s[2:3], 0x0
	s_add_u32 s26, s26, 48
	s_addc_u32 s27, s27, 0
	s_waitcnt lgkmcnt(0)
	v_mul_hi_u32 v1, s9, v0
	v_add_u32_e32 v1, v0, v1
	v_lshrrev_b32_e32 v1, s10, v1
	v_mul_lo_u32 v2, v1, s8
	v_mul_hi_u32 v3, s12, v1
	v_sub_u32_e32 v0, v0, v2
	v_add_u32_e32 v2, v1, v3
	v_lshrrev_b32_e32 v2, s13, v2
	v_mul_lo_u32 v3, v2, s11
	v_mul_hi_u32 v4, s15, v2
	v_sub_u32_e32 v1, v1, v3
	v_add_u32_e32 v3, v2, v4
	v_mul_lo_u32 v0, v0, s20
	v_mul_lo_u32 v1, v1, s21
	v_lshrrev_b32_e32 v3, s16, v3
	v_add3_u32 v1, v0, v6, v1
	v_mul_lo_u32 v0, v3, s14
	v_mul_hi_u32 v4, s18, v3
	v_sub_u32_e32 v0, v2, v0
	v_add_u32_e32 v2, v3, v4
	v_mul_lo_u32 v4, v0, s22
	v_lshrrev_b32_e32 v0, s19, v2
	s_add_i32 s30, s30, 4
	v_mul_lo_u32 v2, v0, s17
	s_add_u32 s2, s2, 16
	v_sub_u32_e32 v2, v3, v2
	s_addc_u32 s3, s3, 0
	v_mul_lo_u32 v2, v2, s23
	s_cmp_lg_u32 s28, s30
	v_add3_u32 v6, v4, v1, v2
	s_cbranch_scc1 .LBB55_467
; %bb.468:
	s_and_b32 s10, s29, 3
	s_cmp_eq_u32 s10, 0
	s_cbranch_scc0 .LBB55_471
	s_branch .LBB55_473
.LBB55_469:
                                        ; implicit-def: $vgpr6
	s_branch .LBB55_474
.LBB55_470:
	v_mov_b32_e32 v0, v12
	s_and_b32 s10, s29, 3
	s_cmp_eq_u32 s10, 0
	s_cbranch_scc1 .LBB55_473
.LBB55_471:
	s_lshl_b32 s2, s28, 2
	s_add_u32 s2, s2, s4
	s_addc_u32 s3, 0, s5
	s_add_u32 s2, s2, 0xc4
	s_addc_u32 s3, s3, 0
	s_mul_i32 s8, s28, 12
	s_add_u32 s8, s4, s8
	s_addc_u32 s9, 0, s5
.LBB55_472:                             ; =>This Inner Loop Header: Depth=1
	s_load_dwordx2 s[12:13], s[8:9], 0x4
	s_load_dword s11, s[8:9], 0xc
	s_load_dword s14, s[2:3], 0x0
	s_add_u32 s8, s8, 12
	s_addc_u32 s9, s9, 0
	s_waitcnt lgkmcnt(0)
	v_mul_hi_u32 v1, s13, v0
	v_add_u32_e32 v1, v0, v1
	v_lshrrev_b32_e32 v1, s11, v1
	s_add_u32 s2, s2, 4
	v_mul_lo_u32 v2, v1, s12
	s_addc_u32 s3, s3, 0
	s_add_i32 s10, s10, -1
	v_sub_u32_e32 v2, v0, v2
	s_cmp_lg_u32 s10, 0
	v_mov_b32_e32 v0, v1
	v_mad_u64_u32 v[6:7], s[12:13], v2, s14, v[6:7]
	s_cbranch_scc1 .LBB55_472
.LBB55_473:
	s_cbranch_execnz .LBB55_476
.LBB55_474:
	s_load_dwordx4 s[8:11], s[4:5], 0x4
	s_load_dword s2, s[4:5], 0xc4
	s_cmp_lt_u32 s33, 2
	s_waitcnt lgkmcnt(0)
	v_mul_hi_u32 v0, s9, v12
	v_add_u32_e32 v0, v12, v0
	v_lshrrev_b32_e32 v0, s10, v0
	v_mul_lo_u32 v1, v0, s8
	v_sub_u32_e32 v1, v12, v1
	v_mul_lo_u32 v6, v1, s2
	s_cbranch_scc1 .LBB55_476
; %bb.475:
	s_load_dwordx4 s[8:11], s[4:5], 0x10
	s_load_dword s2, s[4:5], 0xc8
	s_waitcnt lgkmcnt(0)
	v_mul_hi_u32 v1, s9, v0
	v_add_u32_e32 v1, v0, v1
	v_lshrrev_b32_e32 v1, s10, v1
	v_mul_lo_u32 v1, v1, s8
	v_sub_u32_e32 v0, v0, v1
	v_mad_u64_u32 v[6:7], s[2:3], v0, s2, v[6:7]
.LBB55_476:
	s_and_b64 vcc, exec, s[0:1]
	v_add_u32_e32 v0, 0x80, v12
	s_cbranch_vccnz .LBB55_482
; %bb.477:
	s_mov_b32 s28, 0
	s_cmp_eq_u32 s33, 0
	v_mov_b32_e32 v4, 0
	s_cbranch_scc1 .LBB55_486
; %bb.478:
	s_min_u32 s29, s80, 15
	s_add_i32 s29, s29, 1
	s_cmp_eq_u32 s80, 2
	v_mov_b32_e32 v4, 0
	s_cbranch_scc1 .LBB55_483
; %bb.479:
	s_add_u32 s2, s4, 0xc4
	s_addc_u32 s3, s5, 0
	s_and_b32 s28, s29, 28
	s_mov_b32 s30, 0
	v_mov_b32_e32 v4, 0
	s_mov_b64 s[26:27], s[4:5]
	v_mov_b32_e32 v1, v0
.LBB55_480:                             ; =>This Inner Loop Header: Depth=1
	s_load_dwordx8 s[8:15], s[26:27], 0x4
	s_load_dwordx4 s[16:19], s[26:27], 0x24
	s_load_dwordx4 s[20:23], s[2:3], 0x0
	s_add_u32 s26, s26, 48
	s_addc_u32 s27, s27, 0
	s_waitcnt lgkmcnt(0)
	v_mul_hi_u32 v2, s9, v1
	v_add_u32_e32 v2, v1, v2
	v_lshrrev_b32_e32 v2, s10, v2
	v_mul_lo_u32 v3, v2, s8
	v_mul_hi_u32 v5, s12, v2
	v_sub_u32_e32 v1, v1, v3
	v_add_u32_e32 v3, v2, v5
	v_lshrrev_b32_e32 v3, s13, v3
	v_mul_lo_u32 v5, v3, s11
	v_mul_hi_u32 v7, s15, v3
	v_sub_u32_e32 v2, v2, v5
	v_add_u32_e32 v5, v3, v7
	v_mul_lo_u32 v1, v1, s20
	v_mul_lo_u32 v2, v2, s21
	v_lshrrev_b32_e32 v5, s16, v5
	v_add3_u32 v2, v1, v4, v2
	v_mul_lo_u32 v1, v5, s14
	v_mul_hi_u32 v4, s18, v5
	v_sub_u32_e32 v1, v3, v1
	v_add_u32_e32 v3, v5, v4
	v_mul_lo_u32 v4, v1, s22
	v_lshrrev_b32_e32 v1, s19, v3
	s_add_i32 s30, s30, 4
	v_mul_lo_u32 v3, v1, s17
	s_add_u32 s2, s2, 16
	v_sub_u32_e32 v3, v5, v3
	s_addc_u32 s3, s3, 0
	v_mul_lo_u32 v3, v3, s23
	s_cmp_lg_u32 s28, s30
	v_add3_u32 v4, v4, v2, v3
	s_cbranch_scc1 .LBB55_480
; %bb.481:
	s_and_b32 s10, s29, 3
	s_cmp_eq_u32 s10, 0
	s_cbranch_scc0 .LBB55_484
	s_branch .LBB55_486
.LBB55_482:
                                        ; implicit-def: $vgpr4
	s_branch .LBB55_487
.LBB55_483:
	v_mov_b32_e32 v1, v0
	s_and_b32 s10, s29, 3
	s_cmp_eq_u32 s10, 0
	s_cbranch_scc1 .LBB55_486
.LBB55_484:
	s_lshl_b32 s2, s28, 2
	s_add_u32 s2, s2, s4
	s_addc_u32 s3, 0, s5
	s_add_u32 s2, s2, 0xc4
	s_addc_u32 s3, s3, 0
	s_mul_i32 s8, s28, 12
	s_add_u32 s8, s4, s8
	s_addc_u32 s9, 0, s5
.LBB55_485:                             ; =>This Inner Loop Header: Depth=1
	s_load_dwordx2 s[12:13], s[8:9], 0x4
	s_load_dword s11, s[8:9], 0xc
	s_load_dword s14, s[2:3], 0x0
	s_add_u32 s8, s8, 12
	s_addc_u32 s9, s9, 0
	s_waitcnt lgkmcnt(0)
	v_mul_hi_u32 v2, s13, v1
	v_add_u32_e32 v2, v1, v2
	v_lshrrev_b32_e32 v2, s11, v2
	s_add_u32 s2, s2, 4
	v_mul_lo_u32 v3, v2, s12
	s_addc_u32 s3, s3, 0
	s_add_i32 s10, s10, -1
	v_sub_u32_e32 v3, v1, v3
	s_cmp_lg_u32 s10, 0
	v_mov_b32_e32 v1, v2
	v_mad_u64_u32 v[4:5], s[12:13], v3, s14, v[4:5]
	s_cbranch_scc1 .LBB55_485
.LBB55_486:
	s_cbranch_execnz .LBB55_489
.LBB55_487:
	s_load_dwordx4 s[8:11], s[4:5], 0x4
	s_load_dword s2, s[4:5], 0xc4
	s_cmp_lt_u32 s33, 2
	s_waitcnt lgkmcnt(0)
	v_mul_hi_u32 v1, s9, v0
	v_add_u32_e32 v1, v0, v1
	v_lshrrev_b32_e32 v1, s10, v1
	v_mul_lo_u32 v2, v1, s8
	v_sub_u32_e32 v0, v0, v2
	v_mul_lo_u32 v4, v0, s2
	s_cbranch_scc1 .LBB55_489
; %bb.488:
	s_load_dwordx4 s[8:11], s[4:5], 0x10
	s_load_dword s2, s[4:5], 0xc8
	s_waitcnt lgkmcnt(0)
	v_mul_hi_u32 v0, s9, v1
	v_add_u32_e32 v0, v1, v0
	v_lshrrev_b32_e32 v0, s10, v0
	v_mul_lo_u32 v0, v0, s8
	v_sub_u32_e32 v0, v1, v0
	v_mad_u64_u32 v[4:5], s[2:3], v0, s2, v[4:5]
.LBB55_489:
	s_and_b64 vcc, exec, s[0:1]
	v_add_u32_e32 v0, 0x100, v12
	s_cbranch_vccnz .LBB55_495
; %bb.490:
	s_mov_b32 s28, 0
	s_cmp_eq_u32 s33, 0
	v_mov_b32_e32 v2, 0
	s_cbranch_scc1 .LBB55_499
; %bb.491:
	s_min_u32 s29, s80, 15
	s_add_i32 s29, s29, 1
	s_cmp_eq_u32 s80, 2
	v_mov_b32_e32 v2, 0
	s_cbranch_scc1 .LBB55_496
; %bb.492:
	s_add_u32 s2, s4, 0xc4
	s_addc_u32 s3, s5, 0
	s_and_b32 s28, s29, 28
	s_mov_b32 s30, 0
	v_mov_b32_e32 v2, 0
	s_mov_b64 s[26:27], s[4:5]
	v_mov_b32_e32 v1, v0
.LBB55_493:                             ; =>This Inner Loop Header: Depth=1
	s_load_dwordx8 s[8:15], s[26:27], 0x4
	s_load_dwordx4 s[16:19], s[26:27], 0x24
	s_load_dwordx4 s[20:23], s[2:3], 0x0
	s_add_u32 s26, s26, 48
	s_addc_u32 s27, s27, 0
	s_waitcnt lgkmcnt(0)
	v_mul_hi_u32 v3, s9, v1
	v_add_u32_e32 v3, v1, v3
	v_lshrrev_b32_e32 v3, s10, v3
	v_mul_lo_u32 v5, v3, s8
	v_mul_hi_u32 v7, s12, v3
	v_sub_u32_e32 v1, v1, v5
	v_add_u32_e32 v5, v3, v7
	v_lshrrev_b32_e32 v5, s13, v5
	v_mul_lo_u32 v7, v5, s11
	v_mul_hi_u32 v9, s15, v5
	v_sub_u32_e32 v3, v3, v7
	v_add_u32_e32 v7, v5, v9
	v_mul_lo_u32 v1, v1, s20
	v_mul_lo_u32 v3, v3, s21
	v_lshrrev_b32_e32 v7, s16, v7
	v_add3_u32 v2, v1, v2, v3
	v_mul_lo_u32 v1, v7, s14
	v_mul_hi_u32 v3, s18, v7
	v_sub_u32_e32 v1, v5, v1
	v_add_u32_e32 v3, v7, v3
	v_mul_lo_u32 v5, v1, s22
	v_lshrrev_b32_e32 v1, s19, v3
	s_add_i32 s30, s30, 4
	v_mul_lo_u32 v3, v1, s17
	s_add_u32 s2, s2, 16
	v_sub_u32_e32 v3, v7, v3
	s_addc_u32 s3, s3, 0
	v_mul_lo_u32 v3, v3, s23
	s_cmp_lg_u32 s28, s30
	v_add3_u32 v2, v5, v2, v3
	s_cbranch_scc1 .LBB55_493
; %bb.494:
	s_and_b32 s10, s29, 3
	s_cmp_eq_u32 s10, 0
	s_cbranch_scc0 .LBB55_497
	s_branch .LBB55_499
.LBB55_495:
                                        ; implicit-def: $vgpr2
	s_branch .LBB55_500
.LBB55_496:
	v_mov_b32_e32 v1, v0
	s_and_b32 s10, s29, 3
	s_cmp_eq_u32 s10, 0
	s_cbranch_scc1 .LBB55_499
.LBB55_497:
	s_lshl_b32 s2, s28, 2
	s_add_u32 s2, s2, s4
	s_addc_u32 s3, 0, s5
	s_add_u32 s2, s2, 0xc4
	s_addc_u32 s3, s3, 0
	s_mul_i32 s8, s28, 12
	s_add_u32 s8, s4, s8
	s_addc_u32 s9, 0, s5
.LBB55_498:                             ; =>This Inner Loop Header: Depth=1
	s_load_dwordx2 s[12:13], s[8:9], 0x4
	s_load_dword s11, s[8:9], 0xc
	s_load_dword s14, s[2:3], 0x0
	s_add_u32 s8, s8, 12
	s_addc_u32 s9, s9, 0
	s_waitcnt lgkmcnt(0)
	v_mul_hi_u32 v3, s13, v1
	v_add_u32_e32 v3, v1, v3
	v_lshrrev_b32_e32 v3, s11, v3
	s_add_u32 s2, s2, 4
	v_mul_lo_u32 v5, v3, s12
	s_addc_u32 s3, s3, 0
	s_add_i32 s10, s10, -1
	v_sub_u32_e32 v5, v1, v5
	s_cmp_lg_u32 s10, 0
	v_mov_b32_e32 v1, v3
	v_mad_u64_u32 v[2:3], s[12:13], v5, s14, v[2:3]
	s_cbranch_scc1 .LBB55_498
.LBB55_499:
	s_cbranch_execnz .LBB55_502
.LBB55_500:
	s_load_dwordx4 s[8:11], s[4:5], 0x4
	s_load_dword s2, s[4:5], 0xc4
	s_cmp_lt_u32 s33, 2
	s_waitcnt lgkmcnt(0)
	v_mul_hi_u32 v1, s9, v0
	v_add_u32_e32 v1, v0, v1
	v_lshrrev_b32_e32 v1, s10, v1
	v_mul_lo_u32 v2, v1, s8
	v_sub_u32_e32 v0, v0, v2
	v_mul_lo_u32 v2, v0, s2
	s_cbranch_scc1 .LBB55_502
; %bb.501:
	s_load_dwordx4 s[8:11], s[4:5], 0x10
	s_load_dword s2, s[4:5], 0xc8
	s_waitcnt lgkmcnt(0)
	v_mul_hi_u32 v0, s9, v1
	v_add_u32_e32 v0, v1, v0
	v_lshrrev_b32_e32 v0, s10, v0
	v_mul_lo_u32 v0, v0, s8
	v_sub_u32_e32 v0, v1, v0
	v_mad_u64_u32 v[2:3], s[2:3], v0, s2, v[2:3]
.LBB55_502:
	s_and_b64 vcc, exec, s[0:1]
	s_cbranch_vccnz .LBB55_508
; %bb.503:
	s_mov_b32 s26, 0
	s_cmp_eq_u32 s33, 0
	v_mov_b32_e32 v0, 0
	s_cbranch_scc1 .LBB55_512
; %bb.504:
	s_min_u32 s27, s80, 15
	s_add_i32 s27, s27, 1
	s_cmp_eq_u32 s80, 2
	v_mov_b32_e32 v0, 0
	s_cbranch_scc1 .LBB55_509
; %bb.505:
	s_add_u32 s20, s4, 0xc4
	s_addc_u32 s21, s5, 0
	s_and_b32 s26, s27, 28
	s_mov_b32 s28, 0
	v_mov_b32_e32 v0, 0
	s_mov_b64 s[22:23], s[4:5]
	v_mov_b32_e32 v3, v8
.LBB55_506:                             ; =>This Inner Loop Header: Depth=1
	s_load_dwordx8 s[8:15], s[22:23], 0x4
	s_load_dwordx4 s[0:3], s[22:23], 0x24
	s_load_dwordx4 s[16:19], s[20:21], 0x0
	s_add_u32 s22, s22, 48
	s_addc_u32 s23, s23, 0
	s_waitcnt lgkmcnt(0)
	v_mul_hi_u32 v1, s9, v3
	v_add_u32_e32 v1, v3, v1
	v_lshrrev_b32_e32 v1, s10, v1
	v_mul_lo_u32 v5, v1, s8
	v_mul_hi_u32 v7, s12, v1
	v_sub_u32_e32 v3, v3, v5
	v_add_u32_e32 v5, v1, v7
	v_lshrrev_b32_e32 v5, s13, v5
	v_mul_lo_u32 v7, v5, s11
	v_mul_hi_u32 v9, s15, v5
	v_sub_u32_e32 v1, v1, v7
	v_add_u32_e32 v7, v5, v9
	v_mul_lo_u32 v3, v3, s16
	v_mul_lo_u32 v1, v1, s17
	v_lshrrev_b32_e32 v7, s0, v7
	v_add3_u32 v0, v3, v0, v1
	v_mul_hi_u32 v3, s2, v7
	v_add_u32_e32 v3, v7, v3
	v_mul_lo_u32 v1, v7, s14
	v_lshrrev_b32_e32 v3, s3, v3
	s_add_i32 s28, s28, 4
	v_sub_u32_e32 v1, v5, v1
	v_mul_lo_u32 v5, v3, s1
	s_add_u32 s20, s20, 16
	v_sub_u32_e32 v5, v7, v5
	s_addc_u32 s21, s21, 0
	v_mul_lo_u32 v1, v1, s18
	v_mul_lo_u32 v5, v5, s19
	s_cmp_lg_u32 s26, s28
	v_add3_u32 v0, v1, v0, v5
	s_cbranch_scc1 .LBB55_506
; %bb.507:
	s_and_b32 s8, s27, 3
	s_cmp_eq_u32 s8, 0
	s_cbranch_scc0 .LBB55_510
	s_branch .LBB55_512
.LBB55_508:
                                        ; implicit-def: $vgpr0
	s_branch .LBB55_513
.LBB55_509:
	v_mov_b32_e32 v3, v8
	s_and_b32 s8, s27, 3
	s_cmp_eq_u32 s8, 0
	s_cbranch_scc1 .LBB55_512
.LBB55_510:
	s_lshl_b32 s0, s26, 2
	s_add_u32 s0, s0, s4
	s_addc_u32 s1, 0, s5
	s_add_u32 s0, s0, 0xc4
	s_addc_u32 s1, s1, 0
	s_mul_i32 s2, s26, 12
	s_add_u32 s2, s4, s2
	s_addc_u32 s3, 0, s5
.LBB55_511:                             ; =>This Inner Loop Header: Depth=1
	s_load_dwordx2 s[10:11], s[2:3], 0x4
	s_load_dword s9, s[2:3], 0xc
	s_load_dword s12, s[0:1], 0x0
	s_add_u32 s2, s2, 12
	s_addc_u32 s3, s3, 0
	s_waitcnt lgkmcnt(0)
	v_mul_hi_u32 v1, s11, v3
	v_add_u32_e32 v1, v3, v1
	v_lshrrev_b32_e32 v1, s9, v1
	s_add_u32 s0, s0, 4
	v_mul_lo_u32 v5, v1, s10
	s_addc_u32 s1, s1, 0
	s_add_i32 s8, s8, -1
	v_sub_u32_e32 v5, v3, v5
	s_cmp_lg_u32 s8, 0
	v_mov_b32_e32 v3, v1
	v_mad_u64_u32 v[0:1], s[10:11], v5, s12, v[0:1]
	s_cbranch_scc1 .LBB55_511
.LBB55_512:
	s_cbranch_execnz .LBB55_515
.LBB55_513:
	s_load_dwordx4 s[0:3], s[4:5], 0x4
	s_waitcnt lgkmcnt(0)
	s_load_dword s3, s[4:5], 0xc4
	s_cmp_lt_u32 s33, 2
	v_mul_hi_u32 v0, s1, v8
	v_add_u32_e32 v0, v8, v0
	v_lshrrev_b32_e32 v1, s2, v0
	v_mul_lo_u32 v0, v1, s0
	v_sub_u32_e32 v0, v8, v0
	s_waitcnt lgkmcnt(0)
	v_mul_lo_u32 v0, v0, s3
	s_cbranch_scc1 .LBB55_515
; %bb.514:
	s_load_dwordx4 s[0:3], s[4:5], 0x10
	s_waitcnt lgkmcnt(0)
	s_load_dword s3, s[4:5], 0xc8
	v_mul_hi_u32 v3, s1, v1
	v_add_u32_e32 v3, v1, v3
	v_lshrrev_b32_e32 v3, s2, v3
	v_mul_lo_u32 v3, v3, s0
	v_sub_u32_e32 v1, v1, v3
	s_waitcnt lgkmcnt(0)
	v_mad_u64_u32 v[0:1], s[0:1], v1, s3, v[0:1]
.LBB55_515:
	s_load_dwordx4 s[0:3], s[4:5], 0x108
	s_waitcnt lgkmcnt(0)
	v_mov_b32_e32 v1, s1
	s_and_b32 s3, s3, 0xff
	v_add_co_u32_e32 v6, vcc, s0, v6
	v_addc_co_u32_e32 v7, vcc, 0, v1, vcc
	v_cmp_lt_i16_e64 s[8:9], s3, 11
	s_and_b64 vcc, exec, s[8:9]
	s_cbranch_vccnz .LBB55_522
; %bb.516:
	v_cmp_gt_i16_e64 s[4:5], s3, 25
	s_mov_b64 s[14:15], -1
	s_mov_b64 s[10:11], 0
	s_and_b64 vcc, exec, s[4:5]
	s_mov_b64 s[12:13], 0
	s_mov_b64 s[4:5], 0
	s_cbranch_vccz .LBB55_555
; %bb.517:
	v_cmp_gt_i16_e64 s[4:5], s3, 28
	s_and_b64 vcc, exec, s[4:5]
	s_cbranch_vccz .LBB55_524
; %bb.518:
	v_cmp_gt_i16_e64 s[4:5], s3, 43
	s_and_b64 vcc, exec, s[4:5]
	;; [unrolled: 4-line block ×3, first 2 shown]
	s_cbranch_vccz .LBB55_526
; %bb.520:
	v_cmp_eq_u16_e64 s[12:13], s3, 46
	s_mov_b64 s[4:5], -1
	s_mov_b64 s[14:15], 0
	s_and_b64 vcc, exec, s[12:13]
	s_mov_b64 s[12:13], 0
	s_cbranch_vccz .LBB55_527
; %bb.521:
	s_bfe_u32 s4, s2, 0x10010
	s_add_i32 s4, s2, s4
	s_addk_i32 s4, 0x7fff
	s_lshr_b32 s12, s4, 16
	v_cmp_o_f32_e64 s[4:5], s2, s2
	s_and_b64 s[4:5], s[4:5], exec
	s_cselect_b32 s4, s12, 0x7fc0
	v_mov_b32_e32 v1, s4
	global_store_dword v[6:7], v1, off
	s_mov_b64 s[4:5], 0
	s_mov_b64 s[12:13], -1
	s_branch .LBB55_527
.LBB55_522:
	s_mov_b64 s[12:13], 0
	s_mov_b64 s[4:5], s[6:7]
	s_cbranch_execnz .LBB55_605
.LBB55_523:
	s_andn2_b64 vcc, exec, s[12:13]
	s_cbranch_vccz .LBB55_643
	s_branch .LBB55_950
.LBB55_524:
	s_mov_b64 s[4:5], 0
	s_branch .LBB55_536
.LBB55_525:
	s_mov_b64 s[4:5], 0
	s_and_b64 vcc, exec, s[14:15]
	s_cbranch_vccnz .LBB55_533
	s_branch .LBB55_535
.LBB55_526:
	s_mov_b64 s[4:5], 0
.LBB55_527:
	s_and_b64 vcc, exec, s[14:15]
	s_cbranch_vccz .LBB55_532
; %bb.528:
	v_cmp_eq_u16_e64 s[14:15], s3, 44
	s_mov_b64 s[4:5], -1
	s_and_b64 vcc, exec, s[14:15]
	s_cbranch_vccz .LBB55_532
; %bb.529:
	s_bfe_u32 s4, s2, 0x80017
	s_cmpk_eq_i32 s4, 0xff
	v_mov_b32_e32 v1, 0xff
	s_cbranch_scc1 .LBB55_531
; %bb.530:
	s_lshr_b32 s14, s2, 23
	s_bitcmp1_b32 s2, 22
	s_cselect_b64 s[12:13], -1, 0
	s_and_b32 s5, s2, 0x3fffff
	s_or_b32 s4, s4, s5
	s_cmp_lg_u32 s4, 0
	s_cselect_b64 s[4:5], -1, 0
	s_and_b64 s[4:5], s[12:13], s[4:5]
	v_cndmask_b32_e64 v1, 0, 1, s[4:5]
	v_add_u32_e32 v1, s14, v1
.LBB55_531:
	s_mov_b64 s[4:5], 0
	s_mov_b64 s[12:13], -1
	global_store_byte v[6:7], v1, off
.LBB55_532:
	s_branch .LBB55_535
.LBB55_533:
	v_cmp_eq_u16_e64 s[14:15], s3, 29
	s_mov_b64 s[4:5], -1
	s_and_b64 vcc, exec, s[14:15]
	s_cbranch_vccz .LBB55_535
; %bb.534:
	v_trunc_f32_e32 v1, s2
	v_mul_f32_e32 v3, 0x2f800000, v1
	v_floor_f32_e32 v3, v3
	v_fmac_f32_e32 v1, 0xcf800000, v3
	v_cvt_u32_f32_e32 v9, v3
	v_cvt_u32_f32_e32 v8, v1
	s_mov_b64 s[4:5], 0
	s_mov_b64 s[12:13], -1
	s_mov_b64 s[14:15], 0
	global_store_dwordx2 v[6:7], v[8:9], off
	s_branch .LBB55_536
.LBB55_535:
	s_mov_b64 s[14:15], 0
.LBB55_536:
	s_and_b64 vcc, exec, s[14:15]
	s_cbranch_vccz .LBB55_554
; %bb.537:
	v_cmp_lt_i16_e64 s[14:15], s3, 27
	s_mov_b64 s[12:13], -1
	s_and_b64 vcc, exec, s[14:15]
	s_cbranch_vccnz .LBB55_543
; %bb.538:
	v_cmp_gt_i16_e64 s[14:15], s3, 27
	s_and_b64 vcc, exec, s[14:15]
	s_cbranch_vccz .LBB55_540
; %bb.539:
	v_cvt_u32_f32_e32 v1, s2
	s_mov_b64 s[12:13], 0
	global_store_dword v[6:7], v1, off
.LBB55_540:
	s_andn2_b64 vcc, exec, s[12:13]
	s_cbranch_vccnz .LBB55_542
; %bb.541:
	v_cvt_u32_f32_e32 v1, s2
	global_store_short v[6:7], v1, off
.LBB55_542:
	s_mov_b64 s[12:13], 0
.LBB55_543:
	s_andn2_b64 vcc, exec, s[12:13]
	s_cbranch_vccnz .LBB55_553
; %bb.544:
	s_and_b32 s12, s2, 0x7fffffff
	s_cmp_gt_u32 s12, 0x437fffff
	v_mov_b32_e32 v3, 0x80
	s_cbranch_scc1 .LBB55_552
; %bb.545:
	s_cmp_gt_u32 s12, 0x3bffffff
	s_cbranch_scc0 .LBB55_547
; %bb.546:
	s_bfe_u32 s12, s2, 0x10014
	s_add_i32 s12, s2, s12
	s_add_i32 s12, s12, 0x487ffff
	s_lshr_b32 s16, s12, 20
	s_mov_b64 s[14:15], 0
	s_mov_b64 s[12:13], -1
	s_branch .LBB55_548
.LBB55_547:
	s_mov_b64 s[14:15], -1
	s_mov_b64 s[12:13], 0
                                        ; implicit-def: $sgpr16
.LBB55_548:
	s_andn2_b64 vcc, exec, s[14:15]
	v_mov_b32_e32 v1, s16
                                        ; implicit-def: $sgpr14
	s_cbranch_vccnz .LBB55_550
; %bb.549:
	v_mov_b32_e32 v1, 0x46000000
	v_add_f32_e64 v1, |s2|, v1
	v_and_b32_e32 v1, 0xff, v1
	s_mov_b32 s14, 0
	v_cmp_ne_u32_e64 s[12:13], 0, v1
.LBB55_550:
	s_andn2_b64 vcc, exec, s[12:13]
	v_mov_b32_e32 v3, s14
	s_cbranch_vccnz .LBB55_552
; %bb.551:
	s_lshr_b32 s12, s2, 24
	s_and_b32 s12, s12, 0x80
	v_or_b32_e32 v3, s12, v1
.LBB55_552:
	global_store_byte v[6:7], v3, off
.LBB55_553:
	s_mov_b64 s[12:13], -1
.LBB55_554:
	s_mov_b64 s[14:15], 0
.LBB55_555:
	s_and_b64 vcc, exec, s[14:15]
	s_cbranch_vccz .LBB55_601
; %bb.556:
	v_cmp_gt_i16_e64 s[14:15], s3, 22
	s_mov_b64 s[10:11], -1
	s_and_b64 vcc, exec, s[14:15]
	s_cbranch_vccz .LBB55_594
; %bb.557:
	v_cmp_lt_i16_e64 s[12:13], s3, 24
	s_and_b64 vcc, exec, s[12:13]
	s_cbranch_vccnz .LBB55_581
; %bb.558:
	v_cmp_gt_i16_e64 s[12:13], s3, 24
	s_and_b64 vcc, exec, s[12:13]
	s_cbranch_vccz .LBB55_568
; %bb.559:
	s_and_b32 s10, s2, 0x7fffffff
	s_cmp_gt_u32 s10, 0x477fffff
	v_mov_b32_e32 v3, 0x80
	s_cbranch_scc1 .LBB55_567
; %bb.560:
	s_cmp_gt_u32 s10, 0x37ffffff
	s_cbranch_scc0 .LBB55_562
; %bb.561:
	s_bfe_u32 s10, s2, 0x10015
	s_add_i32 s10, s2, s10
	s_add_i32 s10, s10, 0x88fffff
	s_lshr_b32 s14, s10, 21
	s_mov_b64 s[12:13], 0
	s_mov_b64 s[10:11], -1
	s_branch .LBB55_563
.LBB55_562:
	s_mov_b64 s[12:13], -1
	s_mov_b64 s[10:11], 0
                                        ; implicit-def: $sgpr14
.LBB55_563:
	s_andn2_b64 vcc, exec, s[12:13]
	v_mov_b32_e32 v1, s14
                                        ; implicit-def: $sgpr12
	s_cbranch_vccnz .LBB55_565
; %bb.564:
	v_mov_b32_e32 v1, 0x42800000
	v_add_f32_e64 v1, |s2|, v1
	v_and_b32_e32 v1, 0xff, v1
	s_mov_b32 s12, 0
	v_cmp_ne_u32_e64 s[10:11], 0, v1
.LBB55_565:
	s_andn2_b64 vcc, exec, s[10:11]
	v_mov_b32_e32 v3, s12
	s_cbranch_vccnz .LBB55_567
; %bb.566:
	s_lshr_b32 s10, s2, 24
	s_and_b32 s10, s10, 0x80
	v_or_b32_e32 v3, s10, v1
.LBB55_567:
	s_mov_b64 s[10:11], 0
	global_store_byte v[6:7], v3, off
.LBB55_568:
	s_and_b64 vcc, exec, s[10:11]
	s_cbranch_vccz .LBB55_580
; %bb.569:
	s_and_b32 s12, s2, 0x7fffffff
	s_cmp_lt_u32 s12, 0x43f00000
	s_cbranch_scc0 .LBB55_572
; %bb.570:
	s_cmp_gt_u32 s12, 0x3c7fffff
	s_cbranch_scc0 .LBB55_573
; %bb.571:
	s_bfe_u32 s10, s2, 0x10014
	s_add_i32 s10, s2, s10
	s_add_i32 s10, s10, 0x407ffff
	s_lshr_b32 s11, s10, 20
	s_and_b32 s10, s10, 0xff00000
	s_cmp_lg_u32 s10, 0x7f00000
	s_cselect_b32 s13, s11, 0x7e
	s_mov_b64 s[10:11], 0
	s_branch .LBB55_574
.LBB55_572:
	s_mov_b64 s[10:11], -1
                                        ; implicit-def: $vgpr1
	s_branch .LBB55_577
.LBB55_573:
	s_mov_b64 s[10:11], -1
                                        ; implicit-def: $sgpr13
.LBB55_574:
	s_andn2_b64 vcc, exec, s[10:11]
	v_mov_b32_e32 v1, s13
	s_cbranch_vccnz .LBB55_576
; %bb.575:
	v_mov_b32_e32 v1, 0x46800000
	v_add_f32_e64 v1, |s2|, v1
.LBB55_576:
	s_mov_b64 s[10:11], 0
.LBB55_577:
	s_andn2_b64 vcc, exec, s[10:11]
	s_cbranch_vccnz .LBB55_579
; %bb.578:
	s_cmp_gt_u32 s12, 0x7f800000
	s_movk_i32 s10, 0x7f
	s_cselect_b32 s10, s10, 0x7e
	v_mov_b32_e32 v1, s10
.LBB55_579:
	s_lshr_b32 s10, s2, 24
	s_and_b32 s10, s10, 0x80
	v_or_b32_e32 v1, s10, v1
	global_store_byte v[6:7], v1, off
.LBB55_580:
	s_mov_b64 s[10:11], 0
.LBB55_581:
	s_andn2_b64 vcc, exec, s[10:11]
	s_cbranch_vccnz .LBB55_593
; %bb.582:
	s_and_b32 s12, s2, 0x7fffffff
	s_cmp_lt_u32 s12, 0x47800000
	s_cbranch_scc0 .LBB55_585
; %bb.583:
	s_cmp_gt_u32 s12, 0x387fffff
	s_cbranch_scc0 .LBB55_586
; %bb.584:
	s_bfe_u32 s10, s2, 0x10015
	s_add_i32 s10, s2, s10
	s_add_i32 s10, s10, 0x80fffff
	s_lshr_b32 s13, s10, 21
	s_mov_b64 s[10:11], 0
	s_branch .LBB55_587
.LBB55_585:
	s_mov_b64 s[10:11], -1
                                        ; implicit-def: $vgpr1
	s_branch .LBB55_590
.LBB55_586:
	s_mov_b64 s[10:11], -1
                                        ; implicit-def: $sgpr13
.LBB55_587:
	s_andn2_b64 vcc, exec, s[10:11]
	v_mov_b32_e32 v1, s13
	s_cbranch_vccnz .LBB55_589
; %bb.588:
	v_mov_b32_e32 v1, 0x43000000
	v_add_f32_e64 v1, |s2|, v1
.LBB55_589:
	s_mov_b64 s[10:11], 0
.LBB55_590:
	s_andn2_b64 vcc, exec, s[10:11]
	s_cbranch_vccnz .LBB55_592
; %bb.591:
	s_cmp_gt_u32 s12, 0x7f800000
	s_movk_i32 s10, 0x7f
	s_cselect_b32 s10, s10, 0x7c
	v_mov_b32_e32 v1, s10
.LBB55_592:
	s_lshr_b32 s10, s2, 24
	s_and_b32 s10, s10, 0x80
	v_or_b32_e32 v1, s10, v1
	global_store_byte v[6:7], v1, off
.LBB55_593:
	s_mov_b64 s[10:11], 0
	s_mov_b64 s[12:13], -1
.LBB55_594:
	s_andn2_b64 vcc, exec, s[10:11]
	s_mov_b64 s[10:11], 0
	s_cbranch_vccnz .LBB55_601
; %bb.595:
	v_cmp_gt_i16_e64 s[10:11], s3, 14
	s_mov_b64 s[14:15], -1
	s_and_b64 vcc, exec, s[10:11]
	s_cbranch_vccz .LBB55_599
; %bb.596:
	v_cmp_eq_u16_e64 s[10:11], s3, 15
	s_mov_b64 s[4:5], -1
	s_and_b64 vcc, exec, s[10:11]
	s_cbranch_vccz .LBB55_598
; %bb.597:
	s_bfe_u32 s4, s2, 0x10010
	s_add_i32 s4, s2, s4
	s_addk_i32 s4, 0x7fff
	s_lshr_b32 s10, s4, 16
	v_cmp_o_f32_e64 s[4:5], s2, s2
	s_and_b64 s[4:5], s[4:5], exec
	s_cselect_b32 s4, s10, 0x7fc0
	v_mov_b32_e32 v1, s4
	global_store_short v[6:7], v1, off
	s_mov_b64 s[4:5], 0
	s_mov_b64 s[12:13], -1
.LBB55_598:
	s_mov_b64 s[14:15], 0
.LBB55_599:
	s_mov_b64 s[10:11], 0
	s_and_b64 vcc, exec, s[14:15]
	s_cbranch_vccz .LBB55_601
; %bb.600:
	v_cmp_ne_u16_e64 s[4:5], s3, 11
	s_mov_b64 s[10:11], -1
.LBB55_601:
	s_and_b64 vcc, exec, s[4:5]
	s_mov_b64 s[4:5], s[6:7]
	s_cbranch_vccnz .LBB55_654
; %bb.602:
	s_andn2_b64 vcc, exec, s[10:11]
	s_cbranch_vccnz .LBB55_604
.LBB55_603:
	v_cmp_neq_f32_e64 s[10:11], s2, 0
	v_cndmask_b32_e64 v1, 0, 1, s[10:11]
	global_store_byte v[6:7], v1, off
	s_mov_b64 s[12:13], -1
.LBB55_604:
	s_branch .LBB55_523
.LBB55_605:
	v_cmp_lt_i16_e64 s[12:13], s3, 5
	s_mov_b64 s[10:11], -1
	s_and_b64 vcc, exec, s[12:13]
	s_cbranch_vccnz .LBB55_626
; %bb.606:
	v_cmp_lt_i16_e64 s[12:13], s3, 8
	s_and_b64 vcc, exec, s[12:13]
	s_cbranch_vccnz .LBB55_616
; %bb.607:
	v_cmp_lt_i16_e64 s[12:13], s3, 9
	s_and_b64 vcc, exec, s[12:13]
	s_cbranch_vccnz .LBB55_613
; %bb.608:
	v_cmp_gt_i16_e64 s[12:13], s3, 9
	s_and_b64 vcc, exec, s[12:13]
	s_cbranch_vccz .LBB55_610
; %bb.609:
	v_mov_b32_e32 v10, 0
	v_cvt_f64_f32_e32 v[8:9], s2
	v_mov_b32_e32 v11, v10
	global_store_dwordx4 v[6:7], v[8:11], off
	s_mov_b64 s[10:11], 0
.LBB55_610:
	s_andn2_b64 vcc, exec, s[10:11]
	s_cbranch_vccnz .LBB55_612
; %bb.611:
	v_mov_b32_e32 v8, s2
	v_mov_b32_e32 v9, 0
	global_store_dwordx2 v[6:7], v[8:9], off
.LBB55_612:
	s_mov_b64 s[10:11], 0
.LBB55_613:
	s_andn2_b64 vcc, exec, s[10:11]
	s_cbranch_vccnz .LBB55_615
; %bb.614:
	v_cvt_f16_f32_e32 v1, s2
	global_store_dword v[6:7], v1, off
.LBB55_615:
	s_mov_b64 s[10:11], 0
.LBB55_616:
	s_andn2_b64 vcc, exec, s[10:11]
	s_cbranch_vccnz .LBB55_625
; %bb.617:
	v_cmp_lt_i16_e64 s[12:13], s3, 6
	s_mov_b64 s[10:11], -1
	s_and_b64 vcc, exec, s[12:13]
	s_cbranch_vccnz .LBB55_623
; %bb.618:
	v_cmp_gt_i16_e64 s[12:13], s3, 6
	s_and_b64 vcc, exec, s[12:13]
	s_cbranch_vccz .LBB55_620
; %bb.619:
	v_cvt_f64_f32_e32 v[8:9], s2
	global_store_dwordx2 v[6:7], v[8:9], off
	s_mov_b64 s[10:11], 0
.LBB55_620:
	s_andn2_b64 vcc, exec, s[10:11]
	s_cbranch_vccnz .LBB55_622
; %bb.621:
	v_mov_b32_e32 v1, s2
	global_store_dword v[6:7], v1, off
.LBB55_622:
	s_mov_b64 s[10:11], 0
.LBB55_623:
	s_andn2_b64 vcc, exec, s[10:11]
	s_cbranch_vccnz .LBB55_625
; %bb.624:
	v_cvt_f16_f32_e32 v1, s2
	global_store_short v[6:7], v1, off
.LBB55_625:
	s_mov_b64 s[10:11], 0
.LBB55_626:
	s_andn2_b64 vcc, exec, s[10:11]
	s_cbranch_vccnz .LBB55_642
; %bb.627:
	v_cmp_lt_i16_e64 s[12:13], s3, 2
	s_mov_b64 s[10:11], -1
	s_and_b64 vcc, exec, s[12:13]
	s_cbranch_vccnz .LBB55_637
; %bb.628:
	v_cmp_lt_i16_e64 s[12:13], s3, 3
	s_and_b64 vcc, exec, s[12:13]
	s_cbranch_vccnz .LBB55_634
; %bb.629:
	v_cmp_gt_i16_e64 s[12:13], s3, 3
	s_and_b64 vcc, exec, s[12:13]
	s_cbranch_vccz .LBB55_631
; %bb.630:
	v_trunc_f32_e32 v1, s2
	s_mov_b32 s10, 0x2f800000
	v_mul_f32_e64 v3, |v1|, s10
	v_floor_f32_e32 v3, v3
	s_mov_b32 s10, 0xcf800000
	v_fma_f32 v5, v3, s10, |v1|
	v_cvt_u32_f32_e32 v5, v5
	v_cvt_u32_f32_e32 v3, v3
	v_ashrrev_i32_e32 v1, 31, v1
	s_mov_b64 s[10:11], 0
	v_xor_b32_e32 v5, v5, v1
	v_xor_b32_e32 v3, v3, v1
	v_sub_co_u32_e32 v8, vcc, v5, v1
	v_subb_co_u32_e32 v9, vcc, v3, v1, vcc
	global_store_dwordx2 v[6:7], v[8:9], off
.LBB55_631:
	s_andn2_b64 vcc, exec, s[10:11]
	s_cbranch_vccnz .LBB55_633
; %bb.632:
	v_cvt_i32_f32_e32 v1, s2
	global_store_dword v[6:7], v1, off
.LBB55_633:
	s_mov_b64 s[10:11], 0
.LBB55_634:
	s_andn2_b64 vcc, exec, s[10:11]
	s_cbranch_vccnz .LBB55_636
; %bb.635:
	v_cvt_i32_f32_e32 v1, s2
	global_store_short v[6:7], v1, off
.LBB55_636:
	s_mov_b64 s[10:11], 0
.LBB55_637:
	s_andn2_b64 vcc, exec, s[10:11]
	s_cbranch_vccnz .LBB55_642
; %bb.638:
	v_cmp_gt_i16_e64 s[12:13], s3, 0
	s_mov_b64 s[10:11], -1
	s_and_b64 vcc, exec, s[12:13]
	s_cbranch_vccz .LBB55_640
; %bb.639:
	v_cvt_i32_f32_e32 v1, s2
	s_mov_b64 s[10:11], 0
	global_store_byte v[6:7], v1, off
.LBB55_640:
	s_andn2_b64 vcc, exec, s[10:11]
	s_cbranch_vccnz .LBB55_642
; %bb.641:
	v_trunc_f32_e32 v1, s2
	s_mov_b32 s10, 0x2f800000
	v_mul_f32_e64 v3, |v1|, s10
	v_floor_f32_e32 v3, v3
	s_mov_b32 s10, 0xcf800000
	v_fma_f32 v3, v3, s10, |v1|
	v_cvt_u32_f32_e32 v3, v3
	v_ashrrev_i32_e32 v1, 31, v1
	v_xor_b32_e32 v3, v3, v1
	v_sub_u32_e32 v1, v3, v1
	global_store_byte v[6:7], v1, off
.LBB55_642:
.LBB55_643:
	v_mov_b32_e32 v1, s1
	v_add_co_u32_e32 v4, vcc, s0, v4
	v_addc_co_u32_e32 v5, vcc, 0, v1, vcc
	s_and_b64 vcc, exec, s[8:9]
	s_cbranch_vccnz .LBB55_650
; %bb.644:
	v_cmp_gt_i16_e64 s[10:11], s3, 25
	s_mov_b64 s[16:17], -1
	s_mov_b64 s[12:13], 0
	s_and_b64 vcc, exec, s[10:11]
	s_mov_b64 s[14:15], 0
	s_mov_b64 s[10:11], 0
	s_cbranch_vccz .LBB55_685
; %bb.645:
	v_cmp_gt_i16_e64 s[10:11], s3, 28
	s_and_b64 vcc, exec, s[10:11]
	s_cbranch_vccz .LBB55_652
; %bb.646:
	v_cmp_gt_i16_e64 s[10:11], s3, 43
	s_and_b64 vcc, exec, s[10:11]
	;; [unrolled: 4-line block ×3, first 2 shown]
	s_cbranch_vccz .LBB55_655
; %bb.648:
	v_cmp_eq_u16_e64 s[14:15], s3, 46
	s_mov_b64 s[10:11], -1
	s_mov_b64 s[16:17], 0
	s_and_b64 vcc, exec, s[14:15]
	s_mov_b64 s[14:15], 0
	s_cbranch_vccz .LBB55_656
; %bb.649:
	s_bfe_u32 s10, s2, 0x10010
	s_add_i32 s10, s2, s10
	s_addk_i32 s10, 0x7fff
	s_lshr_b32 s14, s10, 16
	v_cmp_o_f32_e64 s[10:11], s2, s2
	s_and_b64 s[10:11], s[10:11], exec
	s_cselect_b32 s10, s14, 0x7fc0
	v_mov_b32_e32 v1, s10
	global_store_dword v[4:5], v1, off
	s_mov_b64 s[10:11], 0
	s_mov_b64 s[14:15], -1
	s_branch .LBB55_656
.LBB55_650:
	s_mov_b64 s[14:15], 0
	s_cbranch_execnz .LBB55_735
.LBB55_651:
	s_andn2_b64 vcc, exec, s[14:15]
	s_cbranch_vccz .LBB55_773
	s_branch .LBB55_950
.LBB55_652:
	s_mov_b64 s[10:11], 0
	s_branch .LBB55_666
.LBB55_653:
	s_mov_b64 s[10:11], 0
	s_branch .LBB55_662
.LBB55_654:
	s_or_b64 s[4:5], s[6:7], exec
	s_trap 2
	s_cbranch_execz .LBB55_603
	s_branch .LBB55_604
.LBB55_655:
	s_mov_b64 s[10:11], 0
.LBB55_656:
	s_and_b64 vcc, exec, s[16:17]
	s_cbranch_vccz .LBB55_661
; %bb.657:
	v_cmp_eq_u16_e64 s[16:17], s3, 44
	s_mov_b64 s[10:11], -1
	s_and_b64 vcc, exec, s[16:17]
	s_cbranch_vccz .LBB55_661
; %bb.658:
	s_bfe_u32 s10, s2, 0x80017
	s_cmpk_eq_i32 s10, 0xff
	v_mov_b32_e32 v1, 0xff
	s_cbranch_scc1 .LBB55_660
; %bb.659:
	s_lshr_b32 s16, s2, 23
	s_bitcmp1_b32 s2, 22
	s_cselect_b64 s[14:15], -1, 0
	s_and_b32 s11, s2, 0x3fffff
	s_or_b32 s10, s10, s11
	s_cmp_lg_u32 s10, 0
	s_cselect_b64 s[10:11], -1, 0
	s_and_b64 s[10:11], s[14:15], s[10:11]
	v_cndmask_b32_e64 v1, 0, 1, s[10:11]
	v_add_u32_e32 v1, s16, v1
.LBB55_660:
	s_mov_b64 s[10:11], 0
	s_mov_b64 s[14:15], -1
	global_store_byte v[4:5], v1, off
.LBB55_661:
	s_mov_b64 s[16:17], 0
.LBB55_662:
	s_and_b64 vcc, exec, s[16:17]
	s_cbranch_vccz .LBB55_665
; %bb.663:
	v_cmp_eq_u16_e64 s[16:17], s3, 29
	s_mov_b64 s[10:11], -1
	s_and_b64 vcc, exec, s[16:17]
	s_cbranch_vccz .LBB55_665
; %bb.664:
	v_trunc_f32_e32 v1, s2
	v_mul_f32_e32 v3, 0x2f800000, v1
	v_floor_f32_e32 v3, v3
	v_fmac_f32_e32 v1, 0xcf800000, v3
	v_cvt_u32_f32_e32 v7, v3
	v_cvt_u32_f32_e32 v6, v1
	s_mov_b64 s[10:11], 0
	s_mov_b64 s[14:15], -1
	s_mov_b64 s[16:17], 0
	global_store_dwordx2 v[4:5], v[6:7], off
	s_branch .LBB55_666
.LBB55_665:
	s_mov_b64 s[16:17], 0
.LBB55_666:
	s_and_b64 vcc, exec, s[16:17]
	s_cbranch_vccz .LBB55_684
; %bb.667:
	v_cmp_lt_i16_e64 s[16:17], s3, 27
	s_mov_b64 s[14:15], -1
	s_and_b64 vcc, exec, s[16:17]
	s_cbranch_vccnz .LBB55_673
; %bb.668:
	v_cmp_gt_i16_e64 s[16:17], s3, 27
	s_and_b64 vcc, exec, s[16:17]
	s_cbranch_vccz .LBB55_670
; %bb.669:
	v_cvt_u32_f32_e32 v1, s2
	s_mov_b64 s[14:15], 0
	global_store_dword v[4:5], v1, off
.LBB55_670:
	s_andn2_b64 vcc, exec, s[14:15]
	s_cbranch_vccnz .LBB55_672
; %bb.671:
	v_cvt_u32_f32_e32 v1, s2
	global_store_short v[4:5], v1, off
.LBB55_672:
	s_mov_b64 s[14:15], 0
.LBB55_673:
	s_andn2_b64 vcc, exec, s[14:15]
	s_cbranch_vccnz .LBB55_683
; %bb.674:
	s_and_b32 s14, s2, 0x7fffffff
	s_cmp_gt_u32 s14, 0x437fffff
	v_mov_b32_e32 v3, 0x80
	s_cbranch_scc1 .LBB55_682
; %bb.675:
	s_cmp_gt_u32 s14, 0x3bffffff
	s_cbranch_scc0 .LBB55_677
; %bb.676:
	s_bfe_u32 s14, s2, 0x10014
	s_add_i32 s14, s2, s14
	s_add_i32 s14, s14, 0x487ffff
	s_lshr_b32 s18, s14, 20
	s_mov_b64 s[16:17], 0
	s_mov_b64 s[14:15], -1
	s_branch .LBB55_678
.LBB55_677:
	s_mov_b64 s[16:17], -1
	s_mov_b64 s[14:15], 0
                                        ; implicit-def: $sgpr18
.LBB55_678:
	s_andn2_b64 vcc, exec, s[16:17]
	v_mov_b32_e32 v1, s18
                                        ; implicit-def: $sgpr16
	s_cbranch_vccnz .LBB55_680
; %bb.679:
	v_mov_b32_e32 v1, 0x46000000
	v_add_f32_e64 v1, |s2|, v1
	v_and_b32_e32 v1, 0xff, v1
	s_mov_b32 s16, 0
	v_cmp_ne_u32_e64 s[14:15], 0, v1
.LBB55_680:
	s_andn2_b64 vcc, exec, s[14:15]
	v_mov_b32_e32 v3, s16
	s_cbranch_vccnz .LBB55_682
; %bb.681:
	s_lshr_b32 s14, s2, 24
	s_and_b32 s14, s14, 0x80
	v_or_b32_e32 v3, s14, v1
.LBB55_682:
	global_store_byte v[4:5], v3, off
.LBB55_683:
	s_mov_b64 s[14:15], -1
.LBB55_684:
	s_mov_b64 s[16:17], 0
.LBB55_685:
	s_and_b64 vcc, exec, s[16:17]
	s_cbranch_vccz .LBB55_731
; %bb.686:
	v_cmp_gt_i16_e64 s[16:17], s3, 22
	s_mov_b64 s[12:13], -1
	s_and_b64 vcc, exec, s[16:17]
	s_cbranch_vccz .LBB55_724
; %bb.687:
	v_cmp_lt_i16_e64 s[14:15], s3, 24
	s_and_b64 vcc, exec, s[14:15]
	s_cbranch_vccnz .LBB55_711
; %bb.688:
	v_cmp_gt_i16_e64 s[14:15], s3, 24
	s_and_b64 vcc, exec, s[14:15]
	s_cbranch_vccz .LBB55_698
; %bb.689:
	s_and_b32 s12, s2, 0x7fffffff
	s_cmp_gt_u32 s12, 0x477fffff
	v_mov_b32_e32 v3, 0x80
	s_cbranch_scc1 .LBB55_697
; %bb.690:
	s_cmp_gt_u32 s12, 0x37ffffff
	s_cbranch_scc0 .LBB55_692
; %bb.691:
	s_bfe_u32 s12, s2, 0x10015
	s_add_i32 s12, s2, s12
	s_add_i32 s12, s12, 0x88fffff
	s_lshr_b32 s16, s12, 21
	s_mov_b64 s[14:15], 0
	s_mov_b64 s[12:13], -1
	s_branch .LBB55_693
.LBB55_692:
	s_mov_b64 s[14:15], -1
	s_mov_b64 s[12:13], 0
                                        ; implicit-def: $sgpr16
.LBB55_693:
	s_andn2_b64 vcc, exec, s[14:15]
	v_mov_b32_e32 v1, s16
                                        ; implicit-def: $sgpr14
	s_cbranch_vccnz .LBB55_695
; %bb.694:
	v_mov_b32_e32 v1, 0x42800000
	v_add_f32_e64 v1, |s2|, v1
	v_and_b32_e32 v1, 0xff, v1
	s_mov_b32 s14, 0
	v_cmp_ne_u32_e64 s[12:13], 0, v1
.LBB55_695:
	s_andn2_b64 vcc, exec, s[12:13]
	v_mov_b32_e32 v3, s14
	s_cbranch_vccnz .LBB55_697
; %bb.696:
	s_lshr_b32 s12, s2, 24
	s_and_b32 s12, s12, 0x80
	v_or_b32_e32 v3, s12, v1
.LBB55_697:
	s_mov_b64 s[12:13], 0
	global_store_byte v[4:5], v3, off
.LBB55_698:
	s_and_b64 vcc, exec, s[12:13]
	s_cbranch_vccz .LBB55_710
; %bb.699:
	s_and_b32 s14, s2, 0x7fffffff
	s_cmp_lt_u32 s14, 0x43f00000
	s_cbranch_scc0 .LBB55_702
; %bb.700:
	s_cmp_gt_u32 s14, 0x3c7fffff
	s_cbranch_scc0 .LBB55_703
; %bb.701:
	s_bfe_u32 s12, s2, 0x10014
	s_add_i32 s12, s2, s12
	s_add_i32 s12, s12, 0x407ffff
	s_lshr_b32 s13, s12, 20
	s_and_b32 s12, s12, 0xff00000
	s_cmp_lg_u32 s12, 0x7f00000
	s_cselect_b32 s15, s13, 0x7e
	s_mov_b64 s[12:13], 0
	s_branch .LBB55_704
.LBB55_702:
	s_mov_b64 s[12:13], -1
                                        ; implicit-def: $vgpr1
	s_branch .LBB55_707
.LBB55_703:
	s_mov_b64 s[12:13], -1
                                        ; implicit-def: $sgpr15
.LBB55_704:
	s_andn2_b64 vcc, exec, s[12:13]
	v_mov_b32_e32 v1, s15
	s_cbranch_vccnz .LBB55_706
; %bb.705:
	v_mov_b32_e32 v1, 0x46800000
	v_add_f32_e64 v1, |s2|, v1
.LBB55_706:
	s_mov_b64 s[12:13], 0
.LBB55_707:
	s_andn2_b64 vcc, exec, s[12:13]
	s_cbranch_vccnz .LBB55_709
; %bb.708:
	s_cmp_gt_u32 s14, 0x7f800000
	s_movk_i32 s12, 0x7f
	s_cselect_b32 s12, s12, 0x7e
	v_mov_b32_e32 v1, s12
.LBB55_709:
	s_lshr_b32 s12, s2, 24
	s_and_b32 s12, s12, 0x80
	v_or_b32_e32 v1, s12, v1
	global_store_byte v[4:5], v1, off
.LBB55_710:
	s_mov_b64 s[12:13], 0
.LBB55_711:
	s_andn2_b64 vcc, exec, s[12:13]
	s_cbranch_vccnz .LBB55_723
; %bb.712:
	s_and_b32 s14, s2, 0x7fffffff
	s_cmp_lt_u32 s14, 0x47800000
	s_cbranch_scc0 .LBB55_715
; %bb.713:
	s_cmp_gt_u32 s14, 0x387fffff
	s_cbranch_scc0 .LBB55_716
; %bb.714:
	s_bfe_u32 s12, s2, 0x10015
	s_add_i32 s12, s2, s12
	s_add_i32 s12, s12, 0x80fffff
	s_lshr_b32 s15, s12, 21
	s_mov_b64 s[12:13], 0
	s_branch .LBB55_717
.LBB55_715:
	s_mov_b64 s[12:13], -1
                                        ; implicit-def: $vgpr1
	s_branch .LBB55_720
.LBB55_716:
	s_mov_b64 s[12:13], -1
                                        ; implicit-def: $sgpr15
.LBB55_717:
	s_andn2_b64 vcc, exec, s[12:13]
	v_mov_b32_e32 v1, s15
	s_cbranch_vccnz .LBB55_719
; %bb.718:
	v_mov_b32_e32 v1, 0x43000000
	v_add_f32_e64 v1, |s2|, v1
.LBB55_719:
	s_mov_b64 s[12:13], 0
.LBB55_720:
	s_andn2_b64 vcc, exec, s[12:13]
	s_cbranch_vccnz .LBB55_722
; %bb.721:
	s_cmp_gt_u32 s14, 0x7f800000
	s_movk_i32 s12, 0x7f
	s_cselect_b32 s12, s12, 0x7c
	v_mov_b32_e32 v1, s12
.LBB55_722:
	s_lshr_b32 s12, s2, 24
	s_and_b32 s12, s12, 0x80
	v_or_b32_e32 v1, s12, v1
	global_store_byte v[4:5], v1, off
.LBB55_723:
	s_mov_b64 s[12:13], 0
	s_mov_b64 s[14:15], -1
.LBB55_724:
	s_andn2_b64 vcc, exec, s[12:13]
	s_mov_b64 s[12:13], 0
	s_cbranch_vccnz .LBB55_731
; %bb.725:
	v_cmp_gt_i16_e64 s[12:13], s3, 14
	s_mov_b64 s[16:17], -1
	s_and_b64 vcc, exec, s[12:13]
	s_cbranch_vccz .LBB55_729
; %bb.726:
	v_cmp_eq_u16_e64 s[12:13], s3, 15
	s_mov_b64 s[10:11], -1
	s_and_b64 vcc, exec, s[12:13]
	s_cbranch_vccz .LBB55_728
; %bb.727:
	s_bfe_u32 s10, s2, 0x10010
	s_add_i32 s10, s2, s10
	s_addk_i32 s10, 0x7fff
	s_lshr_b32 s12, s10, 16
	v_cmp_o_f32_e64 s[10:11], s2, s2
	s_and_b64 s[10:11], s[10:11], exec
	s_cselect_b32 s10, s12, 0x7fc0
	v_mov_b32_e32 v1, s10
	global_store_short v[4:5], v1, off
	s_mov_b64 s[10:11], 0
	s_mov_b64 s[14:15], -1
.LBB55_728:
	s_mov_b64 s[16:17], 0
.LBB55_729:
	s_mov_b64 s[12:13], 0
	s_and_b64 vcc, exec, s[16:17]
	s_cbranch_vccz .LBB55_731
; %bb.730:
	v_cmp_ne_u16_e64 s[10:11], s3, 11
	s_mov_b64 s[12:13], -1
.LBB55_731:
	s_and_b64 vcc, exec, s[10:11]
	s_cbranch_vccnz .LBB55_794
; %bb.732:
	s_andn2_b64 vcc, exec, s[12:13]
	s_cbranch_vccnz .LBB55_734
.LBB55_733:
	v_cmp_neq_f32_e64 s[10:11], s2, 0
	v_cndmask_b32_e64 v1, 0, 1, s[10:11]
	s_mov_b64 s[14:15], -1
	global_store_byte v[4:5], v1, off
.LBB55_734:
	s_branch .LBB55_651
.LBB55_735:
	v_cmp_lt_i16_e64 s[12:13], s3, 5
	s_mov_b64 s[10:11], -1
	s_and_b64 vcc, exec, s[12:13]
	s_cbranch_vccnz .LBB55_756
; %bb.736:
	v_cmp_lt_i16_e64 s[12:13], s3, 8
	s_and_b64 vcc, exec, s[12:13]
	s_cbranch_vccnz .LBB55_746
; %bb.737:
	v_cmp_lt_i16_e64 s[12:13], s3, 9
	s_and_b64 vcc, exec, s[12:13]
	s_cbranch_vccnz .LBB55_743
; %bb.738:
	v_cmp_gt_i16_e64 s[12:13], s3, 9
	s_and_b64 vcc, exec, s[12:13]
	s_cbranch_vccz .LBB55_740
; %bb.739:
	v_mov_b32_e32 v8, 0
	v_cvt_f64_f32_e32 v[6:7], s2
	v_mov_b32_e32 v9, v8
	global_store_dwordx4 v[4:5], v[6:9], off
	s_mov_b64 s[10:11], 0
.LBB55_740:
	s_andn2_b64 vcc, exec, s[10:11]
	s_cbranch_vccnz .LBB55_742
; %bb.741:
	v_mov_b32_e32 v6, s2
	v_mov_b32_e32 v7, 0
	global_store_dwordx2 v[4:5], v[6:7], off
.LBB55_742:
	s_mov_b64 s[10:11], 0
.LBB55_743:
	s_andn2_b64 vcc, exec, s[10:11]
	s_cbranch_vccnz .LBB55_745
; %bb.744:
	v_cvt_f16_f32_e32 v1, s2
	global_store_dword v[4:5], v1, off
.LBB55_745:
	s_mov_b64 s[10:11], 0
.LBB55_746:
	s_andn2_b64 vcc, exec, s[10:11]
	s_cbranch_vccnz .LBB55_755
; %bb.747:
	v_cmp_lt_i16_e64 s[12:13], s3, 6
	s_mov_b64 s[10:11], -1
	s_and_b64 vcc, exec, s[12:13]
	s_cbranch_vccnz .LBB55_753
; %bb.748:
	v_cmp_gt_i16_e64 s[12:13], s3, 6
	s_and_b64 vcc, exec, s[12:13]
	s_cbranch_vccz .LBB55_750
; %bb.749:
	v_cvt_f64_f32_e32 v[6:7], s2
	global_store_dwordx2 v[4:5], v[6:7], off
	s_mov_b64 s[10:11], 0
.LBB55_750:
	s_andn2_b64 vcc, exec, s[10:11]
	s_cbranch_vccnz .LBB55_752
; %bb.751:
	v_mov_b32_e32 v1, s2
	global_store_dword v[4:5], v1, off
.LBB55_752:
	s_mov_b64 s[10:11], 0
.LBB55_753:
	s_andn2_b64 vcc, exec, s[10:11]
	s_cbranch_vccnz .LBB55_755
; %bb.754:
	v_cvt_f16_f32_e32 v1, s2
	global_store_short v[4:5], v1, off
.LBB55_755:
	s_mov_b64 s[10:11], 0
.LBB55_756:
	s_andn2_b64 vcc, exec, s[10:11]
	s_cbranch_vccnz .LBB55_772
; %bb.757:
	v_cmp_lt_i16_e64 s[12:13], s3, 2
	s_mov_b64 s[10:11], -1
	s_and_b64 vcc, exec, s[12:13]
	s_cbranch_vccnz .LBB55_767
; %bb.758:
	v_cmp_lt_i16_e64 s[12:13], s3, 3
	s_and_b64 vcc, exec, s[12:13]
	s_cbranch_vccnz .LBB55_764
; %bb.759:
	v_cmp_gt_i16_e64 s[12:13], s3, 3
	s_and_b64 vcc, exec, s[12:13]
	s_cbranch_vccz .LBB55_761
; %bb.760:
	v_trunc_f32_e32 v1, s2
	s_mov_b32 s10, 0x2f800000
	v_mul_f32_e64 v3, |v1|, s10
	v_floor_f32_e32 v3, v3
	s_mov_b32 s10, 0xcf800000
	v_fma_f32 v6, v3, s10, |v1|
	v_cvt_u32_f32_e32 v6, v6
	v_cvt_u32_f32_e32 v3, v3
	v_ashrrev_i32_e32 v1, 31, v1
	s_mov_b64 s[10:11], 0
	v_xor_b32_e32 v6, v6, v1
	v_xor_b32_e32 v3, v3, v1
	v_sub_co_u32_e32 v6, vcc, v6, v1
	v_subb_co_u32_e32 v7, vcc, v3, v1, vcc
	global_store_dwordx2 v[4:5], v[6:7], off
.LBB55_761:
	s_andn2_b64 vcc, exec, s[10:11]
	s_cbranch_vccnz .LBB55_763
; %bb.762:
	v_cvt_i32_f32_e32 v1, s2
	global_store_dword v[4:5], v1, off
.LBB55_763:
	s_mov_b64 s[10:11], 0
.LBB55_764:
	s_andn2_b64 vcc, exec, s[10:11]
	s_cbranch_vccnz .LBB55_766
; %bb.765:
	v_cvt_i32_f32_e32 v1, s2
	global_store_short v[4:5], v1, off
.LBB55_766:
	s_mov_b64 s[10:11], 0
.LBB55_767:
	s_andn2_b64 vcc, exec, s[10:11]
	s_cbranch_vccnz .LBB55_772
; %bb.768:
	v_cmp_gt_i16_e64 s[12:13], s3, 0
	s_mov_b64 s[10:11], -1
	s_and_b64 vcc, exec, s[12:13]
	s_cbranch_vccz .LBB55_770
; %bb.769:
	v_cvt_i32_f32_e32 v1, s2
	s_mov_b64 s[10:11], 0
	global_store_byte v[4:5], v1, off
.LBB55_770:
	s_andn2_b64 vcc, exec, s[10:11]
	s_cbranch_vccnz .LBB55_772
; %bb.771:
	v_trunc_f32_e32 v1, s2
	s_mov_b32 s10, 0x2f800000
	v_mul_f32_e64 v3, |v1|, s10
	v_floor_f32_e32 v3, v3
	s_mov_b32 s10, 0xcf800000
	v_fma_f32 v3, v3, s10, |v1|
	v_cvt_u32_f32_e32 v3, v3
	v_ashrrev_i32_e32 v1, 31, v1
	v_xor_b32_e32 v3, v3, v1
	v_sub_u32_e32 v1, v3, v1
	global_store_byte v[4:5], v1, off
.LBB55_772:
.LBB55_773:
	v_mov_b32_e32 v1, s1
	v_add_co_u32_e32 v2, vcc, s0, v2
	v_addc_co_u32_e32 v3, vcc, 0, v1, vcc
	s_and_b64 vcc, exec, s[8:9]
	s_cbranch_vccnz .LBB55_780
; %bb.774:
	v_cmp_gt_i16_e64 s[10:11], s3, 25
	s_mov_b64 s[16:17], -1
	s_mov_b64 s[12:13], 0
	s_and_b64 vcc, exec, s[10:11]
	s_mov_b64 s[14:15], 0
	s_mov_b64 s[10:11], 0
	s_cbranch_vccz .LBB55_848
; %bb.775:
	v_cmp_gt_i16_e64 s[10:11], s3, 28
	s_and_b64 vcc, exec, s[10:11]
	s_cbranch_vccz .LBB55_791
; %bb.776:
	v_cmp_gt_i16_e64 s[10:11], s3, 43
	s_and_b64 vcc, exec, s[10:11]
	;; [unrolled: 4-line block ×3, first 2 shown]
	s_cbranch_vccz .LBB55_795
; %bb.778:
	v_cmp_eq_u16_e64 s[14:15], s3, 46
	s_mov_b64 s[10:11], -1
	s_mov_b64 s[16:17], 0
	s_and_b64 vcc, exec, s[14:15]
	s_mov_b64 s[14:15], 0
	s_cbranch_vccz .LBB55_796
; %bb.779:
	s_bfe_u32 s10, s2, 0x10010
	s_add_i32 s10, s2, s10
	s_addk_i32 s10, 0x7fff
	s_lshr_b32 s14, s10, 16
	v_cmp_o_f32_e64 s[10:11], s2, s2
	s_and_b64 s[10:11], s[10:11], exec
	s_cselect_b32 s10, s14, 0x7fc0
	v_mov_b32_e32 v1, s10
	global_store_dword v[2:3], v1, off
	s_mov_b64 s[10:11], 0
	s_mov_b64 s[14:15], -1
	s_branch .LBB55_796
.LBB55_780:
	s_mov_b64 s[14:15], 0
	s_cbranch_execnz .LBB55_912
.LBB55_781:
	s_andn2_b64 vcc, exec, s[14:15]
	s_cbranch_vccnz .LBB55_950
.LBB55_782:
	v_mov_b32_e32 v1, s1
	v_add_co_u32_e32 v0, vcc, s0, v0
	v_addc_co_u32_e32 v1, vcc, 0, v1, vcc
	s_and_b64 vcc, exec, s[8:9]
	s_cbranch_vccnz .LBB55_790
; %bb.783:
	v_cmp_gt_i16_e64 s[0:1], s3, 25
	s_mov_b64 s[10:11], -1
	s_mov_b64 s[8:9], 0
	s_and_b64 vcc, exec, s[0:1]
	s_mov_b64 s[0:1], 0
	s_cbranch_vccz .LBB55_862
; %bb.784:
	v_cmp_gt_i16_e64 s[0:1], s3, 28
	s_and_b64 vcc, exec, s[0:1]
	s_cbranch_vccz .LBB55_793
; %bb.785:
	v_cmp_gt_i16_e64 s[0:1], s3, 43
	s_and_b64 vcc, exec, s[0:1]
	;; [unrolled: 4-line block ×3, first 2 shown]
	s_cbranch_vccz .LBB55_818
; %bb.787:
	v_cmp_eq_u16_e64 s[10:11], s3, 46
	s_mov_b64 s[0:1], -1
	s_and_b64 vcc, exec, s[10:11]
	s_cbranch_vccz .LBB55_789
; %bb.788:
	s_bfe_u32 s0, s2, 0x10010
	s_add_i32 s0, s2, s0
	s_addk_i32 s0, 0x7fff
	s_lshr_b32 s10, s0, 16
	v_cmp_o_f32_e64 s[0:1], s2, s2
	s_and_b64 s[0:1], s[0:1], exec
	s_cselect_b32 s0, s10, 0x7fc0
	v_mov_b32_e32 v2, s0
	global_store_dword v[0:1], v2, off
	s_mov_b64 s[0:1], 0
.LBB55_789:
	s_mov_b64 s[10:11], 0
	s_branch .LBB55_819
.LBB55_790:
	s_mov_b64 s[8:9], 0
	s_mov_b64 s[0:1], -1
	s_branch .LBB55_951
.LBB55_791:
	s_mov_b64 s[10:11], 0
	s_branch .LBB55_806
.LBB55_792:
	s_mov_b64 s[10:11], 0
	s_branch .LBB55_802
.LBB55_793:
	s_mov_b64 s[0:1], 0
	s_branch .LBB55_829
.LBB55_794:
	s_trap 2
	s_or_b64 s[4:5], s[4:5], exec
	s_cbranch_execz .LBB55_733
	s_branch .LBB55_734
.LBB55_795:
	s_mov_b64 s[10:11], 0
.LBB55_796:
	s_and_b64 vcc, exec, s[16:17]
	s_cbranch_vccz .LBB55_801
; %bb.797:
	v_cmp_eq_u16_e64 s[16:17], s3, 44
	s_mov_b64 s[10:11], -1
	s_and_b64 vcc, exec, s[16:17]
	s_cbranch_vccz .LBB55_801
; %bb.798:
	s_bfe_u32 s10, s2, 0x80017
	s_cmpk_eq_i32 s10, 0xff
	v_mov_b32_e32 v1, 0xff
	s_cbranch_scc1 .LBB55_800
; %bb.799:
	s_lshr_b32 s16, s2, 23
	s_bitcmp1_b32 s2, 22
	s_cselect_b64 s[14:15], -1, 0
	s_and_b32 s11, s2, 0x3fffff
	s_or_b32 s10, s10, s11
	s_cmp_lg_u32 s10, 0
	s_cselect_b64 s[10:11], -1, 0
	s_and_b64 s[10:11], s[14:15], s[10:11]
	v_cndmask_b32_e64 v1, 0, 1, s[10:11]
	v_add_u32_e32 v1, s16, v1
.LBB55_800:
	s_mov_b64 s[10:11], 0
	s_mov_b64 s[14:15], -1
	global_store_byte v[2:3], v1, off
.LBB55_801:
	s_mov_b64 s[16:17], 0
.LBB55_802:
	s_and_b64 vcc, exec, s[16:17]
	s_cbranch_vccz .LBB55_805
; %bb.803:
	v_cmp_eq_u16_e64 s[16:17], s3, 29
	s_mov_b64 s[10:11], -1
	s_and_b64 vcc, exec, s[16:17]
	s_cbranch_vccz .LBB55_805
; %bb.804:
	v_trunc_f32_e32 v1, s2
	v_mul_f32_e32 v4, 0x2f800000, v1
	v_floor_f32_e32 v4, v4
	v_fmac_f32_e32 v1, 0xcf800000, v4
	v_cvt_u32_f32_e32 v5, v4
	v_cvt_u32_f32_e32 v4, v1
	s_mov_b64 s[10:11], 0
	s_mov_b64 s[14:15], -1
	s_mov_b64 s[16:17], 0
	global_store_dwordx2 v[2:3], v[4:5], off
	s_branch .LBB55_806
.LBB55_805:
	s_mov_b64 s[16:17], 0
.LBB55_806:
	s_and_b64 vcc, exec, s[16:17]
	s_cbranch_vccz .LBB55_847
; %bb.807:
	v_cmp_lt_i16_e64 s[16:17], s3, 27
	s_mov_b64 s[14:15], -1
	s_and_b64 vcc, exec, s[16:17]
	s_cbranch_vccnz .LBB55_813
; %bb.808:
	v_cmp_gt_i16_e64 s[16:17], s3, 27
	s_and_b64 vcc, exec, s[16:17]
	s_cbranch_vccz .LBB55_810
; %bb.809:
	v_cvt_u32_f32_e32 v1, s2
	s_mov_b64 s[14:15], 0
	global_store_dword v[2:3], v1, off
.LBB55_810:
	s_andn2_b64 vcc, exec, s[14:15]
	s_cbranch_vccnz .LBB55_812
; %bb.811:
	v_cvt_u32_f32_e32 v1, s2
	global_store_short v[2:3], v1, off
.LBB55_812:
	s_mov_b64 s[14:15], 0
.LBB55_813:
	s_andn2_b64 vcc, exec, s[14:15]
	s_cbranch_vccnz .LBB55_846
; %bb.814:
	s_and_b32 s14, s2, 0x7fffffff
	s_cmp_gt_u32 s14, 0x437fffff
	v_mov_b32_e32 v4, 0x80
	s_cbranch_scc1 .LBB55_845
; %bb.815:
	s_cmp_gt_u32 s14, 0x3bffffff
	s_cbranch_scc0 .LBB55_840
; %bb.816:
	s_bfe_u32 s14, s2, 0x10014
	s_add_i32 s14, s2, s14
	s_add_i32 s14, s14, 0x487ffff
	s_lshr_b32 s18, s14, 20
	s_mov_b64 s[16:17], 0
	s_mov_b64 s[14:15], -1
	s_branch .LBB55_841
.LBB55_817:
	s_mov_b64 s[0:1], 0
	s_branch .LBB55_825
.LBB55_818:
	s_mov_b64 s[0:1], 0
.LBB55_819:
	s_and_b64 vcc, exec, s[10:11]
	s_cbranch_vccz .LBB55_824
; %bb.820:
	v_cmp_eq_u16_e64 s[10:11], s3, 44
	s_mov_b64 s[0:1], -1
	s_and_b64 vcc, exec, s[10:11]
	s_cbranch_vccz .LBB55_824
; %bb.821:
	s_bfe_u32 s0, s2, 0x80017
	s_cmpk_eq_i32 s0, 0xff
	v_mov_b32_e32 v2, 0xff
	s_cbranch_scc1 .LBB55_823
; %bb.822:
	s_lshr_b32 s12, s2, 23
	s_bitcmp1_b32 s2, 22
	s_cselect_b64 s[10:11], -1, 0
	s_and_b32 s1, s2, 0x3fffff
	s_or_b32 s0, s0, s1
	s_cmp_lg_u32 s0, 0
	s_cselect_b64 s[0:1], -1, 0
	s_and_b64 s[0:1], s[10:11], s[0:1]
	v_cndmask_b32_e64 v2, 0, 1, s[0:1]
	v_add_u32_e32 v2, s12, v2
.LBB55_823:
	s_mov_b64 s[0:1], 0
	global_store_byte v[0:1], v2, off
.LBB55_824:
	s_mov_b64 s[10:11], 0
.LBB55_825:
	s_and_b64 vcc, exec, s[10:11]
	s_cbranch_vccz .LBB55_828
; %bb.826:
	v_cmp_eq_u16_e64 s[10:11], s3, 29
	s_mov_b64 s[0:1], -1
	s_and_b64 vcc, exec, s[10:11]
	s_cbranch_vccz .LBB55_828
; %bb.827:
	v_trunc_f32_e32 v2, s2
	v_mul_f32_e32 v3, 0x2f800000, v2
	v_floor_f32_e32 v4, v3
	v_fmac_f32_e32 v2, 0xcf800000, v4
	v_cvt_u32_f32_e32 v3, v4
	v_cvt_u32_f32_e32 v2, v2
	s_mov_b64 s[0:1], 0
	global_store_dwordx2 v[0:1], v[2:3], off
.LBB55_828:
	s_mov_b64 s[10:11], 0
.LBB55_829:
	s_and_b64 vcc, exec, s[10:11]
	s_cbranch_vccz .LBB55_861
; %bb.830:
	v_cmp_lt_i16_e64 s[12:13], s3, 27
	s_mov_b64 s[10:11], -1
	s_and_b64 vcc, exec, s[12:13]
	s_cbranch_vccnz .LBB55_836
; %bb.831:
	v_cvt_u32_f32_e32 v2, s2
	v_cmp_gt_i16_e64 s[12:13], s3, 27
	s_and_b64 vcc, exec, s[12:13]
	s_cbranch_vccz .LBB55_833
; %bb.832:
	global_store_dword v[0:1], v2, off
	s_mov_b64 s[10:11], 0
.LBB55_833:
	s_andn2_b64 vcc, exec, s[10:11]
	s_cbranch_vccnz .LBB55_835
; %bb.834:
	global_store_short v[0:1], v2, off
.LBB55_835:
	s_mov_b64 s[10:11], 0
.LBB55_836:
	s_andn2_b64 vcc, exec, s[10:11]
	s_cbranch_vccnz .LBB55_861
; %bb.837:
	s_and_b32 s10, s2, 0x7fffffff
	s_cmp_gt_u32 s10, 0x437fffff
	v_mov_b32_e32 v3, 0x80
	s_cbranch_scc1 .LBB55_860
; %bb.838:
	s_cmp_gt_u32 s10, 0x3bffffff
	s_cbranch_scc0 .LBB55_855
; %bb.839:
	s_bfe_u32 s10, s2, 0x10014
	s_add_i32 s10, s2, s10
	s_add_i32 s10, s10, 0x487ffff
	s_lshr_b32 s14, s10, 20
	s_mov_b64 s[12:13], 0
	s_mov_b64 s[10:11], -1
	s_branch .LBB55_856
.LBB55_840:
	s_mov_b64 s[16:17], -1
	s_mov_b64 s[14:15], 0
                                        ; implicit-def: $sgpr18
.LBB55_841:
	s_andn2_b64 vcc, exec, s[16:17]
	v_mov_b32_e32 v1, s18
                                        ; implicit-def: $sgpr16
	s_cbranch_vccnz .LBB55_843
; %bb.842:
	v_mov_b32_e32 v1, 0x46000000
	v_add_f32_e64 v1, |s2|, v1
	v_and_b32_e32 v1, 0xff, v1
	s_mov_b32 s16, 0
	v_cmp_ne_u32_e64 s[14:15], 0, v1
.LBB55_843:
	s_andn2_b64 vcc, exec, s[14:15]
	v_mov_b32_e32 v4, s16
	s_cbranch_vccnz .LBB55_845
; %bb.844:
	s_lshr_b32 s14, s2, 24
	s_and_b32 s14, s14, 0x80
	v_or_b32_e32 v4, s14, v1
.LBB55_845:
	global_store_byte v[2:3], v4, off
.LBB55_846:
	s_mov_b64 s[14:15], -1
.LBB55_847:
	s_mov_b64 s[16:17], 0
.LBB55_848:
	s_and_b64 vcc, exec, s[16:17]
	s_cbranch_vccz .LBB55_908
; %bb.849:
	v_cmp_gt_i16_e64 s[16:17], s3, 22
	s_mov_b64 s[12:13], -1
	s_and_b64 vcc, exec, s[16:17]
	s_cbranch_vccz .LBB55_901
; %bb.850:
	v_cmp_lt_i16_e64 s[14:15], s3, 24
	s_and_b64 vcc, exec, s[14:15]
	s_cbranch_vccnz .LBB55_888
; %bb.851:
	v_cmp_gt_i16_e64 s[14:15], s3, 24
	s_and_b64 vcc, exec, s[14:15]
	s_cbranch_vccz .LBB55_875
; %bb.852:
	s_and_b32 s12, s2, 0x7fffffff
	s_cmp_gt_u32 s12, 0x477fffff
	v_mov_b32_e32 v4, 0x80
	s_cbranch_scc1 .LBB55_874
; %bb.853:
	s_cmp_gt_u32 s12, 0x37ffffff
	s_cbranch_scc0 .LBB55_869
; %bb.854:
	s_bfe_u32 s12, s2, 0x10015
	s_add_i32 s12, s2, s12
	s_add_i32 s12, s12, 0x88fffff
	s_lshr_b32 s16, s12, 21
	s_mov_b64 s[14:15], 0
	s_mov_b64 s[12:13], -1
	s_branch .LBB55_870
.LBB55_855:
	s_mov_b64 s[12:13], -1
	s_mov_b64 s[10:11], 0
                                        ; implicit-def: $sgpr14
.LBB55_856:
	s_andn2_b64 vcc, exec, s[12:13]
	v_mov_b32_e32 v2, s14
                                        ; implicit-def: $sgpr12
	s_cbranch_vccnz .LBB55_858
; %bb.857:
	v_mov_b32_e32 v2, 0x46000000
	v_add_f32_e64 v2, |s2|, v2
	v_and_b32_e32 v2, 0xff, v2
	s_mov_b32 s12, 0
	v_cmp_ne_u32_e64 s[10:11], 0, v2
.LBB55_858:
	s_andn2_b64 vcc, exec, s[10:11]
	v_mov_b32_e32 v3, s12
	s_cbranch_vccnz .LBB55_860
; %bb.859:
	s_lshr_b32 s10, s2, 24
	s_and_b32 s10, s10, 0x80
	v_or_b32_e32 v3, s10, v2
.LBB55_860:
	global_store_byte v[0:1], v3, off
.LBB55_861:
	s_mov_b64 s[10:11], 0
.LBB55_862:
	s_and_b64 vcc, exec, s[10:11]
	s_cbranch_vccz .LBB55_1035
; %bb.863:
	v_cmp_gt_i16_e64 s[10:11], s3, 22
	s_mov_b64 s[8:9], -1
	s_and_b64 vcc, exec, s[10:11]
	s_cbranch_vccz .LBB55_1028
; %bb.864:
	v_cmp_lt_i16_e64 s[10:11], s3, 24
	s_and_b64 vcc, exec, s[10:11]
	s_cbranch_vccnz .LBB55_1015
; %bb.865:
	v_cmp_gt_i16_e64 s[10:11], s3, 24
	s_and_b64 vcc, exec, s[10:11]
	s_cbranch_vccz .LBB55_1002
; %bb.866:
	s_and_b32 s8, s2, 0x7fffffff
	s_cmp_gt_u32 s8, 0x477fffff
	v_mov_b32_e32 v3, 0x80
	s_cbranch_scc1 .LBB55_1001
; %bb.867:
	s_cmp_gt_u32 s8, 0x37ffffff
	s_cbranch_scc0 .LBB55_996
; %bb.868:
	s_bfe_u32 s8, s2, 0x10015
	s_add_i32 s8, s2, s8
	s_add_i32 s8, s8, 0x88fffff
	s_lshr_b32 s12, s8, 21
	s_mov_b64 s[10:11], 0
	s_mov_b64 s[8:9], -1
	s_branch .LBB55_997
.LBB55_869:
	s_mov_b64 s[14:15], -1
	s_mov_b64 s[12:13], 0
                                        ; implicit-def: $sgpr16
.LBB55_870:
	s_andn2_b64 vcc, exec, s[14:15]
	v_mov_b32_e32 v1, s16
                                        ; implicit-def: $sgpr14
	s_cbranch_vccnz .LBB55_872
; %bb.871:
	v_mov_b32_e32 v1, 0x42800000
	v_add_f32_e64 v1, |s2|, v1
	v_and_b32_e32 v1, 0xff, v1
	s_mov_b32 s14, 0
	v_cmp_ne_u32_e64 s[12:13], 0, v1
.LBB55_872:
	s_andn2_b64 vcc, exec, s[12:13]
	v_mov_b32_e32 v4, s14
	s_cbranch_vccnz .LBB55_874
; %bb.873:
	s_lshr_b32 s12, s2, 24
	s_and_b32 s12, s12, 0x80
	v_or_b32_e32 v4, s12, v1
.LBB55_874:
	s_mov_b64 s[12:13], 0
	global_store_byte v[2:3], v4, off
.LBB55_875:
	s_and_b64 vcc, exec, s[12:13]
	s_cbranch_vccz .LBB55_887
; %bb.876:
	s_and_b32 s14, s2, 0x7fffffff
	s_cmp_lt_u32 s14, 0x43f00000
	s_cbranch_scc0 .LBB55_879
; %bb.877:
	s_cmp_gt_u32 s14, 0x3c7fffff
	s_cbranch_scc0 .LBB55_880
; %bb.878:
	s_bfe_u32 s12, s2, 0x10014
	s_add_i32 s12, s2, s12
	s_add_i32 s12, s12, 0x407ffff
	s_lshr_b32 s13, s12, 20
	s_and_b32 s12, s12, 0xff00000
	s_cmp_lg_u32 s12, 0x7f00000
	s_cselect_b32 s15, s13, 0x7e
	s_mov_b64 s[12:13], 0
	s_branch .LBB55_881
.LBB55_879:
	s_mov_b64 s[12:13], -1
                                        ; implicit-def: $vgpr1
	s_branch .LBB55_884
.LBB55_880:
	s_mov_b64 s[12:13], -1
                                        ; implicit-def: $sgpr15
.LBB55_881:
	s_andn2_b64 vcc, exec, s[12:13]
	v_mov_b32_e32 v1, s15
	s_cbranch_vccnz .LBB55_883
; %bb.882:
	v_mov_b32_e32 v1, 0x46800000
	v_add_f32_e64 v1, |s2|, v1
.LBB55_883:
	s_mov_b64 s[12:13], 0
.LBB55_884:
	s_andn2_b64 vcc, exec, s[12:13]
	s_cbranch_vccnz .LBB55_886
; %bb.885:
	s_cmp_gt_u32 s14, 0x7f800000
	s_movk_i32 s12, 0x7f
	s_cselect_b32 s12, s12, 0x7e
	v_mov_b32_e32 v1, s12
.LBB55_886:
	s_lshr_b32 s12, s2, 24
	s_and_b32 s12, s12, 0x80
	v_or_b32_e32 v1, s12, v1
	global_store_byte v[2:3], v1, off
.LBB55_887:
	s_mov_b64 s[12:13], 0
.LBB55_888:
	s_andn2_b64 vcc, exec, s[12:13]
	s_cbranch_vccnz .LBB55_900
; %bb.889:
	s_and_b32 s14, s2, 0x7fffffff
	s_cmp_lt_u32 s14, 0x47800000
	s_cbranch_scc0 .LBB55_892
; %bb.890:
	s_cmp_gt_u32 s14, 0x387fffff
	s_cbranch_scc0 .LBB55_893
; %bb.891:
	s_bfe_u32 s12, s2, 0x10015
	s_add_i32 s12, s2, s12
	s_add_i32 s12, s12, 0x80fffff
	s_lshr_b32 s15, s12, 21
	s_mov_b64 s[12:13], 0
	s_branch .LBB55_894
.LBB55_892:
	s_mov_b64 s[12:13], -1
                                        ; implicit-def: $vgpr1
	s_branch .LBB55_897
.LBB55_893:
	s_mov_b64 s[12:13], -1
                                        ; implicit-def: $sgpr15
.LBB55_894:
	s_andn2_b64 vcc, exec, s[12:13]
	v_mov_b32_e32 v1, s15
	s_cbranch_vccnz .LBB55_896
; %bb.895:
	v_mov_b32_e32 v1, 0x43000000
	v_add_f32_e64 v1, |s2|, v1
.LBB55_896:
	s_mov_b64 s[12:13], 0
.LBB55_897:
	s_andn2_b64 vcc, exec, s[12:13]
	s_cbranch_vccnz .LBB55_899
; %bb.898:
	s_cmp_gt_u32 s14, 0x7f800000
	s_movk_i32 s12, 0x7f
	s_cselect_b32 s12, s12, 0x7c
	v_mov_b32_e32 v1, s12
.LBB55_899:
	s_lshr_b32 s12, s2, 24
	s_and_b32 s12, s12, 0x80
	v_or_b32_e32 v1, s12, v1
	global_store_byte v[2:3], v1, off
.LBB55_900:
	s_mov_b64 s[12:13], 0
	s_mov_b64 s[14:15], -1
.LBB55_901:
	s_andn2_b64 vcc, exec, s[12:13]
	s_mov_b64 s[12:13], 0
	s_cbranch_vccnz .LBB55_908
; %bb.902:
	v_cmp_gt_i16_e64 s[12:13], s3, 14
	s_mov_b64 s[16:17], -1
	s_and_b64 vcc, exec, s[12:13]
	s_cbranch_vccz .LBB55_906
; %bb.903:
	v_cmp_eq_u16_e64 s[12:13], s3, 15
	s_mov_b64 s[10:11], -1
	s_and_b64 vcc, exec, s[12:13]
	s_cbranch_vccz .LBB55_905
; %bb.904:
	s_bfe_u32 s10, s2, 0x10010
	s_add_i32 s10, s2, s10
	s_addk_i32 s10, 0x7fff
	s_lshr_b32 s12, s10, 16
	v_cmp_o_f32_e64 s[10:11], s2, s2
	s_and_b64 s[10:11], s[10:11], exec
	s_cselect_b32 s10, s12, 0x7fc0
	v_mov_b32_e32 v1, s10
	global_store_short v[2:3], v1, off
	s_mov_b64 s[10:11], 0
	s_mov_b64 s[14:15], -1
.LBB55_905:
	s_mov_b64 s[16:17], 0
.LBB55_906:
	s_mov_b64 s[12:13], 0
	s_and_b64 vcc, exec, s[16:17]
	s_cbranch_vccz .LBB55_908
; %bb.907:
	v_cmp_ne_u16_e64 s[10:11], s3, 11
	s_mov_b64 s[12:13], -1
.LBB55_908:
	s_and_b64 vcc, exec, s[10:11]
	s_cbranch_vccnz .LBB55_995
; %bb.909:
	s_andn2_b64 vcc, exec, s[12:13]
	s_cbranch_vccnz .LBB55_911
.LBB55_910:
	v_cmp_neq_f32_e64 s[10:11], s2, 0
	v_cndmask_b32_e64 v1, 0, 1, s[10:11]
	s_mov_b64 s[14:15], -1
	global_store_byte v[2:3], v1, off
.LBB55_911:
	s_branch .LBB55_781
.LBB55_912:
	v_cmp_lt_i16_e64 s[12:13], s3, 5
	s_mov_b64 s[10:11], -1
	s_and_b64 vcc, exec, s[12:13]
	s_cbranch_vccnz .LBB55_933
; %bb.913:
	v_cmp_lt_i16_e64 s[12:13], s3, 8
	s_and_b64 vcc, exec, s[12:13]
	s_cbranch_vccnz .LBB55_923
; %bb.914:
	v_cmp_lt_i16_e64 s[12:13], s3, 9
	s_and_b64 vcc, exec, s[12:13]
	s_cbranch_vccnz .LBB55_920
; %bb.915:
	v_cmp_gt_i16_e64 s[12:13], s3, 9
	s_and_b64 vcc, exec, s[12:13]
	s_cbranch_vccz .LBB55_917
; %bb.916:
	v_mov_b32_e32 v6, 0
	v_cvt_f64_f32_e32 v[4:5], s2
	v_mov_b32_e32 v7, v6
	global_store_dwordx4 v[2:3], v[4:7], off
	s_mov_b64 s[10:11], 0
.LBB55_917:
	s_andn2_b64 vcc, exec, s[10:11]
	s_cbranch_vccnz .LBB55_919
; %bb.918:
	v_mov_b32_e32 v4, s2
	v_mov_b32_e32 v5, 0
	global_store_dwordx2 v[2:3], v[4:5], off
.LBB55_919:
	s_mov_b64 s[10:11], 0
.LBB55_920:
	s_andn2_b64 vcc, exec, s[10:11]
	s_cbranch_vccnz .LBB55_922
; %bb.921:
	v_cvt_f16_f32_e32 v1, s2
	global_store_dword v[2:3], v1, off
.LBB55_922:
	s_mov_b64 s[10:11], 0
.LBB55_923:
	s_andn2_b64 vcc, exec, s[10:11]
	s_cbranch_vccnz .LBB55_932
; %bb.924:
	v_cmp_lt_i16_e64 s[12:13], s3, 6
	s_mov_b64 s[10:11], -1
	s_and_b64 vcc, exec, s[12:13]
	s_cbranch_vccnz .LBB55_930
; %bb.925:
	v_cmp_gt_i16_e64 s[12:13], s3, 6
	s_and_b64 vcc, exec, s[12:13]
	s_cbranch_vccz .LBB55_927
; %bb.926:
	v_cvt_f64_f32_e32 v[4:5], s2
	global_store_dwordx2 v[2:3], v[4:5], off
	s_mov_b64 s[10:11], 0
.LBB55_927:
	s_andn2_b64 vcc, exec, s[10:11]
	s_cbranch_vccnz .LBB55_929
; %bb.928:
	v_mov_b32_e32 v1, s2
	global_store_dword v[2:3], v1, off
.LBB55_929:
	s_mov_b64 s[10:11], 0
.LBB55_930:
	s_andn2_b64 vcc, exec, s[10:11]
	s_cbranch_vccnz .LBB55_932
; %bb.931:
	v_cvt_f16_f32_e32 v1, s2
	global_store_short v[2:3], v1, off
.LBB55_932:
	s_mov_b64 s[10:11], 0
.LBB55_933:
	s_andn2_b64 vcc, exec, s[10:11]
	s_cbranch_vccnz .LBB55_949
; %bb.934:
	v_cmp_lt_i16_e64 s[12:13], s3, 2
	s_mov_b64 s[10:11], -1
	s_and_b64 vcc, exec, s[12:13]
	s_cbranch_vccnz .LBB55_944
; %bb.935:
	v_cmp_lt_i16_e64 s[12:13], s3, 3
	s_and_b64 vcc, exec, s[12:13]
	s_cbranch_vccnz .LBB55_941
; %bb.936:
	v_cmp_gt_i16_e64 s[12:13], s3, 3
	s_and_b64 vcc, exec, s[12:13]
	s_cbranch_vccz .LBB55_938
; %bb.937:
	v_trunc_f32_e32 v1, s2
	s_mov_b32 s10, 0x2f800000
	v_mul_f32_e64 v4, |v1|, s10
	v_floor_f32_e32 v4, v4
	s_mov_b32 s10, 0xcf800000
	v_fma_f32 v5, v4, s10, |v1|
	v_cvt_u32_f32_e32 v5, v5
	v_cvt_u32_f32_e32 v4, v4
	v_ashrrev_i32_e32 v1, 31, v1
	s_mov_b64 s[10:11], 0
	v_xor_b32_e32 v5, v5, v1
	v_xor_b32_e32 v6, v4, v1
	v_sub_co_u32_e32 v4, vcc, v5, v1
	v_subb_co_u32_e32 v5, vcc, v6, v1, vcc
	global_store_dwordx2 v[2:3], v[4:5], off
.LBB55_938:
	s_andn2_b64 vcc, exec, s[10:11]
	s_cbranch_vccnz .LBB55_940
; %bb.939:
	v_cvt_i32_f32_e32 v1, s2
	global_store_dword v[2:3], v1, off
.LBB55_940:
	s_mov_b64 s[10:11], 0
.LBB55_941:
	s_andn2_b64 vcc, exec, s[10:11]
	s_cbranch_vccnz .LBB55_943
; %bb.942:
	v_cvt_i32_f32_e32 v1, s2
	global_store_short v[2:3], v1, off
.LBB55_943:
	s_mov_b64 s[10:11], 0
.LBB55_944:
	s_andn2_b64 vcc, exec, s[10:11]
	s_cbranch_vccnz .LBB55_949
; %bb.945:
	v_cmp_gt_i16_e64 s[12:13], s3, 0
	s_mov_b64 s[10:11], -1
	s_and_b64 vcc, exec, s[12:13]
	s_cbranch_vccz .LBB55_947
; %bb.946:
	v_cvt_i32_f32_e32 v1, s2
	s_mov_b64 s[10:11], 0
	global_store_byte v[2:3], v1, off
.LBB55_947:
	s_andn2_b64 vcc, exec, s[10:11]
	s_cbranch_vccnz .LBB55_949
; %bb.948:
	v_trunc_f32_e32 v1, s2
	s_mov_b32 s10, 0x2f800000
	v_mul_f32_e64 v4, |v1|, s10
	v_floor_f32_e32 v4, v4
	s_mov_b32 s10, 0xcf800000
	v_fma_f32 v4, v4, s10, |v1|
	v_cvt_u32_f32_e32 v4, v4
	v_ashrrev_i32_e32 v1, 31, v1
	v_xor_b32_e32 v4, v4, v1
	v_sub_u32_e32 v1, v4, v1
	global_store_byte v[2:3], v1, off
.LBB55_949:
	s_branch .LBB55_782
.LBB55_950:
	s_mov_b64 s[0:1], 0
	s_mov_b64 s[8:9], 0
                                        ; implicit-def: $sgpr3
                                        ; implicit-def: $vgpr0_vgpr1
.LBB55_951:
	s_andn2_b64 s[6:7], s[6:7], exec
	s_and_b64 s[4:5], s[4:5], exec
	s_and_b64 s[0:1], s[0:1], exec
	;; [unrolled: 1-line block ×3, first 2 shown]
	s_or_b64 s[6:7], s[6:7], s[4:5]
.LBB55_952:
	s_or_b64 exec, exec, s[24:25]
	s_and_saveexec_b64 s[4:5], s[6:7]
	s_cbranch_execz .LBB55_955
; %bb.953:
	; divergent unreachable
	s_or_b64 exec, exec, s[4:5]
	s_and_saveexec_b64 s[4:5], s[34:35]
	s_xor_b64 s[4:5], exec, s[4:5]
	s_cbranch_execnz .LBB55_956
.LBB55_954:
	s_or_b64 exec, exec, s[4:5]
	s_and_saveexec_b64 s[4:5], s[0:1]
	s_cbranch_execnz .LBB55_957
	s_branch .LBB55_994
.LBB55_955:
	s_or_b64 exec, exec, s[4:5]
	s_and_saveexec_b64 s[4:5], s[34:35]
	s_xor_b64 s[4:5], exec, s[4:5]
	s_cbranch_execz .LBB55_954
.LBB55_956:
	v_cmp_neq_f32_e64 s[6:7], s2, 0
	v_cndmask_b32_e64 v2, 0, 1, s[6:7]
	global_store_byte v[0:1], v2, off
	s_or_b64 exec, exec, s[4:5]
	s_and_saveexec_b64 s[4:5], s[0:1]
	s_cbranch_execz .LBB55_994
.LBB55_957:
	v_cmp_lt_i16_e64 s[4:5], s3, 5
	s_mov_b64 s[0:1], -1
	s_and_b64 vcc, exec, s[4:5]
	s_cbranch_vccnz .LBB55_978
; %bb.958:
	v_cmp_lt_i16_e64 s[4:5], s3, 8
	s_and_b64 vcc, exec, s[4:5]
	s_cbranch_vccnz .LBB55_968
; %bb.959:
	v_cmp_lt_i16_e64 s[4:5], s3, 9
	s_and_b64 vcc, exec, s[4:5]
	s_cbranch_vccnz .LBB55_965
; %bb.960:
	v_cmp_gt_i16_e64 s[4:5], s3, 9
	s_and_b64 vcc, exec, s[4:5]
	s_cbranch_vccz .LBB55_962
; %bb.961:
	v_mov_b32_e32 v4, 0
	v_cvt_f64_f32_e32 v[2:3], s2
	v_mov_b32_e32 v5, v4
	global_store_dwordx4 v[0:1], v[2:5], off
	s_mov_b64 s[0:1], 0
.LBB55_962:
	s_andn2_b64 vcc, exec, s[0:1]
	s_cbranch_vccnz .LBB55_964
; %bb.963:
	v_mov_b32_e32 v2, s2
	v_mov_b32_e32 v3, 0
	global_store_dwordx2 v[0:1], v[2:3], off
.LBB55_964:
	s_mov_b64 s[0:1], 0
.LBB55_965:
	s_andn2_b64 vcc, exec, s[0:1]
	s_cbranch_vccnz .LBB55_967
; %bb.966:
	v_cvt_f16_f32_e32 v2, s2
	global_store_dword v[0:1], v2, off
.LBB55_967:
	s_mov_b64 s[0:1], 0
.LBB55_968:
	s_andn2_b64 vcc, exec, s[0:1]
	s_cbranch_vccnz .LBB55_977
; %bb.969:
	v_cmp_lt_i16_e64 s[4:5], s3, 6
	s_mov_b64 s[0:1], -1
	s_and_b64 vcc, exec, s[4:5]
	s_cbranch_vccnz .LBB55_975
; %bb.970:
	v_cmp_gt_i16_e64 s[4:5], s3, 6
	s_and_b64 vcc, exec, s[4:5]
	s_cbranch_vccz .LBB55_972
; %bb.971:
	v_cvt_f64_f32_e32 v[2:3], s2
	global_store_dwordx2 v[0:1], v[2:3], off
	s_mov_b64 s[0:1], 0
.LBB55_972:
	s_andn2_b64 vcc, exec, s[0:1]
	s_cbranch_vccnz .LBB55_974
; %bb.973:
	v_mov_b32_e32 v2, s2
	global_store_dword v[0:1], v2, off
.LBB55_974:
	s_mov_b64 s[0:1], 0
.LBB55_975:
	s_andn2_b64 vcc, exec, s[0:1]
	s_cbranch_vccnz .LBB55_977
; %bb.976:
	v_cvt_f16_f32_e32 v2, s2
	global_store_short v[0:1], v2, off
.LBB55_977:
	s_mov_b64 s[0:1], 0
.LBB55_978:
	s_andn2_b64 vcc, exec, s[0:1]
	s_cbranch_vccnz .LBB55_994
; %bb.979:
	v_cmp_lt_i16_e64 s[4:5], s3, 2
	s_mov_b64 s[0:1], -1
	s_and_b64 vcc, exec, s[4:5]
	s_cbranch_vccnz .LBB55_989
; %bb.980:
	v_cmp_lt_i16_e64 s[4:5], s3, 3
	s_and_b64 vcc, exec, s[4:5]
	s_cbranch_vccnz .LBB55_986
; %bb.981:
	v_cmp_gt_i16_e64 s[4:5], s3, 3
	s_and_b64 vcc, exec, s[4:5]
	s_cbranch_vccz .LBB55_983
; %bb.982:
	v_trunc_f32_e32 v2, s2
	s_mov_b32 s0, 0x2f800000
	v_mul_f32_e64 v3, |v2|, s0
	v_floor_f32_e32 v3, v3
	s_mov_b32 s0, 0xcf800000
	v_fma_f32 v4, v3, s0, |v2|
	v_cvt_u32_f32_e32 v4, v4
	v_cvt_u32_f32_e32 v3, v3
	v_ashrrev_i32_e32 v5, 31, v2
	s_mov_b64 s[0:1], 0
	v_xor_b32_e32 v2, v4, v5
	v_xor_b32_e32 v3, v3, v5
	v_sub_co_u32_e32 v2, vcc, v2, v5
	v_subb_co_u32_e32 v3, vcc, v3, v5, vcc
	global_store_dwordx2 v[0:1], v[2:3], off
.LBB55_983:
	s_andn2_b64 vcc, exec, s[0:1]
	s_cbranch_vccnz .LBB55_985
; %bb.984:
	v_cvt_i32_f32_e32 v2, s2
	global_store_dword v[0:1], v2, off
.LBB55_985:
	s_mov_b64 s[0:1], 0
.LBB55_986:
	s_andn2_b64 vcc, exec, s[0:1]
	s_cbranch_vccnz .LBB55_988
; %bb.987:
	v_cvt_i32_f32_e32 v2, s2
	global_store_short v[0:1], v2, off
.LBB55_988:
	s_mov_b64 s[0:1], 0
.LBB55_989:
	s_andn2_b64 vcc, exec, s[0:1]
	s_cbranch_vccnz .LBB55_994
; %bb.990:
	v_cmp_gt_i16_e64 s[4:5], s3, 0
	s_mov_b64 s[0:1], -1
	s_and_b64 vcc, exec, s[4:5]
	s_cbranch_vccz .LBB55_992
; %bb.991:
	v_cvt_i32_f32_e32 v2, s2
	s_mov_b64 s[0:1], 0
	global_store_byte v[0:1], v2, off
.LBB55_992:
	s_andn2_b64 vcc, exec, s[0:1]
	s_cbranch_vccnz .LBB55_994
; %bb.993:
	v_trunc_f32_e32 v2, s2
	s_mov_b32 s0, 0x2f800000
	v_mul_f32_e64 v3, |v2|, s0
	v_floor_f32_e32 v3, v3
	s_mov_b32 s0, 0xcf800000
	v_fma_f32 v3, v3, s0, |v2|
	v_cvt_u32_f32_e32 v3, v3
	v_ashrrev_i32_e32 v2, 31, v2
	v_xor_b32_e32 v3, v3, v2
	v_sub_u32_e32 v2, v3, v2
	global_store_byte v[0:1], v2, off
	s_endpgm
.LBB55_994:
	s_endpgm
.LBB55_995:
	s_trap 2
	s_or_b64 s[4:5], s[4:5], exec
	s_cbranch_execz .LBB55_910
	s_branch .LBB55_911
.LBB55_996:
	s_mov_b64 s[10:11], -1
	s_mov_b64 s[8:9], 0
                                        ; implicit-def: $sgpr12
.LBB55_997:
	s_andn2_b64 vcc, exec, s[10:11]
	v_mov_b32_e32 v2, s12
                                        ; implicit-def: $sgpr10
	s_cbranch_vccnz .LBB55_999
; %bb.998:
	v_mov_b32_e32 v2, 0x42800000
	v_add_f32_e64 v2, |s2|, v2
	v_and_b32_e32 v2, 0xff, v2
	s_mov_b32 s10, 0
	v_cmp_ne_u32_e64 s[8:9], 0, v2
.LBB55_999:
	s_andn2_b64 vcc, exec, s[8:9]
	v_mov_b32_e32 v3, s10
	s_cbranch_vccnz .LBB55_1001
; %bb.1000:
	s_lshr_b32 s8, s2, 24
	s_and_b32 s8, s8, 0x80
	v_or_b32_e32 v3, s8, v2
.LBB55_1001:
	s_mov_b64 s[8:9], 0
	global_store_byte v[0:1], v3, off
.LBB55_1002:
	s_and_b64 vcc, exec, s[8:9]
	s_cbranch_vccz .LBB55_1014
; %bb.1003:
	s_and_b32 s10, s2, 0x7fffffff
	s_cmp_lt_u32 s10, 0x43f00000
	s_cbranch_scc0 .LBB55_1006
; %bb.1004:
	s_cmp_gt_u32 s10, 0x3c7fffff
	s_cbranch_scc0 .LBB55_1007
; %bb.1005:
	s_bfe_u32 s8, s2, 0x10014
	s_add_i32 s8, s2, s8
	s_add_i32 s8, s8, 0x407ffff
	s_lshr_b32 s9, s8, 20
	s_and_b32 s8, s8, 0xff00000
	s_cmp_lg_u32 s8, 0x7f00000
	s_cselect_b32 s11, s9, 0x7e
	s_mov_b64 s[8:9], 0
	s_branch .LBB55_1008
.LBB55_1006:
	s_mov_b64 s[8:9], -1
                                        ; implicit-def: $vgpr2
	s_branch .LBB55_1011
.LBB55_1007:
	s_mov_b64 s[8:9], -1
                                        ; implicit-def: $sgpr11
.LBB55_1008:
	s_andn2_b64 vcc, exec, s[8:9]
	v_mov_b32_e32 v2, s11
	s_cbranch_vccnz .LBB55_1010
; %bb.1009:
	v_mov_b32_e32 v2, 0x46800000
	v_add_f32_e64 v2, |s2|, v2
.LBB55_1010:
	s_mov_b64 s[8:9], 0
.LBB55_1011:
	s_andn2_b64 vcc, exec, s[8:9]
	s_cbranch_vccnz .LBB55_1013
; %bb.1012:
	s_cmp_gt_u32 s10, 0x7f800000
	s_movk_i32 s8, 0x7f
	s_cselect_b32 s8, s8, 0x7e
	v_mov_b32_e32 v2, s8
.LBB55_1013:
	s_lshr_b32 s8, s2, 24
	s_and_b32 s8, s8, 0x80
	v_or_b32_e32 v2, s8, v2
	global_store_byte v[0:1], v2, off
.LBB55_1014:
	s_mov_b64 s[8:9], 0
.LBB55_1015:
	s_andn2_b64 vcc, exec, s[8:9]
	s_cbranch_vccnz .LBB55_1027
; %bb.1016:
	s_and_b32 s10, s2, 0x7fffffff
	s_cmp_lt_u32 s10, 0x47800000
	s_cbranch_scc0 .LBB55_1019
; %bb.1017:
	s_cmp_gt_u32 s10, 0x387fffff
	s_cbranch_scc0 .LBB55_1020
; %bb.1018:
	s_bfe_u32 s8, s2, 0x10015
	s_add_i32 s8, s2, s8
	s_add_i32 s8, s8, 0x80fffff
	s_lshr_b32 s11, s8, 21
	s_mov_b64 s[8:9], 0
	s_branch .LBB55_1021
.LBB55_1019:
	s_mov_b64 s[8:9], -1
                                        ; implicit-def: $vgpr2
	s_branch .LBB55_1024
.LBB55_1020:
	s_mov_b64 s[8:9], -1
                                        ; implicit-def: $sgpr11
.LBB55_1021:
	s_andn2_b64 vcc, exec, s[8:9]
	v_mov_b32_e32 v2, s11
	s_cbranch_vccnz .LBB55_1023
; %bb.1022:
	v_mov_b32_e32 v2, 0x43000000
	v_add_f32_e64 v2, |s2|, v2
.LBB55_1023:
	s_mov_b64 s[8:9], 0
.LBB55_1024:
	s_andn2_b64 vcc, exec, s[8:9]
	s_cbranch_vccnz .LBB55_1026
; %bb.1025:
	s_cmp_gt_u32 s10, 0x7f800000
	s_movk_i32 s8, 0x7f
	s_cselect_b32 s8, s8, 0x7c
	v_mov_b32_e32 v2, s8
.LBB55_1026:
	s_lshr_b32 s8, s2, 24
	s_and_b32 s8, s8, 0x80
	v_or_b32_e32 v2, s8, v2
	global_store_byte v[0:1], v2, off
.LBB55_1027:
	s_mov_b64 s[8:9], 0
.LBB55_1028:
	s_andn2_b64 vcc, exec, s[8:9]
	s_mov_b64 s[8:9], 0
	s_cbranch_vccnz .LBB55_1035
; %bb.1029:
	v_cmp_gt_i16_e64 s[8:9], s3, 14
	s_mov_b64 s[10:11], -1
	s_and_b64 vcc, exec, s[8:9]
	s_cbranch_vccz .LBB55_1033
; %bb.1030:
	v_cmp_eq_u16_e64 s[8:9], s3, 15
	s_mov_b64 s[0:1], -1
	s_and_b64 vcc, exec, s[8:9]
	s_cbranch_vccz .LBB55_1032
; %bb.1031:
	s_bfe_u32 s0, s2, 0x10010
	s_add_i32 s0, s2, s0
	s_addk_i32 s0, 0x7fff
	s_lshr_b32 s8, s0, 16
	v_cmp_o_f32_e64 s[0:1], s2, s2
	s_and_b64 s[0:1], s[0:1], exec
	s_cselect_b32 s0, s8, 0x7fc0
	v_mov_b32_e32 v2, s0
	global_store_short v[0:1], v2, off
	s_mov_b64 s[0:1], 0
.LBB55_1032:
	s_mov_b64 s[10:11], 0
.LBB55_1033:
	s_mov_b64 s[8:9], 0
	s_and_b64 vcc, exec, s[10:11]
	s_cbranch_vccz .LBB55_1035
; %bb.1034:
	v_cmp_ne_u16_e64 s[0:1], s3, 11
	s_mov_b64 s[8:9], -1
.LBB55_1035:
	s_and_b64 vcc, exec, s[0:1]
	s_cbranch_vccnz .LBB55_1037
.LBB55_1036:
	s_mov_b64 s[0:1], 0
	s_branch .LBB55_951
.LBB55_1037:
	s_mov_b64 s[8:9], 0
	s_or_b64 s[4:5], s[4:5], exec
	s_trap 2
	s_branch .LBB55_1036
	.section	.rodata,"a",@progbits
	.p2align	6, 0x0
	.amdhsa_kernel _ZN2at6native32elementwise_kernel_manual_unrollILi128ELi4EZNS0_15gpu_kernel_implINS0_11FillFunctorIfEEEEvRNS_18TensorIteratorBaseERKT_EUlibE0_EEviT1_
		.amdhsa_group_segment_fixed_size 0
		.amdhsa_private_segment_fixed_size 0
		.amdhsa_kernarg_size 288
		.amdhsa_user_sgpr_count 6
		.amdhsa_user_sgpr_private_segment_buffer 1
		.amdhsa_user_sgpr_dispatch_ptr 0
		.amdhsa_user_sgpr_queue_ptr 0
		.amdhsa_user_sgpr_kernarg_segment_ptr 1
		.amdhsa_user_sgpr_dispatch_id 0
		.amdhsa_user_sgpr_flat_scratch_init 0
		.amdhsa_user_sgpr_kernarg_preload_length 0
		.amdhsa_user_sgpr_kernarg_preload_offset 0
		.amdhsa_user_sgpr_private_segment_size 0
		.amdhsa_uses_dynamic_stack 0
		.amdhsa_system_sgpr_private_segment_wavefront_offset 0
		.amdhsa_system_sgpr_workgroup_id_x 1
		.amdhsa_system_sgpr_workgroup_id_y 0
		.amdhsa_system_sgpr_workgroup_id_z 0
		.amdhsa_system_sgpr_workgroup_info 0
		.amdhsa_system_vgpr_workitem_id 0
		.amdhsa_next_free_vgpr 18
		.amdhsa_next_free_sgpr 96
		.amdhsa_accum_offset 20
		.amdhsa_reserve_vcc 1
		.amdhsa_reserve_flat_scratch 0
		.amdhsa_float_round_mode_32 0
		.amdhsa_float_round_mode_16_64 0
		.amdhsa_float_denorm_mode_32 3
		.amdhsa_float_denorm_mode_16_64 3
		.amdhsa_dx10_clamp 1
		.amdhsa_ieee_mode 1
		.amdhsa_fp16_overflow 0
		.amdhsa_tg_split 0
		.amdhsa_exception_fp_ieee_invalid_op 0
		.amdhsa_exception_fp_denorm_src 0
		.amdhsa_exception_fp_ieee_div_zero 0
		.amdhsa_exception_fp_ieee_overflow 0
		.amdhsa_exception_fp_ieee_underflow 0
		.amdhsa_exception_fp_ieee_inexact 0
		.amdhsa_exception_int_div_zero 0
	.end_amdhsa_kernel
	.section	.text._ZN2at6native32elementwise_kernel_manual_unrollILi128ELi4EZNS0_15gpu_kernel_implINS0_11FillFunctorIfEEEEvRNS_18TensorIteratorBaseERKT_EUlibE0_EEviT1_,"axG",@progbits,_ZN2at6native32elementwise_kernel_manual_unrollILi128ELi4EZNS0_15gpu_kernel_implINS0_11FillFunctorIfEEEEvRNS_18TensorIteratorBaseERKT_EUlibE0_EEviT1_,comdat
.Lfunc_end55:
	.size	_ZN2at6native32elementwise_kernel_manual_unrollILi128ELi4EZNS0_15gpu_kernel_implINS0_11FillFunctorIfEEEEvRNS_18TensorIteratorBaseERKT_EUlibE0_EEviT1_, .Lfunc_end55-_ZN2at6native32elementwise_kernel_manual_unrollILi128ELi4EZNS0_15gpu_kernel_implINS0_11FillFunctorIfEEEEvRNS_18TensorIteratorBaseERKT_EUlibE0_EEviT1_
                                        ; -- End function
	.section	.AMDGPU.csdata,"",@progbits
; Kernel info:
; codeLenInByte = 18976
; NumSgprs: 100
; NumVgprs: 18
; NumAgprs: 0
; TotalNumVgprs: 18
; ScratchSize: 0
; MemoryBound: 0
; FloatMode: 240
; IeeeMode: 1
; LDSByteSize: 0 bytes/workgroup (compile time only)
; SGPRBlocks: 12
; VGPRBlocks: 2
; NumSGPRsForWavesPerEU: 100
; NumVGPRsForWavesPerEU: 18
; AccumOffset: 20
; Occupancy: 8
; WaveLimiterHint : 1
; COMPUTE_PGM_RSRC2:SCRATCH_EN: 0
; COMPUTE_PGM_RSRC2:USER_SGPR: 6
; COMPUTE_PGM_RSRC2:TRAP_HANDLER: 0
; COMPUTE_PGM_RSRC2:TGID_X_EN: 1
; COMPUTE_PGM_RSRC2:TGID_Y_EN: 0
; COMPUTE_PGM_RSRC2:TGID_Z_EN: 0
; COMPUTE_PGM_RSRC2:TIDIG_COMP_CNT: 0
; COMPUTE_PGM_RSRC3_GFX90A:ACCUM_OFFSET: 4
; COMPUTE_PGM_RSRC3_GFX90A:TG_SPLIT: 0
	.section	.text._ZN2at6native29vectorized_elementwise_kernelILi16ENS0_11FillFunctorIN3c107complexIdEEEESt5arrayIPcLm1EEEEviT0_T1_,"axG",@progbits,_ZN2at6native29vectorized_elementwise_kernelILi16ENS0_11FillFunctorIN3c107complexIdEEEESt5arrayIPcLm1EEEEviT0_T1_,comdat
	.protected	_ZN2at6native29vectorized_elementwise_kernelILi16ENS0_11FillFunctorIN3c107complexIdEEEESt5arrayIPcLm1EEEEviT0_T1_ ; -- Begin function _ZN2at6native29vectorized_elementwise_kernelILi16ENS0_11FillFunctorIN3c107complexIdEEEESt5arrayIPcLm1EEEEviT0_T1_
	.globl	_ZN2at6native29vectorized_elementwise_kernelILi16ENS0_11FillFunctorIN3c107complexIdEEEESt5arrayIPcLm1EEEEviT0_T1_
	.p2align	8
	.type	_ZN2at6native29vectorized_elementwise_kernelILi16ENS0_11FillFunctorIN3c107complexIdEEEESt5arrayIPcLm1EEEEviT0_T1_,@function
_ZN2at6native29vectorized_elementwise_kernelILi16ENS0_11FillFunctorIN3c107complexIdEEEESt5arrayIPcLm1EEEEviT0_T1_: ; @_ZN2at6native29vectorized_elementwise_kernelILi16ENS0_11FillFunctorIN3c107complexIdEEEESt5arrayIPcLm1EEEEviT0_T1_
; %bb.0:
	s_load_dword s7, s[4:5], 0x0
	s_load_dwordx4 s[0:3], s[4:5], 0x10
	s_load_dwordx2 s[8:9], s[4:5], 0x20
	s_lshl_b32 s4, s6, 10
	s_waitcnt lgkmcnt(0)
	s_sub_i32 s10, s7, s4
	s_cmpk_gt_i32 s10, 0x3ff
	s_mov_b64 s[6:7], -1
	s_cbranch_scc0 .LBB56_2
; %bb.1:
	s_ashr_i32 s5, s4, 31
	s_lshl_b64 s[6:7], s[4:5], 4
	s_add_u32 s6, s8, s6
	v_pk_mov_b32 v[4:5], s[2:3], s[2:3] op_sel:[0,1]
	s_addc_u32 s7, s9, s7
	v_lshlrev_b32_e32 v1, 6, v0
	v_pk_mov_b32 v[2:3], s[0:1], s[0:1] op_sel:[0,1]
	global_store_dwordx4 v1, v[2:5], s[6:7]
	global_store_dwordx4 v1, v[2:5], s[6:7] offset:16
	global_store_dwordx4 v1, v[2:5], s[6:7] offset:32
	global_store_dwordx4 v1, v[2:5], s[6:7] offset:48
	s_mov_b64 s[6:7], 0
.LBB56_2:
	s_andn2_b64 vcc, exec, s[6:7]
	s_cbranch_vccnz .LBB56_8
; %bb.3:
	v_cmp_gt_i32_e32 vcc, s10, v0
	v_or_b32_e32 v2, 0x100, v0
	v_mov_b32_e32 v1, v0
	s_and_saveexec_b64 s[6:7], vcc
	s_cbranch_execnz .LBB56_9
; %bb.4:
	s_or_b64 exec, exec, s[6:7]
	v_cmp_gt_i32_e32 vcc, s10, v1
	s_and_saveexec_b64 s[6:7], vcc
	s_cbranch_execnz .LBB56_10
.LBB56_5:
	s_or_b64 exec, exec, s[6:7]
	v_cmp_gt_i32_e32 vcc, s10, v1
	s_and_saveexec_b64 s[6:7], vcc
	s_cbranch_execnz .LBB56_11
.LBB56_6:
	s_or_b64 exec, exec, s[6:7]
	v_cmp_gt_i32_e32 vcc, s10, v1
	s_and_saveexec_b64 s[6:7], vcc
	s_cbranch_execz .LBB56_8
.LBB56_7:
	v_or_b32_e32 v0, 0x300, v0
	v_cmp_gt_i32_e32 vcc, s10, v0
	v_mov_b32_e32 v0, s2
	v_cndmask_b32_e32 v4, 0, v0, vcc
	v_mov_b32_e32 v0, s1
	v_mov_b32_e32 v2, s3
	v_cndmask_b32_e32 v3, 0, v0, vcc
	v_mov_b32_e32 v0, s0
	v_cndmask_b32_e32 v5, 0, v2, vcc
	v_cndmask_b32_e32 v2, 0, v0, vcc
	v_add_u32_e32 v0, s4, v1
	v_mov_b32_e32 v1, 0
	v_lshlrev_b64 v[0:1], 4, v[0:1]
	v_mov_b32_e32 v6, s9
	v_add_co_u32_e32 v0, vcc, s8, v0
	v_addc_co_u32_e32 v1, vcc, v6, v1, vcc
	global_store_dwordx4 v[0:1], v[2:5], off
.LBB56_8:
	s_endpgm
.LBB56_9:
	v_or_b32_e32 v4, s4, v0
	v_mov_b32_e32 v5, 0
	v_lshlrev_b64 v[4:5], 4, v[4:5]
	v_mov_b32_e32 v1, s9
	v_add_co_u32_e32 v8, vcc, s8, v4
	v_addc_co_u32_e32 v9, vcc, v1, v5, vcc
	v_mov_b32_e32 v4, s0
	v_mov_b32_e32 v5, s1
	;; [unrolled: 1-line block ×5, first 2 shown]
	global_store_dwordx4 v[8:9], v[4:7], off
	s_or_b64 exec, exec, s[6:7]
	v_cmp_gt_i32_e32 vcc, s10, v1
	s_and_saveexec_b64 s[6:7], vcc
	s_cbranch_execz .LBB56_5
.LBB56_10:
	v_cmp_gt_i32_e32 vcc, s10, v2
	v_mov_b32_e32 v2, s2
	v_mov_b32_e32 v3, s3
	v_cndmask_b32_e32 v4, 0, v2, vcc
	v_mov_b32_e32 v2, s1
	v_add_u32_e32 v6, s4, v1
	v_mov_b32_e32 v7, 0
	v_cndmask_b32_e32 v5, 0, v3, vcc
	v_cndmask_b32_e32 v3, 0, v2, vcc
	v_mov_b32_e32 v2, s0
	v_lshlrev_b64 v[6:7], 4, v[6:7]
	v_cndmask_b32_e32 v2, 0, v2, vcc
	v_mov_b32_e32 v8, s9
	v_add_co_u32_e32 v6, vcc, s8, v6
	v_addc_co_u32_e32 v7, vcc, v8, v7, vcc
	v_add_u32_e32 v1, 0x100, v1
	global_store_dwordx4 v[6:7], v[2:5], off
	s_or_b64 exec, exec, s[6:7]
	v_cmp_gt_i32_e32 vcc, s10, v1
	s_and_saveexec_b64 s[6:7], vcc
	s_cbranch_execz .LBB56_6
.LBB56_11:
	v_or_b32_e32 v2, 0x200, v0
	v_cmp_gt_i32_e32 vcc, s10, v2
	v_mov_b32_e32 v2, s2
	v_mov_b32_e32 v3, s3
	v_cndmask_b32_e32 v4, 0, v2, vcc
	v_mov_b32_e32 v2, s1
	v_add_u32_e32 v6, s4, v1
	v_mov_b32_e32 v7, 0
	v_cndmask_b32_e32 v5, 0, v3, vcc
	v_cndmask_b32_e32 v3, 0, v2, vcc
	v_mov_b32_e32 v2, s0
	v_lshlrev_b64 v[6:7], 4, v[6:7]
	v_cndmask_b32_e32 v2, 0, v2, vcc
	v_mov_b32_e32 v8, s9
	v_add_co_u32_e32 v6, vcc, s8, v6
	v_addc_co_u32_e32 v7, vcc, v8, v7, vcc
	v_add_u32_e32 v1, 0x100, v1
	global_store_dwordx4 v[6:7], v[2:5], off
	s_or_b64 exec, exec, s[6:7]
	v_cmp_gt_i32_e32 vcc, s10, v1
	s_and_saveexec_b64 s[6:7], vcc
	s_cbranch_execnz .LBB56_7
	s_branch .LBB56_8
	.section	.rodata,"a",@progbits
	.p2align	6, 0x0
	.amdhsa_kernel _ZN2at6native29vectorized_elementwise_kernelILi16ENS0_11FillFunctorIN3c107complexIdEEEESt5arrayIPcLm1EEEEviT0_T1_
		.amdhsa_group_segment_fixed_size 0
		.amdhsa_private_segment_fixed_size 0
		.amdhsa_kernarg_size 40
		.amdhsa_user_sgpr_count 6
		.amdhsa_user_sgpr_private_segment_buffer 1
		.amdhsa_user_sgpr_dispatch_ptr 0
		.amdhsa_user_sgpr_queue_ptr 0
		.amdhsa_user_sgpr_kernarg_segment_ptr 1
		.amdhsa_user_sgpr_dispatch_id 0
		.amdhsa_user_sgpr_flat_scratch_init 0
		.amdhsa_user_sgpr_kernarg_preload_length 0
		.amdhsa_user_sgpr_kernarg_preload_offset 0
		.amdhsa_user_sgpr_private_segment_size 0
		.amdhsa_uses_dynamic_stack 0
		.amdhsa_system_sgpr_private_segment_wavefront_offset 0
		.amdhsa_system_sgpr_workgroup_id_x 1
		.amdhsa_system_sgpr_workgroup_id_y 0
		.amdhsa_system_sgpr_workgroup_id_z 0
		.amdhsa_system_sgpr_workgroup_info 0
		.amdhsa_system_vgpr_workitem_id 0
		.amdhsa_next_free_vgpr 10
		.amdhsa_next_free_sgpr 11
		.amdhsa_accum_offset 12
		.amdhsa_reserve_vcc 1
		.amdhsa_reserve_flat_scratch 0
		.amdhsa_float_round_mode_32 0
		.amdhsa_float_round_mode_16_64 0
		.amdhsa_float_denorm_mode_32 3
		.amdhsa_float_denorm_mode_16_64 3
		.amdhsa_dx10_clamp 1
		.amdhsa_ieee_mode 1
		.amdhsa_fp16_overflow 0
		.amdhsa_tg_split 0
		.amdhsa_exception_fp_ieee_invalid_op 0
		.amdhsa_exception_fp_denorm_src 0
		.amdhsa_exception_fp_ieee_div_zero 0
		.amdhsa_exception_fp_ieee_overflow 0
		.amdhsa_exception_fp_ieee_underflow 0
		.amdhsa_exception_fp_ieee_inexact 0
		.amdhsa_exception_int_div_zero 0
	.end_amdhsa_kernel
	.section	.text._ZN2at6native29vectorized_elementwise_kernelILi16ENS0_11FillFunctorIN3c107complexIdEEEESt5arrayIPcLm1EEEEviT0_T1_,"axG",@progbits,_ZN2at6native29vectorized_elementwise_kernelILi16ENS0_11FillFunctorIN3c107complexIdEEEESt5arrayIPcLm1EEEEviT0_T1_,comdat
.Lfunc_end56:
	.size	_ZN2at6native29vectorized_elementwise_kernelILi16ENS0_11FillFunctorIN3c107complexIdEEEESt5arrayIPcLm1EEEEviT0_T1_, .Lfunc_end56-_ZN2at6native29vectorized_elementwise_kernelILi16ENS0_11FillFunctorIN3c107complexIdEEEESt5arrayIPcLm1EEEEviT0_T1_
                                        ; -- End function
	.section	.AMDGPU.csdata,"",@progbits
; Kernel info:
; codeLenInByte = 560
; NumSgprs: 15
; NumVgprs: 10
; NumAgprs: 0
; TotalNumVgprs: 10
; ScratchSize: 0
; MemoryBound: 0
; FloatMode: 240
; IeeeMode: 1
; LDSByteSize: 0 bytes/workgroup (compile time only)
; SGPRBlocks: 1
; VGPRBlocks: 1
; NumSGPRsForWavesPerEU: 15
; NumVGPRsForWavesPerEU: 10
; AccumOffset: 12
; Occupancy: 8
; WaveLimiterHint : 0
; COMPUTE_PGM_RSRC2:SCRATCH_EN: 0
; COMPUTE_PGM_RSRC2:USER_SGPR: 6
; COMPUTE_PGM_RSRC2:TRAP_HANDLER: 0
; COMPUTE_PGM_RSRC2:TGID_X_EN: 1
; COMPUTE_PGM_RSRC2:TGID_Y_EN: 0
; COMPUTE_PGM_RSRC2:TGID_Z_EN: 0
; COMPUTE_PGM_RSRC2:TIDIG_COMP_CNT: 0
; COMPUTE_PGM_RSRC3_GFX90A:ACCUM_OFFSET: 2
; COMPUTE_PGM_RSRC3_GFX90A:TG_SPLIT: 0
	.section	.text._ZN2at6native29vectorized_elementwise_kernelILi8ENS0_11FillFunctorIN3c107complexIdEEEESt5arrayIPcLm1EEEEviT0_T1_,"axG",@progbits,_ZN2at6native29vectorized_elementwise_kernelILi8ENS0_11FillFunctorIN3c107complexIdEEEESt5arrayIPcLm1EEEEviT0_T1_,comdat
	.protected	_ZN2at6native29vectorized_elementwise_kernelILi8ENS0_11FillFunctorIN3c107complexIdEEEESt5arrayIPcLm1EEEEviT0_T1_ ; -- Begin function _ZN2at6native29vectorized_elementwise_kernelILi8ENS0_11FillFunctorIN3c107complexIdEEEESt5arrayIPcLm1EEEEviT0_T1_
	.globl	_ZN2at6native29vectorized_elementwise_kernelILi8ENS0_11FillFunctorIN3c107complexIdEEEESt5arrayIPcLm1EEEEviT0_T1_
	.p2align	8
	.type	_ZN2at6native29vectorized_elementwise_kernelILi8ENS0_11FillFunctorIN3c107complexIdEEEESt5arrayIPcLm1EEEEviT0_T1_,@function
_ZN2at6native29vectorized_elementwise_kernelILi8ENS0_11FillFunctorIN3c107complexIdEEEESt5arrayIPcLm1EEEEviT0_T1_: ; @_ZN2at6native29vectorized_elementwise_kernelILi8ENS0_11FillFunctorIN3c107complexIdEEEESt5arrayIPcLm1EEEEviT0_T1_
; %bb.0:
	s_load_dword s7, s[4:5], 0x0
	s_load_dwordx4 s[0:3], s[4:5], 0x10
	s_load_dwordx2 s[8:9], s[4:5], 0x20
	s_lshl_b32 s4, s6, 10
	s_waitcnt lgkmcnt(0)
	s_sub_i32 s10, s7, s4
	s_cmpk_gt_i32 s10, 0x3ff
	s_mov_b64 s[6:7], -1
	s_cbranch_scc0 .LBB57_2
; %bb.1:
	s_ashr_i32 s5, s4, 31
	s_lshl_b64 s[6:7], s[4:5], 4
	s_add_u32 s6, s8, s6
	v_pk_mov_b32 v[4:5], s[2:3], s[2:3] op_sel:[0,1]
	s_addc_u32 s7, s9, s7
	v_lshlrev_b32_e32 v1, 6, v0
	v_pk_mov_b32 v[2:3], s[0:1], s[0:1] op_sel:[0,1]
	global_store_dwordx4 v1, v[2:5], s[6:7]
	global_store_dwordx4 v1, v[2:5], s[6:7] offset:16
	global_store_dwordx4 v1, v[2:5], s[6:7] offset:32
	;; [unrolled: 1-line block ×3, first 2 shown]
	s_mov_b64 s[6:7], 0
.LBB57_2:
	s_andn2_b64 vcc, exec, s[6:7]
	s_cbranch_vccnz .LBB57_8
; %bb.3:
	v_cmp_gt_i32_e32 vcc, s10, v0
	v_or_b32_e32 v2, 0x100, v0
	v_mov_b32_e32 v1, v0
	s_and_saveexec_b64 s[6:7], vcc
	s_cbranch_execnz .LBB57_9
; %bb.4:
	s_or_b64 exec, exec, s[6:7]
	v_cmp_gt_i32_e32 vcc, s10, v1
	s_and_saveexec_b64 s[6:7], vcc
	s_cbranch_execnz .LBB57_10
.LBB57_5:
	s_or_b64 exec, exec, s[6:7]
	v_cmp_gt_i32_e32 vcc, s10, v1
	s_and_saveexec_b64 s[6:7], vcc
	s_cbranch_execnz .LBB57_11
.LBB57_6:
	s_or_b64 exec, exec, s[6:7]
	v_cmp_gt_i32_e32 vcc, s10, v1
	s_and_saveexec_b64 s[6:7], vcc
	s_cbranch_execz .LBB57_8
.LBB57_7:
	v_or_b32_e32 v0, 0x300, v0
	v_cmp_gt_i32_e32 vcc, s10, v0
	v_mov_b32_e32 v0, s2
	v_cndmask_b32_e32 v4, 0, v0, vcc
	v_mov_b32_e32 v0, s1
	v_mov_b32_e32 v2, s3
	v_cndmask_b32_e32 v3, 0, v0, vcc
	v_mov_b32_e32 v0, s0
	v_cndmask_b32_e32 v5, 0, v2, vcc
	v_cndmask_b32_e32 v2, 0, v0, vcc
	v_add_u32_e32 v0, s4, v1
	v_mov_b32_e32 v1, 0
	v_lshlrev_b64 v[0:1], 4, v[0:1]
	v_mov_b32_e32 v6, s9
	v_add_co_u32_e32 v0, vcc, s8, v0
	v_addc_co_u32_e32 v1, vcc, v6, v1, vcc
	global_store_dwordx4 v[0:1], v[2:5], off
.LBB57_8:
	s_endpgm
.LBB57_9:
	v_or_b32_e32 v4, s4, v0
	v_mov_b32_e32 v5, 0
	v_lshlrev_b64 v[4:5], 4, v[4:5]
	v_mov_b32_e32 v1, s9
	v_add_co_u32_e32 v8, vcc, s8, v4
	v_addc_co_u32_e32 v9, vcc, v1, v5, vcc
	v_mov_b32_e32 v4, s0
	v_mov_b32_e32 v5, s1
	;; [unrolled: 1-line block ×5, first 2 shown]
	global_store_dwordx4 v[8:9], v[4:7], off
	s_or_b64 exec, exec, s[6:7]
	v_cmp_gt_i32_e32 vcc, s10, v1
	s_and_saveexec_b64 s[6:7], vcc
	s_cbranch_execz .LBB57_5
.LBB57_10:
	v_cmp_gt_i32_e32 vcc, s10, v2
	v_mov_b32_e32 v2, s2
	v_mov_b32_e32 v3, s3
	v_cndmask_b32_e32 v4, 0, v2, vcc
	v_mov_b32_e32 v2, s1
	v_add_u32_e32 v6, s4, v1
	v_mov_b32_e32 v7, 0
	v_cndmask_b32_e32 v5, 0, v3, vcc
	v_cndmask_b32_e32 v3, 0, v2, vcc
	v_mov_b32_e32 v2, s0
	v_lshlrev_b64 v[6:7], 4, v[6:7]
	v_cndmask_b32_e32 v2, 0, v2, vcc
	v_mov_b32_e32 v8, s9
	v_add_co_u32_e32 v6, vcc, s8, v6
	v_addc_co_u32_e32 v7, vcc, v8, v7, vcc
	v_add_u32_e32 v1, 0x100, v1
	global_store_dwordx4 v[6:7], v[2:5], off
	s_or_b64 exec, exec, s[6:7]
	v_cmp_gt_i32_e32 vcc, s10, v1
	s_and_saveexec_b64 s[6:7], vcc
	s_cbranch_execz .LBB57_6
.LBB57_11:
	v_or_b32_e32 v2, 0x200, v0
	v_cmp_gt_i32_e32 vcc, s10, v2
	v_mov_b32_e32 v2, s2
	v_mov_b32_e32 v3, s3
	v_cndmask_b32_e32 v4, 0, v2, vcc
	v_mov_b32_e32 v2, s1
	v_add_u32_e32 v6, s4, v1
	v_mov_b32_e32 v7, 0
	v_cndmask_b32_e32 v5, 0, v3, vcc
	v_cndmask_b32_e32 v3, 0, v2, vcc
	v_mov_b32_e32 v2, s0
	v_lshlrev_b64 v[6:7], 4, v[6:7]
	v_cndmask_b32_e32 v2, 0, v2, vcc
	v_mov_b32_e32 v8, s9
	v_add_co_u32_e32 v6, vcc, s8, v6
	v_addc_co_u32_e32 v7, vcc, v8, v7, vcc
	v_add_u32_e32 v1, 0x100, v1
	global_store_dwordx4 v[6:7], v[2:5], off
	s_or_b64 exec, exec, s[6:7]
	v_cmp_gt_i32_e32 vcc, s10, v1
	s_and_saveexec_b64 s[6:7], vcc
	s_cbranch_execnz .LBB57_7
	s_branch .LBB57_8
	.section	.rodata,"a",@progbits
	.p2align	6, 0x0
	.amdhsa_kernel _ZN2at6native29vectorized_elementwise_kernelILi8ENS0_11FillFunctorIN3c107complexIdEEEESt5arrayIPcLm1EEEEviT0_T1_
		.amdhsa_group_segment_fixed_size 0
		.amdhsa_private_segment_fixed_size 0
		.amdhsa_kernarg_size 40
		.amdhsa_user_sgpr_count 6
		.amdhsa_user_sgpr_private_segment_buffer 1
		.amdhsa_user_sgpr_dispatch_ptr 0
		.amdhsa_user_sgpr_queue_ptr 0
		.amdhsa_user_sgpr_kernarg_segment_ptr 1
		.amdhsa_user_sgpr_dispatch_id 0
		.amdhsa_user_sgpr_flat_scratch_init 0
		.amdhsa_user_sgpr_kernarg_preload_length 0
		.amdhsa_user_sgpr_kernarg_preload_offset 0
		.amdhsa_user_sgpr_private_segment_size 0
		.amdhsa_uses_dynamic_stack 0
		.amdhsa_system_sgpr_private_segment_wavefront_offset 0
		.amdhsa_system_sgpr_workgroup_id_x 1
		.amdhsa_system_sgpr_workgroup_id_y 0
		.amdhsa_system_sgpr_workgroup_id_z 0
		.amdhsa_system_sgpr_workgroup_info 0
		.amdhsa_system_vgpr_workitem_id 0
		.amdhsa_next_free_vgpr 10
		.amdhsa_next_free_sgpr 11
		.amdhsa_accum_offset 12
		.amdhsa_reserve_vcc 1
		.amdhsa_reserve_flat_scratch 0
		.amdhsa_float_round_mode_32 0
		.amdhsa_float_round_mode_16_64 0
		.amdhsa_float_denorm_mode_32 3
		.amdhsa_float_denorm_mode_16_64 3
		.amdhsa_dx10_clamp 1
		.amdhsa_ieee_mode 1
		.amdhsa_fp16_overflow 0
		.amdhsa_tg_split 0
		.amdhsa_exception_fp_ieee_invalid_op 0
		.amdhsa_exception_fp_denorm_src 0
		.amdhsa_exception_fp_ieee_div_zero 0
		.amdhsa_exception_fp_ieee_overflow 0
		.amdhsa_exception_fp_ieee_underflow 0
		.amdhsa_exception_fp_ieee_inexact 0
		.amdhsa_exception_int_div_zero 0
	.end_amdhsa_kernel
	.section	.text._ZN2at6native29vectorized_elementwise_kernelILi8ENS0_11FillFunctorIN3c107complexIdEEEESt5arrayIPcLm1EEEEviT0_T1_,"axG",@progbits,_ZN2at6native29vectorized_elementwise_kernelILi8ENS0_11FillFunctorIN3c107complexIdEEEESt5arrayIPcLm1EEEEviT0_T1_,comdat
.Lfunc_end57:
	.size	_ZN2at6native29vectorized_elementwise_kernelILi8ENS0_11FillFunctorIN3c107complexIdEEEESt5arrayIPcLm1EEEEviT0_T1_, .Lfunc_end57-_ZN2at6native29vectorized_elementwise_kernelILi8ENS0_11FillFunctorIN3c107complexIdEEEESt5arrayIPcLm1EEEEviT0_T1_
                                        ; -- End function
	.section	.AMDGPU.csdata,"",@progbits
; Kernel info:
; codeLenInByte = 560
; NumSgprs: 15
; NumVgprs: 10
; NumAgprs: 0
; TotalNumVgprs: 10
; ScratchSize: 0
; MemoryBound: 0
; FloatMode: 240
; IeeeMode: 1
; LDSByteSize: 0 bytes/workgroup (compile time only)
; SGPRBlocks: 1
; VGPRBlocks: 1
; NumSGPRsForWavesPerEU: 15
; NumVGPRsForWavesPerEU: 10
; AccumOffset: 12
; Occupancy: 8
; WaveLimiterHint : 0
; COMPUTE_PGM_RSRC2:SCRATCH_EN: 0
; COMPUTE_PGM_RSRC2:USER_SGPR: 6
; COMPUTE_PGM_RSRC2:TRAP_HANDLER: 0
; COMPUTE_PGM_RSRC2:TGID_X_EN: 1
; COMPUTE_PGM_RSRC2:TGID_Y_EN: 0
; COMPUTE_PGM_RSRC2:TGID_Z_EN: 0
; COMPUTE_PGM_RSRC2:TIDIG_COMP_CNT: 0
; COMPUTE_PGM_RSRC3_GFX90A:ACCUM_OFFSET: 2
; COMPUTE_PGM_RSRC3_GFX90A:TG_SPLIT: 0
	.section	.text._ZN2at6native29vectorized_elementwise_kernelILi4ENS0_11FillFunctorIN3c107complexIdEEEESt5arrayIPcLm1EEEEviT0_T1_,"axG",@progbits,_ZN2at6native29vectorized_elementwise_kernelILi4ENS0_11FillFunctorIN3c107complexIdEEEESt5arrayIPcLm1EEEEviT0_T1_,comdat
	.protected	_ZN2at6native29vectorized_elementwise_kernelILi4ENS0_11FillFunctorIN3c107complexIdEEEESt5arrayIPcLm1EEEEviT0_T1_ ; -- Begin function _ZN2at6native29vectorized_elementwise_kernelILi4ENS0_11FillFunctorIN3c107complexIdEEEESt5arrayIPcLm1EEEEviT0_T1_
	.globl	_ZN2at6native29vectorized_elementwise_kernelILi4ENS0_11FillFunctorIN3c107complexIdEEEESt5arrayIPcLm1EEEEviT0_T1_
	.p2align	8
	.type	_ZN2at6native29vectorized_elementwise_kernelILi4ENS0_11FillFunctorIN3c107complexIdEEEESt5arrayIPcLm1EEEEviT0_T1_,@function
_ZN2at6native29vectorized_elementwise_kernelILi4ENS0_11FillFunctorIN3c107complexIdEEEESt5arrayIPcLm1EEEEviT0_T1_: ; @_ZN2at6native29vectorized_elementwise_kernelILi4ENS0_11FillFunctorIN3c107complexIdEEEESt5arrayIPcLm1EEEEviT0_T1_
; %bb.0:
	s_load_dword s7, s[4:5], 0x0
	s_load_dwordx4 s[0:3], s[4:5], 0x10
	s_load_dwordx2 s[8:9], s[4:5], 0x20
	s_lshl_b32 s4, s6, 10
	s_waitcnt lgkmcnt(0)
	s_sub_i32 s10, s7, s4
	s_cmpk_gt_i32 s10, 0x3ff
	s_mov_b64 s[6:7], -1
	s_cbranch_scc0 .LBB58_2
; %bb.1:
	s_ashr_i32 s5, s4, 31
	s_lshl_b64 s[6:7], s[4:5], 4
	s_add_u32 s6, s8, s6
	v_pk_mov_b32 v[4:5], s[2:3], s[2:3] op_sel:[0,1]
	s_addc_u32 s7, s9, s7
	v_lshlrev_b32_e32 v1, 6, v0
	v_pk_mov_b32 v[2:3], s[0:1], s[0:1] op_sel:[0,1]
	global_store_dwordx4 v1, v[2:5], s[6:7]
	global_store_dwordx4 v1, v[2:5], s[6:7] offset:16
	global_store_dwordx4 v1, v[2:5], s[6:7] offset:32
	;; [unrolled: 1-line block ×3, first 2 shown]
	s_mov_b64 s[6:7], 0
.LBB58_2:
	s_andn2_b64 vcc, exec, s[6:7]
	s_cbranch_vccnz .LBB58_8
; %bb.3:
	v_cmp_gt_i32_e32 vcc, s10, v0
	v_or_b32_e32 v2, 0x100, v0
	v_mov_b32_e32 v1, v0
	s_and_saveexec_b64 s[6:7], vcc
	s_cbranch_execnz .LBB58_9
; %bb.4:
	s_or_b64 exec, exec, s[6:7]
	v_cmp_gt_i32_e32 vcc, s10, v1
	s_and_saveexec_b64 s[6:7], vcc
	s_cbranch_execnz .LBB58_10
.LBB58_5:
	s_or_b64 exec, exec, s[6:7]
	v_cmp_gt_i32_e32 vcc, s10, v1
	s_and_saveexec_b64 s[6:7], vcc
	s_cbranch_execnz .LBB58_11
.LBB58_6:
	s_or_b64 exec, exec, s[6:7]
	v_cmp_gt_i32_e32 vcc, s10, v1
	s_and_saveexec_b64 s[6:7], vcc
	s_cbranch_execz .LBB58_8
.LBB58_7:
	v_or_b32_e32 v0, 0x300, v0
	v_cmp_gt_i32_e32 vcc, s10, v0
	v_mov_b32_e32 v0, s2
	v_cndmask_b32_e32 v4, 0, v0, vcc
	v_mov_b32_e32 v0, s1
	v_mov_b32_e32 v2, s3
	v_cndmask_b32_e32 v3, 0, v0, vcc
	v_mov_b32_e32 v0, s0
	v_cndmask_b32_e32 v5, 0, v2, vcc
	v_cndmask_b32_e32 v2, 0, v0, vcc
	v_add_u32_e32 v0, s4, v1
	v_mov_b32_e32 v1, 0
	v_lshlrev_b64 v[0:1], 4, v[0:1]
	v_mov_b32_e32 v6, s9
	v_add_co_u32_e32 v0, vcc, s8, v0
	v_addc_co_u32_e32 v1, vcc, v6, v1, vcc
	global_store_dwordx4 v[0:1], v[2:5], off
.LBB58_8:
	s_endpgm
.LBB58_9:
	v_or_b32_e32 v4, s4, v0
	v_mov_b32_e32 v5, 0
	v_lshlrev_b64 v[4:5], 4, v[4:5]
	v_mov_b32_e32 v1, s9
	v_add_co_u32_e32 v8, vcc, s8, v4
	v_addc_co_u32_e32 v9, vcc, v1, v5, vcc
	v_mov_b32_e32 v4, s0
	v_mov_b32_e32 v5, s1
	v_mov_b32_e32 v6, s2
	v_mov_b32_e32 v7, s3
	v_mov_b32_e32 v1, v2
	global_store_dwordx4 v[8:9], v[4:7], off
	s_or_b64 exec, exec, s[6:7]
	v_cmp_gt_i32_e32 vcc, s10, v1
	s_and_saveexec_b64 s[6:7], vcc
	s_cbranch_execz .LBB58_5
.LBB58_10:
	v_cmp_gt_i32_e32 vcc, s10, v2
	v_mov_b32_e32 v2, s2
	v_mov_b32_e32 v3, s3
	v_cndmask_b32_e32 v4, 0, v2, vcc
	v_mov_b32_e32 v2, s1
	v_add_u32_e32 v6, s4, v1
	v_mov_b32_e32 v7, 0
	v_cndmask_b32_e32 v5, 0, v3, vcc
	v_cndmask_b32_e32 v3, 0, v2, vcc
	v_mov_b32_e32 v2, s0
	v_lshlrev_b64 v[6:7], 4, v[6:7]
	v_cndmask_b32_e32 v2, 0, v2, vcc
	v_mov_b32_e32 v8, s9
	v_add_co_u32_e32 v6, vcc, s8, v6
	v_addc_co_u32_e32 v7, vcc, v8, v7, vcc
	v_add_u32_e32 v1, 0x100, v1
	global_store_dwordx4 v[6:7], v[2:5], off
	s_or_b64 exec, exec, s[6:7]
	v_cmp_gt_i32_e32 vcc, s10, v1
	s_and_saveexec_b64 s[6:7], vcc
	s_cbranch_execz .LBB58_6
.LBB58_11:
	v_or_b32_e32 v2, 0x200, v0
	v_cmp_gt_i32_e32 vcc, s10, v2
	v_mov_b32_e32 v2, s2
	v_mov_b32_e32 v3, s3
	v_cndmask_b32_e32 v4, 0, v2, vcc
	v_mov_b32_e32 v2, s1
	v_add_u32_e32 v6, s4, v1
	v_mov_b32_e32 v7, 0
	v_cndmask_b32_e32 v5, 0, v3, vcc
	v_cndmask_b32_e32 v3, 0, v2, vcc
	v_mov_b32_e32 v2, s0
	v_lshlrev_b64 v[6:7], 4, v[6:7]
	v_cndmask_b32_e32 v2, 0, v2, vcc
	v_mov_b32_e32 v8, s9
	v_add_co_u32_e32 v6, vcc, s8, v6
	v_addc_co_u32_e32 v7, vcc, v8, v7, vcc
	v_add_u32_e32 v1, 0x100, v1
	global_store_dwordx4 v[6:7], v[2:5], off
	s_or_b64 exec, exec, s[6:7]
	v_cmp_gt_i32_e32 vcc, s10, v1
	s_and_saveexec_b64 s[6:7], vcc
	s_cbranch_execnz .LBB58_7
	s_branch .LBB58_8
	.section	.rodata,"a",@progbits
	.p2align	6, 0x0
	.amdhsa_kernel _ZN2at6native29vectorized_elementwise_kernelILi4ENS0_11FillFunctorIN3c107complexIdEEEESt5arrayIPcLm1EEEEviT0_T1_
		.amdhsa_group_segment_fixed_size 0
		.amdhsa_private_segment_fixed_size 0
		.amdhsa_kernarg_size 40
		.amdhsa_user_sgpr_count 6
		.amdhsa_user_sgpr_private_segment_buffer 1
		.amdhsa_user_sgpr_dispatch_ptr 0
		.amdhsa_user_sgpr_queue_ptr 0
		.amdhsa_user_sgpr_kernarg_segment_ptr 1
		.amdhsa_user_sgpr_dispatch_id 0
		.amdhsa_user_sgpr_flat_scratch_init 0
		.amdhsa_user_sgpr_kernarg_preload_length 0
		.amdhsa_user_sgpr_kernarg_preload_offset 0
		.amdhsa_user_sgpr_private_segment_size 0
		.amdhsa_uses_dynamic_stack 0
		.amdhsa_system_sgpr_private_segment_wavefront_offset 0
		.amdhsa_system_sgpr_workgroup_id_x 1
		.amdhsa_system_sgpr_workgroup_id_y 0
		.amdhsa_system_sgpr_workgroup_id_z 0
		.amdhsa_system_sgpr_workgroup_info 0
		.amdhsa_system_vgpr_workitem_id 0
		.amdhsa_next_free_vgpr 10
		.amdhsa_next_free_sgpr 11
		.amdhsa_accum_offset 12
		.amdhsa_reserve_vcc 1
		.amdhsa_reserve_flat_scratch 0
		.amdhsa_float_round_mode_32 0
		.amdhsa_float_round_mode_16_64 0
		.amdhsa_float_denorm_mode_32 3
		.amdhsa_float_denorm_mode_16_64 3
		.amdhsa_dx10_clamp 1
		.amdhsa_ieee_mode 1
		.amdhsa_fp16_overflow 0
		.amdhsa_tg_split 0
		.amdhsa_exception_fp_ieee_invalid_op 0
		.amdhsa_exception_fp_denorm_src 0
		.amdhsa_exception_fp_ieee_div_zero 0
		.amdhsa_exception_fp_ieee_overflow 0
		.amdhsa_exception_fp_ieee_underflow 0
		.amdhsa_exception_fp_ieee_inexact 0
		.amdhsa_exception_int_div_zero 0
	.end_amdhsa_kernel
	.section	.text._ZN2at6native29vectorized_elementwise_kernelILi4ENS0_11FillFunctorIN3c107complexIdEEEESt5arrayIPcLm1EEEEviT0_T1_,"axG",@progbits,_ZN2at6native29vectorized_elementwise_kernelILi4ENS0_11FillFunctorIN3c107complexIdEEEESt5arrayIPcLm1EEEEviT0_T1_,comdat
.Lfunc_end58:
	.size	_ZN2at6native29vectorized_elementwise_kernelILi4ENS0_11FillFunctorIN3c107complexIdEEEESt5arrayIPcLm1EEEEviT0_T1_, .Lfunc_end58-_ZN2at6native29vectorized_elementwise_kernelILi4ENS0_11FillFunctorIN3c107complexIdEEEESt5arrayIPcLm1EEEEviT0_T1_
                                        ; -- End function
	.section	.AMDGPU.csdata,"",@progbits
; Kernel info:
; codeLenInByte = 560
; NumSgprs: 15
; NumVgprs: 10
; NumAgprs: 0
; TotalNumVgprs: 10
; ScratchSize: 0
; MemoryBound: 0
; FloatMode: 240
; IeeeMode: 1
; LDSByteSize: 0 bytes/workgroup (compile time only)
; SGPRBlocks: 1
; VGPRBlocks: 1
; NumSGPRsForWavesPerEU: 15
; NumVGPRsForWavesPerEU: 10
; AccumOffset: 12
; Occupancy: 8
; WaveLimiterHint : 0
; COMPUTE_PGM_RSRC2:SCRATCH_EN: 0
; COMPUTE_PGM_RSRC2:USER_SGPR: 6
; COMPUTE_PGM_RSRC2:TRAP_HANDLER: 0
; COMPUTE_PGM_RSRC2:TGID_X_EN: 1
; COMPUTE_PGM_RSRC2:TGID_Y_EN: 0
; COMPUTE_PGM_RSRC2:TGID_Z_EN: 0
; COMPUTE_PGM_RSRC2:TIDIG_COMP_CNT: 0
; COMPUTE_PGM_RSRC3_GFX90A:ACCUM_OFFSET: 2
; COMPUTE_PGM_RSRC3_GFX90A:TG_SPLIT: 0
	.section	.text._ZN2at6native29vectorized_elementwise_kernelILi2ENS0_11FillFunctorIN3c107complexIdEEEESt5arrayIPcLm1EEEEviT0_T1_,"axG",@progbits,_ZN2at6native29vectorized_elementwise_kernelILi2ENS0_11FillFunctorIN3c107complexIdEEEESt5arrayIPcLm1EEEEviT0_T1_,comdat
	.protected	_ZN2at6native29vectorized_elementwise_kernelILi2ENS0_11FillFunctorIN3c107complexIdEEEESt5arrayIPcLm1EEEEviT0_T1_ ; -- Begin function _ZN2at6native29vectorized_elementwise_kernelILi2ENS0_11FillFunctorIN3c107complexIdEEEESt5arrayIPcLm1EEEEviT0_T1_
	.globl	_ZN2at6native29vectorized_elementwise_kernelILi2ENS0_11FillFunctorIN3c107complexIdEEEESt5arrayIPcLm1EEEEviT0_T1_
	.p2align	8
	.type	_ZN2at6native29vectorized_elementwise_kernelILi2ENS0_11FillFunctorIN3c107complexIdEEEESt5arrayIPcLm1EEEEviT0_T1_,@function
_ZN2at6native29vectorized_elementwise_kernelILi2ENS0_11FillFunctorIN3c107complexIdEEEESt5arrayIPcLm1EEEEviT0_T1_: ; @_ZN2at6native29vectorized_elementwise_kernelILi2ENS0_11FillFunctorIN3c107complexIdEEEESt5arrayIPcLm1EEEEviT0_T1_
; %bb.0:
	s_load_dword s7, s[4:5], 0x0
	s_load_dwordx4 s[0:3], s[4:5], 0x10
	s_load_dwordx2 s[8:9], s[4:5], 0x20
	s_lshl_b32 s4, s6, 10
	s_waitcnt lgkmcnt(0)
	s_sub_i32 s10, s7, s4
	s_cmpk_gt_i32 s10, 0x3ff
	s_mov_b64 s[6:7], -1
	s_cbranch_scc0 .LBB59_2
; %bb.1:
	s_ashr_i32 s5, s4, 31
	s_lshl_b64 s[6:7], s[4:5], 4
	s_add_u32 s6, s8, s6
	s_addc_u32 s7, s9, s7
	v_lshlrev_b32_e32 v1, 5, v0
	v_mov_b32_e32 v2, s7
	v_add_co_u32_e32 v6, vcc, s6, v1
	v_addc_co_u32_e32 v7, vcc, 0, v2, vcc
	v_pk_mov_b32 v[4:5], s[2:3], s[2:3] op_sel:[0,1]
	v_add_co_u32_e32 v6, vcc, 0x2000, v6
	v_pk_mov_b32 v[2:3], s[0:1], s[0:1] op_sel:[0,1]
	v_addc_co_u32_e32 v7, vcc, 0, v7, vcc
	global_store_dwordx4 v1, v[2:5], s[6:7]
	global_store_dwordx4 v1, v[2:5], s[6:7] offset:16
	global_store_dwordx4 v[6:7], v[2:5], off
	global_store_dwordx4 v[6:7], v[2:5], off offset:16
	s_mov_b64 s[6:7], 0
.LBB59_2:
	s_andn2_b64 vcc, exec, s[6:7]
	s_cbranch_vccnz .LBB59_8
; %bb.3:
	v_cmp_gt_i32_e32 vcc, s10, v0
	v_or_b32_e32 v2, 0x100, v0
	v_mov_b32_e32 v1, v0
	s_and_saveexec_b64 s[6:7], vcc
	s_cbranch_execnz .LBB59_9
; %bb.4:
	s_or_b64 exec, exec, s[6:7]
	v_cmp_gt_i32_e32 vcc, s10, v1
	s_and_saveexec_b64 s[6:7], vcc
	s_cbranch_execnz .LBB59_10
.LBB59_5:
	s_or_b64 exec, exec, s[6:7]
	v_cmp_gt_i32_e32 vcc, s10, v1
	s_and_saveexec_b64 s[6:7], vcc
	s_cbranch_execnz .LBB59_11
.LBB59_6:
	s_or_b64 exec, exec, s[6:7]
	v_cmp_gt_i32_e32 vcc, s10, v1
	s_and_saveexec_b64 s[6:7], vcc
	s_cbranch_execz .LBB59_8
.LBB59_7:
	v_or_b32_e32 v0, 0x300, v0
	v_cmp_gt_i32_e32 vcc, s10, v0
	v_mov_b32_e32 v0, s2
	v_cndmask_b32_e32 v4, 0, v0, vcc
	v_mov_b32_e32 v0, s1
	v_mov_b32_e32 v2, s3
	v_cndmask_b32_e32 v3, 0, v0, vcc
	v_mov_b32_e32 v0, s0
	v_cndmask_b32_e32 v5, 0, v2, vcc
	v_cndmask_b32_e32 v2, 0, v0, vcc
	v_add_u32_e32 v0, s4, v1
	v_mov_b32_e32 v1, 0
	v_lshlrev_b64 v[0:1], 4, v[0:1]
	v_mov_b32_e32 v6, s9
	v_add_co_u32_e32 v0, vcc, s8, v0
	v_addc_co_u32_e32 v1, vcc, v6, v1, vcc
	global_store_dwordx4 v[0:1], v[2:5], off
.LBB59_8:
	s_endpgm
.LBB59_9:
	v_or_b32_e32 v4, s4, v0
	v_mov_b32_e32 v5, 0
	v_lshlrev_b64 v[4:5], 4, v[4:5]
	v_mov_b32_e32 v1, s9
	v_add_co_u32_e32 v8, vcc, s8, v4
	v_addc_co_u32_e32 v9, vcc, v1, v5, vcc
	v_mov_b32_e32 v4, s0
	v_mov_b32_e32 v5, s1
	;; [unrolled: 1-line block ×5, first 2 shown]
	global_store_dwordx4 v[8:9], v[4:7], off
	s_or_b64 exec, exec, s[6:7]
	v_cmp_gt_i32_e32 vcc, s10, v1
	s_and_saveexec_b64 s[6:7], vcc
	s_cbranch_execz .LBB59_5
.LBB59_10:
	v_cmp_gt_i32_e32 vcc, s10, v2
	v_mov_b32_e32 v2, s2
	v_mov_b32_e32 v3, s3
	v_cndmask_b32_e32 v4, 0, v2, vcc
	v_mov_b32_e32 v2, s1
	v_add_u32_e32 v6, s4, v1
	v_mov_b32_e32 v7, 0
	v_cndmask_b32_e32 v5, 0, v3, vcc
	v_cndmask_b32_e32 v3, 0, v2, vcc
	v_mov_b32_e32 v2, s0
	v_lshlrev_b64 v[6:7], 4, v[6:7]
	v_cndmask_b32_e32 v2, 0, v2, vcc
	v_mov_b32_e32 v8, s9
	v_add_co_u32_e32 v6, vcc, s8, v6
	v_addc_co_u32_e32 v7, vcc, v8, v7, vcc
	v_add_u32_e32 v1, 0x100, v1
	global_store_dwordx4 v[6:7], v[2:5], off
	s_or_b64 exec, exec, s[6:7]
	v_cmp_gt_i32_e32 vcc, s10, v1
	s_and_saveexec_b64 s[6:7], vcc
	s_cbranch_execz .LBB59_6
.LBB59_11:
	v_or_b32_e32 v2, 0x200, v0
	v_cmp_gt_i32_e32 vcc, s10, v2
	v_mov_b32_e32 v2, s2
	v_mov_b32_e32 v3, s3
	v_cndmask_b32_e32 v4, 0, v2, vcc
	v_mov_b32_e32 v2, s1
	v_add_u32_e32 v6, s4, v1
	v_mov_b32_e32 v7, 0
	v_cndmask_b32_e32 v5, 0, v3, vcc
	v_cndmask_b32_e32 v3, 0, v2, vcc
	v_mov_b32_e32 v2, s0
	v_lshlrev_b64 v[6:7], 4, v[6:7]
	v_cndmask_b32_e32 v2, 0, v2, vcc
	v_mov_b32_e32 v8, s9
	v_add_co_u32_e32 v6, vcc, s8, v6
	v_addc_co_u32_e32 v7, vcc, v8, v7, vcc
	v_add_u32_e32 v1, 0x100, v1
	global_store_dwordx4 v[6:7], v[2:5], off
	s_or_b64 exec, exec, s[6:7]
	v_cmp_gt_i32_e32 vcc, s10, v1
	s_and_saveexec_b64 s[6:7], vcc
	s_cbranch_execnz .LBB59_7
	s_branch .LBB59_8
	.section	.rodata,"a",@progbits
	.p2align	6, 0x0
	.amdhsa_kernel _ZN2at6native29vectorized_elementwise_kernelILi2ENS0_11FillFunctorIN3c107complexIdEEEESt5arrayIPcLm1EEEEviT0_T1_
		.amdhsa_group_segment_fixed_size 0
		.amdhsa_private_segment_fixed_size 0
		.amdhsa_kernarg_size 40
		.amdhsa_user_sgpr_count 6
		.amdhsa_user_sgpr_private_segment_buffer 1
		.amdhsa_user_sgpr_dispatch_ptr 0
		.amdhsa_user_sgpr_queue_ptr 0
		.amdhsa_user_sgpr_kernarg_segment_ptr 1
		.amdhsa_user_sgpr_dispatch_id 0
		.amdhsa_user_sgpr_flat_scratch_init 0
		.amdhsa_user_sgpr_kernarg_preload_length 0
		.amdhsa_user_sgpr_kernarg_preload_offset 0
		.amdhsa_user_sgpr_private_segment_size 0
		.amdhsa_uses_dynamic_stack 0
		.amdhsa_system_sgpr_private_segment_wavefront_offset 0
		.amdhsa_system_sgpr_workgroup_id_x 1
		.amdhsa_system_sgpr_workgroup_id_y 0
		.amdhsa_system_sgpr_workgroup_id_z 0
		.amdhsa_system_sgpr_workgroup_info 0
		.amdhsa_system_vgpr_workitem_id 0
		.amdhsa_next_free_vgpr 10
		.amdhsa_next_free_sgpr 11
		.amdhsa_accum_offset 12
		.amdhsa_reserve_vcc 1
		.amdhsa_reserve_flat_scratch 0
		.amdhsa_float_round_mode_32 0
		.amdhsa_float_round_mode_16_64 0
		.amdhsa_float_denorm_mode_32 3
		.amdhsa_float_denorm_mode_16_64 3
		.amdhsa_dx10_clamp 1
		.amdhsa_ieee_mode 1
		.amdhsa_fp16_overflow 0
		.amdhsa_tg_split 0
		.amdhsa_exception_fp_ieee_invalid_op 0
		.amdhsa_exception_fp_denorm_src 0
		.amdhsa_exception_fp_ieee_div_zero 0
		.amdhsa_exception_fp_ieee_overflow 0
		.amdhsa_exception_fp_ieee_underflow 0
		.amdhsa_exception_fp_ieee_inexact 0
		.amdhsa_exception_int_div_zero 0
	.end_amdhsa_kernel
	.section	.text._ZN2at6native29vectorized_elementwise_kernelILi2ENS0_11FillFunctorIN3c107complexIdEEEESt5arrayIPcLm1EEEEviT0_T1_,"axG",@progbits,_ZN2at6native29vectorized_elementwise_kernelILi2ENS0_11FillFunctorIN3c107complexIdEEEESt5arrayIPcLm1EEEEviT0_T1_,comdat
.Lfunc_end59:
	.size	_ZN2at6native29vectorized_elementwise_kernelILi2ENS0_11FillFunctorIN3c107complexIdEEEESt5arrayIPcLm1EEEEviT0_T1_, .Lfunc_end59-_ZN2at6native29vectorized_elementwise_kernelILi2ENS0_11FillFunctorIN3c107complexIdEEEESt5arrayIPcLm1EEEEviT0_T1_
                                        ; -- End function
	.section	.AMDGPU.csdata,"",@progbits
; Kernel info:
; codeLenInByte = 584
; NumSgprs: 15
; NumVgprs: 10
; NumAgprs: 0
; TotalNumVgprs: 10
; ScratchSize: 0
; MemoryBound: 0
; FloatMode: 240
; IeeeMode: 1
; LDSByteSize: 0 bytes/workgroup (compile time only)
; SGPRBlocks: 1
; VGPRBlocks: 1
; NumSGPRsForWavesPerEU: 15
; NumVGPRsForWavesPerEU: 10
; AccumOffset: 12
; Occupancy: 8
; WaveLimiterHint : 1
; COMPUTE_PGM_RSRC2:SCRATCH_EN: 0
; COMPUTE_PGM_RSRC2:USER_SGPR: 6
; COMPUTE_PGM_RSRC2:TRAP_HANDLER: 0
; COMPUTE_PGM_RSRC2:TGID_X_EN: 1
; COMPUTE_PGM_RSRC2:TGID_Y_EN: 0
; COMPUTE_PGM_RSRC2:TGID_Z_EN: 0
; COMPUTE_PGM_RSRC2:TIDIG_COMP_CNT: 0
; COMPUTE_PGM_RSRC3_GFX90A:ACCUM_OFFSET: 2
; COMPUTE_PGM_RSRC3_GFX90A:TG_SPLIT: 0
	.section	.text._ZN2at6native27unrolled_elementwise_kernelINS0_11FillFunctorIN3c107complexIdEEEESt5arrayIPcLm1EELi4E23TrivialOffsetCalculatorILi0EjESA_ILi1EjENS0_6memory15LoadWithoutCastENSD_16StoreWithoutCastEEEviT_T0_T2_T3_T4_T5_,"axG",@progbits,_ZN2at6native27unrolled_elementwise_kernelINS0_11FillFunctorIN3c107complexIdEEEESt5arrayIPcLm1EELi4E23TrivialOffsetCalculatorILi0EjESA_ILi1EjENS0_6memory15LoadWithoutCastENSD_16StoreWithoutCastEEEviT_T0_T2_T3_T4_T5_,comdat
	.protected	_ZN2at6native27unrolled_elementwise_kernelINS0_11FillFunctorIN3c107complexIdEEEESt5arrayIPcLm1EELi4E23TrivialOffsetCalculatorILi0EjESA_ILi1EjENS0_6memory15LoadWithoutCastENSD_16StoreWithoutCastEEEviT_T0_T2_T3_T4_T5_ ; -- Begin function _ZN2at6native27unrolled_elementwise_kernelINS0_11FillFunctorIN3c107complexIdEEEESt5arrayIPcLm1EELi4E23TrivialOffsetCalculatorILi0EjESA_ILi1EjENS0_6memory15LoadWithoutCastENSD_16StoreWithoutCastEEEviT_T0_T2_T3_T4_T5_
	.globl	_ZN2at6native27unrolled_elementwise_kernelINS0_11FillFunctorIN3c107complexIdEEEESt5arrayIPcLm1EELi4E23TrivialOffsetCalculatorILi0EjESA_ILi1EjENS0_6memory15LoadWithoutCastENSD_16StoreWithoutCastEEEviT_T0_T2_T3_T4_T5_
	.p2align	8
	.type	_ZN2at6native27unrolled_elementwise_kernelINS0_11FillFunctorIN3c107complexIdEEEESt5arrayIPcLm1EELi4E23TrivialOffsetCalculatorILi0EjESA_ILi1EjENS0_6memory15LoadWithoutCastENSD_16StoreWithoutCastEEEviT_T0_T2_T3_T4_T5_,@function
_ZN2at6native27unrolled_elementwise_kernelINS0_11FillFunctorIN3c107complexIdEEEESt5arrayIPcLm1EELi4E23TrivialOffsetCalculatorILi0EjESA_ILi1EjENS0_6memory15LoadWithoutCastENSD_16StoreWithoutCastEEEviT_T0_T2_T3_T4_T5_: ; @_ZN2at6native27unrolled_elementwise_kernelINS0_11FillFunctorIN3c107complexIdEEEESt5arrayIPcLm1EELi4E23TrivialOffsetCalculatorILi0EjESA_ILi1EjENS0_6memory15LoadWithoutCastENSD_16StoreWithoutCastEEEviT_T0_T2_T3_T4_T5_
; %bb.0:
	s_load_dword s7, s[4:5], 0x0
	s_load_dwordx4 s[0:3], s[4:5], 0x10
	s_load_dwordx2 s[8:9], s[4:5], 0x20
	s_lshl_b32 s6, s6, 10
	v_or_b32_e32 v2, 0x100, v0
	s_waitcnt lgkmcnt(0)
	s_sub_i32 s7, s7, s6
	v_cmp_gt_i32_e32 vcc, s7, v0
	v_mov_b32_e32 v1, v0
	s_and_saveexec_b64 s[4:5], vcc
	s_cbranch_execnz .LBB60_5
; %bb.1:
	s_or_b64 exec, exec, s[4:5]
	v_cmp_gt_i32_e32 vcc, s7, v1
	s_and_saveexec_b64 s[4:5], vcc
	s_cbranch_execnz .LBB60_6
.LBB60_2:
	s_or_b64 exec, exec, s[4:5]
	v_cmp_gt_i32_e32 vcc, s7, v1
	s_and_saveexec_b64 s[4:5], vcc
	s_cbranch_execnz .LBB60_7
.LBB60_3:
	s_or_b64 exec, exec, s[4:5]
	v_cmp_gt_i32_e32 vcc, s7, v1
	s_and_saveexec_b64 s[4:5], vcc
	s_cbranch_execnz .LBB60_8
.LBB60_4:
	s_endpgm
.LBB60_5:
	v_or_b32_e32 v4, s6, v0
	v_mov_b32_e32 v5, 0
	v_lshlrev_b64 v[4:5], 4, v[4:5]
	v_mov_b32_e32 v1, s9
	v_add_co_u32_e32 v8, vcc, s8, v4
	v_addc_co_u32_e32 v9, vcc, v1, v5, vcc
	v_mov_b32_e32 v4, s0
	v_mov_b32_e32 v5, s1
	;; [unrolled: 1-line block ×5, first 2 shown]
	global_store_dwordx4 v[8:9], v[4:7], off
	s_or_b64 exec, exec, s[4:5]
	v_cmp_gt_i32_e32 vcc, s7, v1
	s_and_saveexec_b64 s[4:5], vcc
	s_cbranch_execz .LBB60_2
.LBB60_6:
	v_cmp_gt_i32_e32 vcc, s7, v2
	v_mov_b32_e32 v2, s2
	v_mov_b32_e32 v3, s3
	v_cndmask_b32_e32 v4, 0, v2, vcc
	v_mov_b32_e32 v2, s1
	v_add_u32_e32 v6, s6, v1
	v_mov_b32_e32 v7, 0
	v_cndmask_b32_e32 v5, 0, v3, vcc
	v_cndmask_b32_e32 v3, 0, v2, vcc
	v_mov_b32_e32 v2, s0
	v_lshlrev_b64 v[6:7], 4, v[6:7]
	v_cndmask_b32_e32 v2, 0, v2, vcc
	v_add_u32_e32 v8, 0x100, v1
	v_mov_b32_e32 v1, s9
	v_add_co_u32_e32 v6, vcc, s8, v6
	v_addc_co_u32_e32 v7, vcc, v1, v7, vcc
	v_mov_b32_e32 v1, v8
	global_store_dwordx4 v[6:7], v[2:5], off
	s_or_b64 exec, exec, s[4:5]
	v_cmp_gt_i32_e32 vcc, s7, v1
	s_and_saveexec_b64 s[4:5], vcc
	s_cbranch_execz .LBB60_3
.LBB60_7:
	v_or_b32_e32 v2, 0x200, v0
	v_cmp_gt_i32_e32 vcc, s7, v2
	v_mov_b32_e32 v2, s2
	v_mov_b32_e32 v3, s3
	v_cndmask_b32_e32 v4, 0, v2, vcc
	v_mov_b32_e32 v2, s1
	v_add_u32_e32 v6, s6, v1
	v_mov_b32_e32 v7, 0
	v_cndmask_b32_e32 v5, 0, v3, vcc
	v_cndmask_b32_e32 v3, 0, v2, vcc
	v_mov_b32_e32 v2, s0
	v_lshlrev_b64 v[6:7], 4, v[6:7]
	v_cndmask_b32_e32 v2, 0, v2, vcc
	v_add_u32_e32 v8, 0x100, v1
	v_mov_b32_e32 v1, s9
	v_add_co_u32_e32 v6, vcc, s8, v6
	v_addc_co_u32_e32 v7, vcc, v1, v7, vcc
	v_mov_b32_e32 v1, v8
	global_store_dwordx4 v[6:7], v[2:5], off
	s_or_b64 exec, exec, s[4:5]
	v_cmp_gt_i32_e32 vcc, s7, v1
	s_and_saveexec_b64 s[4:5], vcc
	s_cbranch_execz .LBB60_4
.LBB60_8:
	v_or_b32_e32 v0, 0x300, v0
	v_cmp_gt_i32_e32 vcc, s7, v0
	v_mov_b32_e32 v0, s2
	v_cndmask_b32_e32 v4, 0, v0, vcc
	v_mov_b32_e32 v0, s1
	v_mov_b32_e32 v2, s3
	v_cndmask_b32_e32 v3, 0, v0, vcc
	v_mov_b32_e32 v0, s0
	v_cndmask_b32_e32 v5, 0, v2, vcc
	v_cndmask_b32_e32 v2, 0, v0, vcc
	v_add_u32_e32 v0, s6, v1
	v_mov_b32_e32 v1, 0
	v_lshlrev_b64 v[0:1], 4, v[0:1]
	v_mov_b32_e32 v6, s9
	v_add_co_u32_e32 v0, vcc, s8, v0
	v_addc_co_u32_e32 v1, vcc, v6, v1, vcc
	global_store_dwordx4 v[0:1], v[2:5], off
	s_endpgm
	.section	.rodata,"a",@progbits
	.p2align	6, 0x0
	.amdhsa_kernel _ZN2at6native27unrolled_elementwise_kernelINS0_11FillFunctorIN3c107complexIdEEEESt5arrayIPcLm1EELi4E23TrivialOffsetCalculatorILi0EjESA_ILi1EjENS0_6memory15LoadWithoutCastENSD_16StoreWithoutCastEEEviT_T0_T2_T3_T4_T5_
		.amdhsa_group_segment_fixed_size 0
		.amdhsa_private_segment_fixed_size 0
		.amdhsa_kernarg_size 44
		.amdhsa_user_sgpr_count 6
		.amdhsa_user_sgpr_private_segment_buffer 1
		.amdhsa_user_sgpr_dispatch_ptr 0
		.amdhsa_user_sgpr_queue_ptr 0
		.amdhsa_user_sgpr_kernarg_segment_ptr 1
		.amdhsa_user_sgpr_dispatch_id 0
		.amdhsa_user_sgpr_flat_scratch_init 0
		.amdhsa_user_sgpr_kernarg_preload_length 0
		.amdhsa_user_sgpr_kernarg_preload_offset 0
		.amdhsa_user_sgpr_private_segment_size 0
		.amdhsa_uses_dynamic_stack 0
		.amdhsa_system_sgpr_private_segment_wavefront_offset 0
		.amdhsa_system_sgpr_workgroup_id_x 1
		.amdhsa_system_sgpr_workgroup_id_y 0
		.amdhsa_system_sgpr_workgroup_id_z 0
		.amdhsa_system_sgpr_workgroup_info 0
		.amdhsa_system_vgpr_workitem_id 0
		.amdhsa_next_free_vgpr 10
		.amdhsa_next_free_sgpr 10
		.amdhsa_accum_offset 12
		.amdhsa_reserve_vcc 1
		.amdhsa_reserve_flat_scratch 0
		.amdhsa_float_round_mode_32 0
		.amdhsa_float_round_mode_16_64 0
		.amdhsa_float_denorm_mode_32 3
		.amdhsa_float_denorm_mode_16_64 3
		.amdhsa_dx10_clamp 1
		.amdhsa_ieee_mode 1
		.amdhsa_fp16_overflow 0
		.amdhsa_tg_split 0
		.amdhsa_exception_fp_ieee_invalid_op 0
		.amdhsa_exception_fp_denorm_src 0
		.amdhsa_exception_fp_ieee_div_zero 0
		.amdhsa_exception_fp_ieee_overflow 0
		.amdhsa_exception_fp_ieee_underflow 0
		.amdhsa_exception_fp_ieee_inexact 0
		.amdhsa_exception_int_div_zero 0
	.end_amdhsa_kernel
	.section	.text._ZN2at6native27unrolled_elementwise_kernelINS0_11FillFunctorIN3c107complexIdEEEESt5arrayIPcLm1EELi4E23TrivialOffsetCalculatorILi0EjESA_ILi1EjENS0_6memory15LoadWithoutCastENSD_16StoreWithoutCastEEEviT_T0_T2_T3_T4_T5_,"axG",@progbits,_ZN2at6native27unrolled_elementwise_kernelINS0_11FillFunctorIN3c107complexIdEEEESt5arrayIPcLm1EELi4E23TrivialOffsetCalculatorILi0EjESA_ILi1EjENS0_6memory15LoadWithoutCastENSD_16StoreWithoutCastEEEviT_T0_T2_T3_T4_T5_,comdat
.Lfunc_end60:
	.size	_ZN2at6native27unrolled_elementwise_kernelINS0_11FillFunctorIN3c107complexIdEEEESt5arrayIPcLm1EELi4E23TrivialOffsetCalculatorILi0EjESA_ILi1EjENS0_6memory15LoadWithoutCastENSD_16StoreWithoutCastEEEviT_T0_T2_T3_T4_T5_, .Lfunc_end60-_ZN2at6native27unrolled_elementwise_kernelINS0_11FillFunctorIN3c107complexIdEEEESt5arrayIPcLm1EELi4E23TrivialOffsetCalculatorILi0EjESA_ILi1EjENS0_6memory15LoadWithoutCastENSD_16StoreWithoutCastEEEviT_T0_T2_T3_T4_T5_
                                        ; -- End function
	.section	.AMDGPU.csdata,"",@progbits
; Kernel info:
; codeLenInByte = 476
; NumSgprs: 14
; NumVgprs: 10
; NumAgprs: 0
; TotalNumVgprs: 10
; ScratchSize: 0
; MemoryBound: 0
; FloatMode: 240
; IeeeMode: 1
; LDSByteSize: 0 bytes/workgroup (compile time only)
; SGPRBlocks: 1
; VGPRBlocks: 1
; NumSGPRsForWavesPerEU: 14
; NumVGPRsForWavesPerEU: 10
; AccumOffset: 12
; Occupancy: 8
; WaveLimiterHint : 0
; COMPUTE_PGM_RSRC2:SCRATCH_EN: 0
; COMPUTE_PGM_RSRC2:USER_SGPR: 6
; COMPUTE_PGM_RSRC2:TRAP_HANDLER: 0
; COMPUTE_PGM_RSRC2:TGID_X_EN: 1
; COMPUTE_PGM_RSRC2:TGID_Y_EN: 0
; COMPUTE_PGM_RSRC2:TGID_Z_EN: 0
; COMPUTE_PGM_RSRC2:TIDIG_COMP_CNT: 0
; COMPUTE_PGM_RSRC3_GFX90A:ACCUM_OFFSET: 2
; COMPUTE_PGM_RSRC3_GFX90A:TG_SPLIT: 0
	.section	.text._ZN2at6native32elementwise_kernel_manual_unrollILi128ELi4EZNS0_22gpu_kernel_impl_nocastINS0_11FillFunctorIN3c107complexIdEEEEEEvRNS_18TensorIteratorBaseERKT_EUlibE_EEviT1_,"axG",@progbits,_ZN2at6native32elementwise_kernel_manual_unrollILi128ELi4EZNS0_22gpu_kernel_impl_nocastINS0_11FillFunctorIN3c107complexIdEEEEEEvRNS_18TensorIteratorBaseERKT_EUlibE_EEviT1_,comdat
	.protected	_ZN2at6native32elementwise_kernel_manual_unrollILi128ELi4EZNS0_22gpu_kernel_impl_nocastINS0_11FillFunctorIN3c107complexIdEEEEEEvRNS_18TensorIteratorBaseERKT_EUlibE_EEviT1_ ; -- Begin function _ZN2at6native32elementwise_kernel_manual_unrollILi128ELi4EZNS0_22gpu_kernel_impl_nocastINS0_11FillFunctorIN3c107complexIdEEEEEEvRNS_18TensorIteratorBaseERKT_EUlibE_EEviT1_
	.globl	_ZN2at6native32elementwise_kernel_manual_unrollILi128ELi4EZNS0_22gpu_kernel_impl_nocastINS0_11FillFunctorIN3c107complexIdEEEEEEvRNS_18TensorIteratorBaseERKT_EUlibE_EEviT1_
	.p2align	8
	.type	_ZN2at6native32elementwise_kernel_manual_unrollILi128ELi4EZNS0_22gpu_kernel_impl_nocastINS0_11FillFunctorIN3c107complexIdEEEEEEvRNS_18TensorIteratorBaseERKT_EUlibE_EEviT1_,@function
_ZN2at6native32elementwise_kernel_manual_unrollILi128ELi4EZNS0_22gpu_kernel_impl_nocastINS0_11FillFunctorIN3c107complexIdEEEEEEvRNS_18TensorIteratorBaseERKT_EUlibE_EEviT1_: ; @_ZN2at6native32elementwise_kernel_manual_unrollILi128ELi4EZNS0_22gpu_kernel_impl_nocastINS0_11FillFunctorIN3c107complexIdEEEEEEvRNS_18TensorIteratorBaseERKT_EUlibE_EEviT1_
; %bb.0:
	s_load_dword s51, s[4:5], 0x0
	s_load_dword s33, s[4:5], 0x10
	s_add_u32 s24, s4, 16
	s_addc_u32 s25, s5, 0
	v_lshl_or_b32 v4, s6, 9, v0
	v_or_b32_e32 v10, 0x180, v4
	s_waitcnt lgkmcnt(0)
	s_add_i32 s50, s33, -1
	s_cmp_gt_u32 s50, 1
	v_cmp_le_i32_e32 vcc, s51, v10
	s_cselect_b64 s[26:27], -1, 0
	s_mov_b64 s[20:21], 0
                                        ; implicit-def: $sgpr28_sgpr29
                                        ; implicit-def: $vgpr8_vgpr9
	s_and_saveexec_b64 s[0:1], vcc
	s_xor_b64 s[30:31], exec, s[0:1]
	s_cbranch_execnz .LBB61_4
; %bb.1:
	s_or_saveexec_b64 s[22:23], s[30:31]
	v_pk_mov_b32 v[0:1], s[28:29], s[28:29] op_sel:[0,1]
	s_xor_b64 exec, exec, s[22:23]
	s_cbranch_execnz .LBB61_69
.LBB61_2:
	s_or_b64 exec, exec, s[22:23]
	s_and_saveexec_b64 s[0:1], s[20:21]
	s_cbranch_execnz .LBB61_122
.LBB61_3:
	s_endpgm
.LBB61_4:
	s_load_dwordx4 s[12:15], s[24:25], 0x4
	s_load_dwordx2 s[34:35], s[24:25], 0x14
	s_load_dwordx2 s[28:29], s[24:25], 0x118
	;; [unrolled: 1-line block ×3, first 2 shown]
	s_load_dwordx4 s[8:11], s[24:25], 0x108
	s_cmp_lg_u32 s33, 0
	s_cselect_b64 s[42:43], -1, 0
	s_add_u32 s40, s24, 0xc4
	s_addc_u32 s41, s25, 0
	s_min_u32 s52, s50, 15
	s_cmp_gt_u32 s33, 1
	s_cselect_b64 s[38:39], -1, 0
	v_cmp_gt_i32_e32 vcc, s51, v4
	s_and_saveexec_b64 s[44:45], vcc
	s_cbranch_execnz .LBB61_7
; %bb.5:
	s_or_b64 exec, exec, s[44:45]
	v_cmp_gt_i32_e32 vcc, s51, v4
	s_and_saveexec_b64 s[44:45], vcc
	s_cbranch_execnz .LBB61_22
.LBB61_6:
	s_or_b64 exec, exec, s[44:45]
	v_cmp_gt_i32_e32 vcc, s51, v4
	s_and_saveexec_b64 s[44:45], vcc
	s_cbranch_execnz .LBB61_37
	s_branch .LBB61_52
.LBB61_7:
	s_andn2_b64 vcc, exec, s[26:27]
	s_cbranch_vccnz .LBB61_12
; %bb.8:
	s_andn2_b64 vcc, exec, s[42:43]
	s_cbranch_vccnz .LBB61_13
; %bb.9:
	s_add_i32 s54, s52, 1
	s_mov_b32 s53, 0
	s_cmp_eq_u32 s50, 2
	v_mov_b32_e32 v0, 0
	s_cbranch_scc1 .LBB61_14
; %bb.10:
	s_and_b32 s53, s54, 28
	s_mov_b32 s55, 0
	v_mov_b32_e32 v0, 0
	s_mov_b64 s[46:47], s[24:25]
	s_mov_b64 s[48:49], s[40:41]
	v_mov_b32_e32 v2, v4
.LBB61_11:                              ; =>This Inner Loop Header: Depth=1
	s_load_dwordx8 s[0:7], s[46:47], 0x4
	s_load_dwordx4 s[16:19], s[46:47], 0x24
	s_load_dwordx4 s[20:23], s[48:49], 0x0
	s_add_u32 s46, s46, 48
	s_addc_u32 s47, s47, 0
	s_waitcnt lgkmcnt(0)
	v_mul_hi_u32 v1, s1, v2
	v_add_u32_e32 v1, v2, v1
	v_lshrrev_b32_e32 v1, s2, v1
	v_mul_lo_u32 v3, v1, s0
	v_mul_hi_u32 v5, s4, v1
	v_sub_u32_e32 v2, v2, v3
	v_add_u32_e32 v3, v1, v5
	v_lshrrev_b32_e32 v3, s5, v3
	v_mul_lo_u32 v5, v3, s3
	v_mul_hi_u32 v6, s7, v3
	v_sub_u32_e32 v1, v1, v5
	v_add_u32_e32 v5, v3, v6
	v_mul_lo_u32 v2, v2, s20
	v_mul_lo_u32 v1, v1, s21
	v_lshrrev_b32_e32 v5, s16, v5
	v_add3_u32 v0, v2, v0, v1
	v_mul_hi_u32 v2, s18, v5
	v_add_u32_e32 v2, v5, v2
	v_mul_lo_u32 v1, v5, s6
	v_lshrrev_b32_e32 v2, s19, v2
	s_add_i32 s55, s55, 4
	v_sub_u32_e32 v1, v3, v1
	v_mul_lo_u32 v3, v2, s17
	s_add_u32 s48, s48, 16
	v_sub_u32_e32 v3, v5, v3
	s_addc_u32 s49, s49, 0
	v_mul_lo_u32 v1, v1, s22
	v_mul_lo_u32 v3, v3, s23
	s_cmp_lg_u32 s53, s55
	v_add3_u32 v0, v1, v0, v3
	s_cbranch_scc1 .LBB61_11
	s_branch .LBB61_15
.LBB61_12:
                                        ; implicit-def: $vgpr0
	s_branch .LBB61_19
.LBB61_13:
	v_mov_b32_e32 v0, 0
	s_branch .LBB61_18
.LBB61_14:
	v_mov_b32_e32 v2, v4
.LBB61_15:
	s_and_b32 s4, s54, 3
	s_cmp_eq_u32 s4, 0
	s_cbranch_scc1 .LBB61_18
; %bb.16:
	s_lshl_b32 s0, s53, 2
	s_add_u32 s0, s0, s24
	s_addc_u32 s1, s25, 0
	s_add_u32 s0, s0, 0xc4
	s_addc_u32 s1, s1, 0
	s_mul_i32 s2, s53, 12
	s_add_u32 s2, s24, s2
	s_addc_u32 s3, s25, 0
.LBB61_17:                              ; =>This Inner Loop Header: Depth=1
	s_load_dwordx2 s[6:7], s[2:3], 0x4
	s_load_dword s5, s[2:3], 0xc
	s_load_dword s16, s[0:1], 0x0
	s_add_u32 s2, s2, 12
	s_addc_u32 s3, s3, 0
	s_waitcnt lgkmcnt(0)
	v_mul_hi_u32 v1, s7, v2
	v_add_u32_e32 v1, v2, v1
	v_lshrrev_b32_e32 v1, s5, v1
	s_add_u32 s0, s0, 4
	v_mul_lo_u32 v3, v1, s6
	s_addc_u32 s1, s1, 0
	s_add_i32 s4, s4, -1
	v_sub_u32_e32 v3, v2, v3
	s_cmp_lg_u32 s4, 0
	v_mov_b32_e32 v2, v1
	v_mad_u64_u32 v[0:1], s[6:7], v3, s16, v[0:1]
	s_cbranch_scc1 .LBB61_17
.LBB61_18:
	s_cbranch_execnz .LBB61_21
.LBB61_19:
	s_waitcnt lgkmcnt(0)
	v_mul_hi_u32 v0, s13, v4
	v_add_u32_e32 v0, v4, v0
	v_lshrrev_b32_e32 v1, s14, v0
	v_mul_lo_u32 v0, v1, s12
	v_sub_u32_e32 v0, v4, v0
	s_andn2_b64 vcc, exec, s[38:39]
	v_mul_lo_u32 v0, v0, s36
	s_cbranch_vccnz .LBB61_21
; %bb.20:
	v_mul_hi_u32 v2, s34, v1
	v_add_u32_e32 v2, v1, v2
	v_lshrrev_b32_e32 v2, s35, v2
	v_mul_lo_u32 v2, v2, s15
	v_sub_u32_e32 v1, v1, v2
	v_mad_u64_u32 v[0:1], s[0:1], v1, s37, v[0:1]
.LBB61_21:
	s_waitcnt lgkmcnt(0)
	v_mov_b32_e32 v6, s10
	v_mov_b32_e32 v7, s11
	;; [unrolled: 1-line block ×4, first 2 shown]
	v_add_u32_e32 v4, 0x80, v4
	global_store_dwordx4 v0, v[6:9], s[8:9]
	s_or_b64 exec, exec, s[44:45]
	v_cmp_gt_i32_e32 vcc, s51, v4
	s_and_saveexec_b64 s[44:45], vcc
	s_cbranch_execz .LBB61_6
.LBB61_22:
	s_andn2_b64 vcc, exec, s[26:27]
	s_cbranch_vccnz .LBB61_27
; %bb.23:
	s_andn2_b64 vcc, exec, s[42:43]
	s_cbranch_vccnz .LBB61_28
; %bb.24:
	s_add_i32 s54, s52, 1
	s_mov_b32 s53, 0
	s_cmp_eq_u32 s50, 2
	v_mov_b32_e32 v0, 0
	s_cbranch_scc1 .LBB61_29
; %bb.25:
	s_and_b32 s53, s54, 28
	s_mov_b32 s55, 0
	v_mov_b32_e32 v0, 0
	s_mov_b64 s[46:47], s[24:25]
	s_mov_b64 s[48:49], s[40:41]
	v_mov_b32_e32 v2, v4
.LBB61_26:                              ; =>This Inner Loop Header: Depth=1
	s_load_dwordx8 s[0:7], s[46:47], 0x4
	s_load_dwordx4 s[16:19], s[46:47], 0x24
	s_load_dwordx4 s[20:23], s[48:49], 0x0
	s_add_u32 s46, s46, 48
	s_addc_u32 s47, s47, 0
	s_waitcnt lgkmcnt(0)
	v_mul_hi_u32 v1, s1, v2
	v_add_u32_e32 v1, v2, v1
	v_lshrrev_b32_e32 v1, s2, v1
	v_mul_lo_u32 v3, v1, s0
	v_mul_hi_u32 v5, s4, v1
	v_sub_u32_e32 v2, v2, v3
	v_add_u32_e32 v3, v1, v5
	v_lshrrev_b32_e32 v3, s5, v3
	v_mul_lo_u32 v5, v3, s3
	v_mul_hi_u32 v6, s7, v3
	v_sub_u32_e32 v1, v1, v5
	v_add_u32_e32 v5, v3, v6
	v_mul_lo_u32 v2, v2, s20
	v_mul_lo_u32 v1, v1, s21
	v_lshrrev_b32_e32 v5, s16, v5
	v_add3_u32 v0, v2, v0, v1
	v_mul_hi_u32 v2, s18, v5
	v_add_u32_e32 v2, v5, v2
	v_mul_lo_u32 v1, v5, s6
	v_lshrrev_b32_e32 v2, s19, v2
	s_add_i32 s55, s55, 4
	v_sub_u32_e32 v1, v3, v1
	v_mul_lo_u32 v3, v2, s17
	s_add_u32 s48, s48, 16
	v_sub_u32_e32 v3, v5, v3
	s_addc_u32 s49, s49, 0
	v_mul_lo_u32 v1, v1, s22
	v_mul_lo_u32 v3, v3, s23
	s_cmp_eq_u32 s53, s55
	v_add3_u32 v0, v1, v0, v3
	s_cbranch_scc0 .LBB61_26
	s_branch .LBB61_30
.LBB61_27:
                                        ; implicit-def: $vgpr0
	s_branch .LBB61_34
.LBB61_28:
	v_mov_b32_e32 v0, 0
	s_branch .LBB61_33
.LBB61_29:
	v_mov_b32_e32 v2, v4
.LBB61_30:
	s_and_b32 s4, s54, 3
	s_cmp_eq_u32 s4, 0
	s_cbranch_scc1 .LBB61_33
; %bb.31:
	s_lshl_b32 s0, s53, 2
	s_add_u32 s0, s0, s24
	s_addc_u32 s1, s25, 0
	s_add_u32 s0, s0, 0xc4
	s_addc_u32 s1, s1, 0
	s_mul_i32 s2, s53, 12
	s_add_u32 s2, s24, s2
	s_addc_u32 s3, s25, 0
.LBB61_32:                              ; =>This Inner Loop Header: Depth=1
	s_load_dwordx2 s[6:7], s[2:3], 0x4
	s_load_dword s5, s[2:3], 0xc
	s_load_dword s16, s[0:1], 0x0
	s_add_u32 s2, s2, 12
	s_addc_u32 s3, s3, 0
	s_waitcnt lgkmcnt(0)
	v_mul_hi_u32 v1, s7, v2
	v_add_u32_e32 v1, v2, v1
	v_lshrrev_b32_e32 v1, s5, v1
	s_add_u32 s0, s0, 4
	v_mul_lo_u32 v3, v1, s6
	s_addc_u32 s1, s1, 0
	s_add_i32 s4, s4, -1
	v_sub_u32_e32 v3, v2, v3
	s_cmp_lg_u32 s4, 0
	v_mov_b32_e32 v2, v1
	v_mad_u64_u32 v[0:1], s[6:7], v3, s16, v[0:1]
	s_cbranch_scc1 .LBB61_32
.LBB61_33:
	s_cbranch_execnz .LBB61_36
.LBB61_34:
	s_waitcnt lgkmcnt(0)
	v_mul_hi_u32 v0, s13, v4
	v_add_u32_e32 v0, v4, v0
	v_lshrrev_b32_e32 v1, s14, v0
	v_mul_lo_u32 v0, v1, s12
	v_sub_u32_e32 v0, v4, v0
	s_andn2_b64 vcc, exec, s[38:39]
	v_mul_lo_u32 v0, v0, s36
	s_cbranch_vccnz .LBB61_36
; %bb.35:
	v_mul_hi_u32 v2, s34, v1
	v_add_u32_e32 v2, v1, v2
	v_lshrrev_b32_e32 v2, s35, v2
	v_mul_lo_u32 v2, v2, s15
	v_sub_u32_e32 v1, v1, v2
	v_mad_u64_u32 v[0:1], s[0:1], v1, s37, v[0:1]
.LBB61_36:
	s_waitcnt lgkmcnt(0)
	v_mov_b32_e32 v6, s10
	v_mov_b32_e32 v7, s11
	;; [unrolled: 1-line block ×4, first 2 shown]
	v_add_u32_e32 v4, 0x80, v4
	global_store_dwordx4 v0, v[6:9], s[8:9]
	s_or_b64 exec, exec, s[44:45]
	v_cmp_gt_i32_e32 vcc, s51, v4
	s_and_saveexec_b64 s[44:45], vcc
	s_cbranch_execz .LBB61_52
.LBB61_37:
	s_andn2_b64 vcc, exec, s[26:27]
	s_cbranch_vccnz .LBB61_42
; %bb.38:
	s_andn2_b64 vcc, exec, s[42:43]
	s_cbranch_vccnz .LBB61_43
; %bb.39:
	s_add_i32 s54, s52, 1
	s_mov_b32 s53, 0
	s_cmp_eq_u32 s50, 2
	v_mov_b32_e32 v0, 0
	s_cbranch_scc1 .LBB61_44
; %bb.40:
	s_and_b32 s53, s54, 28
	s_mov_b32 s55, 0
	v_mov_b32_e32 v0, 0
	s_mov_b64 s[46:47], s[24:25]
	s_mov_b64 s[48:49], s[40:41]
	v_mov_b32_e32 v2, v4
.LBB61_41:                              ; =>This Inner Loop Header: Depth=1
	s_load_dwordx8 s[0:7], s[46:47], 0x4
	s_load_dwordx4 s[16:19], s[46:47], 0x24
	s_load_dwordx4 s[20:23], s[48:49], 0x0
	s_add_u32 s46, s46, 48
	s_addc_u32 s47, s47, 0
	s_waitcnt lgkmcnt(0)
	v_mul_hi_u32 v1, s1, v2
	v_add_u32_e32 v1, v2, v1
	v_lshrrev_b32_e32 v1, s2, v1
	v_mul_lo_u32 v3, v1, s0
	v_mul_hi_u32 v5, s4, v1
	v_sub_u32_e32 v2, v2, v3
	v_add_u32_e32 v3, v1, v5
	v_lshrrev_b32_e32 v3, s5, v3
	v_mul_lo_u32 v5, v3, s3
	v_mul_hi_u32 v6, s7, v3
	v_sub_u32_e32 v1, v1, v5
	v_add_u32_e32 v5, v3, v6
	v_mul_lo_u32 v2, v2, s20
	v_mul_lo_u32 v1, v1, s21
	v_lshrrev_b32_e32 v5, s16, v5
	v_add3_u32 v0, v2, v0, v1
	v_mul_hi_u32 v2, s18, v5
	v_add_u32_e32 v2, v5, v2
	v_mul_lo_u32 v1, v5, s6
	v_lshrrev_b32_e32 v2, s19, v2
	s_add_i32 s55, s55, 4
	v_sub_u32_e32 v1, v3, v1
	v_mul_lo_u32 v3, v2, s17
	s_add_u32 s48, s48, 16
	v_sub_u32_e32 v3, v5, v3
	s_addc_u32 s49, s49, 0
	v_mul_lo_u32 v1, v1, s22
	v_mul_lo_u32 v3, v3, s23
	s_cmp_eq_u32 s53, s55
	v_add3_u32 v0, v1, v0, v3
	s_cbranch_scc0 .LBB61_41
	s_branch .LBB61_45
.LBB61_42:
                                        ; implicit-def: $vgpr0
	s_branch .LBB61_49
.LBB61_43:
	v_mov_b32_e32 v0, 0
	s_branch .LBB61_48
.LBB61_44:
	v_mov_b32_e32 v2, v4
.LBB61_45:
	s_and_b32 s4, s54, 3
	s_cmp_eq_u32 s4, 0
	s_cbranch_scc1 .LBB61_48
; %bb.46:
	s_lshl_b32 s0, s53, 2
	s_add_u32 s0, s0, s24
	s_addc_u32 s1, s25, 0
	s_add_u32 s0, s0, 0xc4
	s_addc_u32 s1, s1, 0
	s_mul_i32 s2, s53, 12
	s_add_u32 s2, s24, s2
	s_addc_u32 s3, s25, 0
.LBB61_47:                              ; =>This Inner Loop Header: Depth=1
	s_load_dwordx2 s[6:7], s[2:3], 0x4
	s_load_dword s5, s[2:3], 0xc
	s_load_dword s16, s[0:1], 0x0
	s_add_u32 s2, s2, 12
	s_addc_u32 s3, s3, 0
	s_waitcnt lgkmcnt(0)
	v_mul_hi_u32 v1, s7, v2
	v_add_u32_e32 v1, v2, v1
	v_lshrrev_b32_e32 v1, s5, v1
	s_add_u32 s0, s0, 4
	v_mul_lo_u32 v3, v1, s6
	s_addc_u32 s1, s1, 0
	s_add_i32 s4, s4, -1
	v_sub_u32_e32 v3, v2, v3
	s_cmp_lg_u32 s4, 0
	v_mov_b32_e32 v2, v1
	v_mad_u64_u32 v[0:1], s[6:7], v3, s16, v[0:1]
	s_cbranch_scc1 .LBB61_47
.LBB61_48:
	s_cbranch_execnz .LBB61_51
.LBB61_49:
	s_waitcnt lgkmcnt(0)
	v_mul_hi_u32 v0, s13, v4
	v_add_u32_e32 v0, v4, v0
	v_lshrrev_b32_e32 v1, s14, v0
	v_mul_lo_u32 v0, v1, s12
	v_sub_u32_e32 v0, v4, v0
	s_andn2_b64 vcc, exec, s[38:39]
	v_mul_lo_u32 v0, v0, s36
	s_cbranch_vccnz .LBB61_51
; %bb.50:
	v_mul_hi_u32 v2, s34, v1
	v_add_u32_e32 v2, v1, v2
	v_lshrrev_b32_e32 v2, s35, v2
	v_mul_lo_u32 v2, v2, s15
	v_sub_u32_e32 v1, v1, v2
	v_mad_u64_u32 v[0:1], s[0:1], v1, s37, v[0:1]
.LBB61_51:
	s_waitcnt lgkmcnt(0)
	v_mov_b32_e32 v6, s10
	v_mov_b32_e32 v7, s11
	;; [unrolled: 1-line block ×4, first 2 shown]
	v_add_u32_e32 v4, 0x80, v4
	global_store_dwordx4 v0, v[6:9], s[8:9]
.LBB61_52:
	s_or_b64 exec, exec, s[44:45]
	v_cmp_gt_i32_e32 vcc, s51, v4
	s_mov_b64 s[0:1], 0
                                        ; implicit-def: $vgpr8_vgpr9
	s_and_saveexec_b64 s[44:45], vcc
	s_cbranch_execz .LBB61_68
; %bb.53:
	s_andn2_b64 vcc, exec, s[26:27]
	s_cbranch_vccnz .LBB61_58
; %bb.54:
	s_andn2_b64 vcc, exec, s[42:43]
	s_cbranch_vccnz .LBB61_59
; %bb.55:
	s_add_i32 s52, s52, 1
	s_mov_b32 s46, 0
	s_cmp_eq_u32 s50, 2
	v_mov_b32_e32 v0, 0
	s_cbranch_scc1 .LBB61_60
; %bb.56:
	s_and_b32 s46, s52, 28
	s_mov_b32 s47, 0
	v_mov_b32_e32 v0, 0
	s_mov_b64 s[42:43], s[24:25]
	v_mov_b32_e32 v2, v4
.LBB61_57:                              ; =>This Inner Loop Header: Depth=1
	s_load_dwordx8 s[0:7], s[42:43], 0x4
	s_load_dwordx4 s[16:19], s[42:43], 0x24
	s_load_dwordx4 s[20:23], s[40:41], 0x0
	s_add_u32 s42, s42, 48
	s_addc_u32 s43, s43, 0
	s_waitcnt lgkmcnt(0)
	v_mul_hi_u32 v1, s1, v2
	v_add_u32_e32 v1, v2, v1
	v_lshrrev_b32_e32 v1, s2, v1
	v_mul_lo_u32 v3, v1, s0
	v_mul_hi_u32 v5, s4, v1
	v_sub_u32_e32 v2, v2, v3
	v_add_u32_e32 v3, v1, v5
	v_lshrrev_b32_e32 v3, s5, v3
	v_mul_lo_u32 v5, v3, s3
	v_mul_hi_u32 v6, s7, v3
	v_sub_u32_e32 v1, v1, v5
	v_add_u32_e32 v5, v3, v6
	v_mul_lo_u32 v2, v2, s20
	v_mul_lo_u32 v1, v1, s21
	v_lshrrev_b32_e32 v5, s16, v5
	v_add3_u32 v0, v2, v0, v1
	v_mul_hi_u32 v2, s18, v5
	v_add_u32_e32 v2, v5, v2
	v_mul_lo_u32 v1, v5, s6
	v_lshrrev_b32_e32 v2, s19, v2
	s_add_i32 s47, s47, 4
	v_sub_u32_e32 v1, v3, v1
	v_mul_lo_u32 v3, v2, s17
	s_add_u32 s40, s40, 16
	v_sub_u32_e32 v3, v5, v3
	s_addc_u32 s41, s41, 0
	v_mul_lo_u32 v1, v1, s22
	v_mul_lo_u32 v3, v3, s23
	s_cmp_eq_u32 s46, s47
	v_add3_u32 v0, v1, v0, v3
	s_cbranch_scc0 .LBB61_57
	s_branch .LBB61_61
.LBB61_58:
                                        ; implicit-def: $vgpr0
	s_branch .LBB61_65
.LBB61_59:
	v_mov_b32_e32 v0, 0
	s_branch .LBB61_64
.LBB61_60:
	v_mov_b32_e32 v2, v4
.LBB61_61:
	s_and_b32 s4, s52, 3
	s_cmp_eq_u32 s4, 0
	s_cbranch_scc1 .LBB61_64
; %bb.62:
	s_lshl_b32 s0, s46, 2
	s_add_u32 s0, s0, s24
	s_addc_u32 s1, s25, 0
	s_add_u32 s0, s0, 0xc4
	s_addc_u32 s1, s1, 0
	s_mul_i32 s2, s46, 12
	s_add_u32 s2, s24, s2
	s_addc_u32 s3, s25, 0
.LBB61_63:                              ; =>This Inner Loop Header: Depth=1
	s_load_dwordx2 s[6:7], s[2:3], 0x4
	s_load_dword s5, s[2:3], 0xc
	s_load_dword s16, s[0:1], 0x0
	s_add_u32 s2, s2, 12
	s_addc_u32 s3, s3, 0
	s_waitcnt lgkmcnt(0)
	v_mul_hi_u32 v1, s7, v2
	v_add_u32_e32 v1, v2, v1
	v_lshrrev_b32_e32 v1, s5, v1
	s_add_u32 s0, s0, 4
	v_mul_lo_u32 v3, v1, s6
	s_addc_u32 s1, s1, 0
	s_add_i32 s4, s4, -1
	v_sub_u32_e32 v3, v2, v3
	s_cmp_lg_u32 s4, 0
	v_mov_b32_e32 v2, v1
	v_mad_u64_u32 v[0:1], s[6:7], v3, s16, v[0:1]
	s_cbranch_scc1 .LBB61_63
.LBB61_64:
	s_cbranch_execnz .LBB61_67
.LBB61_65:
	s_waitcnt lgkmcnt(0)
	v_mul_hi_u32 v0, s13, v4
	v_add_u32_e32 v0, v4, v0
	v_lshrrev_b32_e32 v1, s14, v0
	v_mul_lo_u32 v0, v1, s12
	v_sub_u32_e32 v0, v4, v0
	s_andn2_b64 vcc, exec, s[38:39]
	v_mul_lo_u32 v0, v0, s36
	s_cbranch_vccnz .LBB61_67
; %bb.66:
	v_mul_hi_u32 v2, s34, v1
	v_add_u32_e32 v2, v1, v2
	v_lshrrev_b32_e32 v2, s35, v2
	v_mul_lo_u32 v2, v2, s15
	v_sub_u32_e32 v1, v1, v2
	v_mad_u64_u32 v[0:1], s[0:1], v1, s37, v[0:1]
.LBB61_67:
	s_waitcnt lgkmcnt(0)
	v_mov_b32_e32 v1, s9
	v_add_co_u32_e32 v8, vcc, s8, v0
	s_mov_b64 s[0:1], exec
	v_addc_co_u32_e32 v9, vcc, 0, v1, vcc
	v_pk_mov_b32 v[2:3], s[10:11], s[10:11] op_sel:[0,1]
	global_store_dwordx2 v0, v[2:3], s[8:9]
.LBB61_68:
	s_or_b64 exec, exec, s[44:45]
	s_and_b64 s[20:21], s[0:1], exec
                                        ; implicit-def: $vgpr10
                                        ; implicit-def: $vgpr4
	s_or_saveexec_b64 s[22:23], s[30:31]
	s_waitcnt lgkmcnt(0)
	v_pk_mov_b32 v[0:1], s[28:29], s[28:29] op_sel:[0,1]
	s_xor_b64 exec, exec, s[22:23]
	s_cbranch_execz .LBB61_2
.LBB61_69:
	v_cndmask_b32_e64 v0, 0, 1, s[26:27]
	v_cmp_ne_u32_e64 s[0:1], 1, v0
	s_andn2_b64 vcc, exec, s[26:27]
	s_cbranch_vccnz .LBB61_75
; %bb.70:
	s_mov_b32 s28, 0
	s_cmp_eq_u32 s33, 0
	v_mov_b32_e32 v0, 0
	s_cbranch_scc1 .LBB61_79
; %bb.71:
	s_min_u32 s29, s50, 15
	s_add_i32 s29, s29, 1
	s_cmp_eq_u32 s50, 2
	v_mov_b32_e32 v0, 0
	s_cbranch_scc1 .LBB61_76
; %bb.72:
	s_add_u32 s2, s24, 0xc4
	s_addc_u32 s3, s25, 0
	s_and_b32 s28, s29, 28
	s_mov_b32 s30, 0
	v_mov_b32_e32 v0, 0
	s_mov_b64 s[26:27], s[24:25]
	v_mov_b32_e32 v2, v4
.LBB61_73:                              ; =>This Inner Loop Header: Depth=1
	s_load_dwordx8 s[4:11], s[26:27], 0x4
	s_load_dwordx4 s[12:15], s[26:27], 0x24
	s_load_dwordx4 s[16:19], s[2:3], 0x0
	s_add_u32 s26, s26, 48
	s_addc_u32 s27, s27, 0
	s_waitcnt lgkmcnt(0)
	v_mul_hi_u32 v1, s5, v2
	v_add_u32_e32 v1, v2, v1
	v_lshrrev_b32_e32 v1, s6, v1
	v_mul_lo_u32 v3, v1, s4
	v_mul_hi_u32 v5, s8, v1
	v_sub_u32_e32 v2, v2, v3
	v_add_u32_e32 v3, v1, v5
	v_lshrrev_b32_e32 v3, s9, v3
	v_mul_lo_u32 v5, v3, s7
	v_mul_hi_u32 v6, s11, v3
	v_sub_u32_e32 v1, v1, v5
	v_add_u32_e32 v5, v3, v6
	v_mul_lo_u32 v2, v2, s16
	v_mul_lo_u32 v1, v1, s17
	v_lshrrev_b32_e32 v5, s12, v5
	v_add3_u32 v0, v2, v0, v1
	v_mul_hi_u32 v2, s14, v5
	v_add_u32_e32 v2, v5, v2
	v_mul_lo_u32 v1, v5, s10
	v_lshrrev_b32_e32 v2, s15, v2
	s_add_i32 s30, s30, 4
	v_sub_u32_e32 v1, v3, v1
	v_mul_lo_u32 v3, v2, s13
	s_add_u32 s2, s2, 16
	v_sub_u32_e32 v3, v5, v3
	s_addc_u32 s3, s3, 0
	v_mul_lo_u32 v1, v1, s18
	v_mul_lo_u32 v3, v3, s19
	s_cmp_lg_u32 s28, s30
	v_add3_u32 v0, v1, v0, v3
	s_cbranch_scc1 .LBB61_73
; %bb.74:
	s_and_b32 s6, s29, 3
	s_cmp_eq_u32 s6, 0
	s_cbranch_scc0 .LBB61_77
	s_branch .LBB61_79
.LBB61_75:
                                        ; implicit-def: $vgpr0
	s_branch .LBB61_80
.LBB61_76:
	v_mov_b32_e32 v2, v4
	s_and_b32 s6, s29, 3
	s_cmp_eq_u32 s6, 0
	s_cbranch_scc1 .LBB61_79
.LBB61_77:
	s_lshl_b32 s2, s28, 2
	s_add_u32 s2, s2, s24
	s_addc_u32 s3, 0, s25
	s_add_u32 s2, s2, 0xc4
	s_addc_u32 s3, s3, 0
	s_mul_i32 s4, s28, 12
	s_add_u32 s4, s24, s4
	s_addc_u32 s5, 0, s25
.LBB61_78:                              ; =>This Inner Loop Header: Depth=1
	s_load_dwordx2 s[8:9], s[4:5], 0x4
	s_load_dword s7, s[4:5], 0xc
	s_load_dword s10, s[2:3], 0x0
	s_add_u32 s4, s4, 12
	s_addc_u32 s5, s5, 0
	s_waitcnt lgkmcnt(0)
	v_mul_hi_u32 v1, s9, v2
	v_add_u32_e32 v1, v2, v1
	v_lshrrev_b32_e32 v1, s7, v1
	s_add_u32 s2, s2, 4
	v_mul_lo_u32 v3, v1, s8
	s_addc_u32 s3, s3, 0
	s_add_i32 s6, s6, -1
	v_sub_u32_e32 v3, v2, v3
	s_cmp_lg_u32 s6, 0
	v_mov_b32_e32 v2, v1
	v_mad_u64_u32 v[0:1], s[8:9], v3, s10, v[0:1]
	s_cbranch_scc1 .LBB61_78
.LBB61_79:
	s_cbranch_execnz .LBB61_82
.LBB61_80:
	s_load_dwordx4 s[4:7], s[24:25], 0x4
	s_load_dword s2, s[24:25], 0xc4
	s_cmp_lt_u32 s33, 2
	s_waitcnt lgkmcnt(0)
	v_mul_hi_u32 v0, s5, v4
	v_add_u32_e32 v0, v4, v0
	v_lshrrev_b32_e32 v1, s6, v0
	v_mul_lo_u32 v0, v1, s4
	v_sub_u32_e32 v0, v4, v0
	v_mul_lo_u32 v0, v0, s2
	s_cbranch_scc1 .LBB61_82
; %bb.81:
	s_load_dwordx4 s[4:7], s[24:25], 0x10
	s_load_dword s2, s[24:25], 0xc8
	s_waitcnt lgkmcnt(0)
	v_mul_hi_u32 v2, s5, v1
	v_add_u32_e32 v2, v1, v2
	v_lshrrev_b32_e32 v2, s6, v2
	v_mul_lo_u32 v2, v2, s4
	v_sub_u32_e32 v1, v1, v2
	v_mad_u64_u32 v[0:1], s[2:3], v1, s2, v[0:1]
.LBB61_82:
	s_and_b64 vcc, exec, s[0:1]
	v_add_u32_e32 v1, 0x80, v4
	s_cbranch_vccnz .LBB61_88
; %bb.83:
	s_mov_b32 s28, 0
	s_cmp_eq_u32 s33, 0
	v_mov_b32_e32 v2, 0
	s_cbranch_scc1 .LBB61_92
; %bb.84:
	s_min_u32 s29, s50, 15
	s_add_i32 s29, s29, 1
	s_cmp_eq_u32 s50, 2
	v_mov_b32_e32 v2, 0
	s_cbranch_scc1 .LBB61_89
; %bb.85:
	s_add_u32 s2, s24, 0xc4
	s_addc_u32 s3, s25, 0
	s_and_b32 s28, s29, 28
	s_mov_b32 s30, 0
	v_mov_b32_e32 v2, 0
	s_mov_b64 s[26:27], s[24:25]
	v_mov_b32_e32 v5, v1
.LBB61_86:                              ; =>This Inner Loop Header: Depth=1
	s_load_dwordx8 s[4:11], s[26:27], 0x4
	s_load_dwordx4 s[12:15], s[26:27], 0x24
	s_load_dwordx4 s[16:19], s[2:3], 0x0
	s_add_u32 s26, s26, 48
	s_addc_u32 s27, s27, 0
	s_waitcnt lgkmcnt(0)
	v_mul_hi_u32 v3, s5, v5
	v_add_u32_e32 v3, v5, v3
	v_lshrrev_b32_e32 v3, s6, v3
	v_mul_lo_u32 v6, v3, s4
	v_mul_hi_u32 v7, s8, v3
	v_sub_u32_e32 v5, v5, v6
	v_add_u32_e32 v6, v3, v7
	v_lshrrev_b32_e32 v6, s9, v6
	v_mul_lo_u32 v7, v6, s7
	v_mul_hi_u32 v8, s11, v6
	v_sub_u32_e32 v3, v3, v7
	v_add_u32_e32 v7, v6, v8
	v_mul_lo_u32 v5, v5, s16
	v_mul_lo_u32 v3, v3, s17
	v_lshrrev_b32_e32 v7, s12, v7
	v_add3_u32 v2, v5, v2, v3
	v_mul_hi_u32 v5, s14, v7
	v_add_u32_e32 v5, v7, v5
	v_mul_lo_u32 v3, v7, s10
	v_lshrrev_b32_e32 v5, s15, v5
	s_add_i32 s30, s30, 4
	v_sub_u32_e32 v3, v6, v3
	v_mul_lo_u32 v6, v5, s13
	s_add_u32 s2, s2, 16
	v_sub_u32_e32 v6, v7, v6
	s_addc_u32 s3, s3, 0
	v_mul_lo_u32 v3, v3, s18
	v_mul_lo_u32 v6, v6, s19
	s_cmp_lg_u32 s28, s30
	v_add3_u32 v2, v3, v2, v6
	s_cbranch_scc1 .LBB61_86
; %bb.87:
	s_and_b32 s6, s29, 3
	s_cmp_eq_u32 s6, 0
	s_cbranch_scc0 .LBB61_90
	s_branch .LBB61_92
.LBB61_88:
                                        ; implicit-def: $vgpr2
	s_branch .LBB61_93
.LBB61_89:
	v_mov_b32_e32 v5, v1
	s_and_b32 s6, s29, 3
	s_cmp_eq_u32 s6, 0
	s_cbranch_scc1 .LBB61_92
.LBB61_90:
	s_lshl_b32 s2, s28, 2
	s_add_u32 s2, s2, s24
	s_addc_u32 s3, 0, s25
	s_add_u32 s2, s2, 0xc4
	s_addc_u32 s3, s3, 0
	s_mul_i32 s4, s28, 12
	s_add_u32 s4, s24, s4
	s_addc_u32 s5, 0, s25
.LBB61_91:                              ; =>This Inner Loop Header: Depth=1
	s_load_dwordx2 s[8:9], s[4:5], 0x4
	s_load_dword s7, s[4:5], 0xc
	s_load_dword s10, s[2:3], 0x0
	s_add_u32 s4, s4, 12
	s_addc_u32 s5, s5, 0
	s_waitcnt lgkmcnt(0)
	v_mul_hi_u32 v3, s9, v5
	v_add_u32_e32 v3, v5, v3
	v_lshrrev_b32_e32 v3, s7, v3
	s_add_u32 s2, s2, 4
	v_mul_lo_u32 v6, v3, s8
	s_addc_u32 s3, s3, 0
	s_add_i32 s6, s6, -1
	v_sub_u32_e32 v6, v5, v6
	s_cmp_lg_u32 s6, 0
	v_mov_b32_e32 v5, v3
	v_mad_u64_u32 v[2:3], s[8:9], v6, s10, v[2:3]
	s_cbranch_scc1 .LBB61_91
.LBB61_92:
	s_cbranch_execnz .LBB61_95
.LBB61_93:
	s_load_dwordx4 s[4:7], s[24:25], 0x4
	s_load_dword s2, s[24:25], 0xc4
	s_cmp_lt_u32 s33, 2
	s_waitcnt lgkmcnt(0)
	v_mul_hi_u32 v2, s5, v1
	v_add_u32_e32 v2, v1, v2
	v_lshrrev_b32_e32 v3, s6, v2
	v_mul_lo_u32 v2, v3, s4
	v_sub_u32_e32 v1, v1, v2
	v_mul_lo_u32 v2, v1, s2
	s_cbranch_scc1 .LBB61_95
; %bb.94:
	s_load_dwordx4 s[4:7], s[24:25], 0x10
	s_load_dword s2, s[24:25], 0xc8
	s_waitcnt lgkmcnt(0)
	v_mul_hi_u32 v1, s5, v3
	v_add_u32_e32 v1, v3, v1
	v_lshrrev_b32_e32 v1, s6, v1
	v_mul_lo_u32 v1, v1, s4
	v_sub_u32_e32 v1, v3, v1
	v_mad_u64_u32 v[2:3], s[2:3], v1, s2, v[2:3]
.LBB61_95:
	s_and_b64 vcc, exec, s[0:1]
	v_add_u32_e32 v1, 0x100, v4
	s_cbranch_vccnz .LBB61_101
; %bb.96:
	s_mov_b32 s28, 0
	s_cmp_eq_u32 s33, 0
	v_mov_b32_e32 v4, 0
	s_cbranch_scc1 .LBB61_105
; %bb.97:
	s_min_u32 s29, s50, 15
	s_add_i32 s29, s29, 1
	s_cmp_eq_u32 s50, 2
	v_mov_b32_e32 v4, 0
	s_cbranch_scc1 .LBB61_102
; %bb.98:
	s_add_u32 s2, s24, 0xc4
	s_addc_u32 s3, s25, 0
	s_and_b32 s28, s29, 28
	s_mov_b32 s30, 0
	v_mov_b32_e32 v4, 0
	s_mov_b64 s[26:27], s[24:25]
	v_mov_b32_e32 v3, v1
.LBB61_99:                              ; =>This Inner Loop Header: Depth=1
	s_load_dwordx8 s[4:11], s[26:27], 0x4
	s_load_dwordx4 s[12:15], s[26:27], 0x24
	s_load_dwordx4 s[16:19], s[2:3], 0x0
	s_add_u32 s26, s26, 48
	s_addc_u32 s27, s27, 0
	s_waitcnt lgkmcnt(0)
	v_mul_hi_u32 v5, s5, v3
	v_add_u32_e32 v5, v3, v5
	v_lshrrev_b32_e32 v5, s6, v5
	v_mul_lo_u32 v6, v5, s4
	v_mul_hi_u32 v7, s8, v5
	v_sub_u32_e32 v3, v3, v6
	v_add_u32_e32 v6, v5, v7
	v_lshrrev_b32_e32 v6, s9, v6
	v_mul_lo_u32 v7, v6, s7
	v_mul_hi_u32 v8, s11, v6
	v_sub_u32_e32 v5, v5, v7
	v_add_u32_e32 v7, v6, v8
	v_mul_lo_u32 v3, v3, s16
	v_mul_lo_u32 v5, v5, s17
	v_lshrrev_b32_e32 v7, s12, v7
	v_add3_u32 v4, v3, v4, v5
	v_mul_lo_u32 v3, v7, s10
	v_mul_hi_u32 v5, s14, v7
	v_sub_u32_e32 v3, v6, v3
	v_add_u32_e32 v5, v7, v5
	v_mul_lo_u32 v6, v3, s18
	v_lshrrev_b32_e32 v3, s15, v5
	s_add_i32 s30, s30, 4
	v_mul_lo_u32 v5, v3, s13
	s_add_u32 s2, s2, 16
	v_sub_u32_e32 v5, v7, v5
	s_addc_u32 s3, s3, 0
	v_mul_lo_u32 v5, v5, s19
	s_cmp_lg_u32 s28, s30
	v_add3_u32 v4, v6, v4, v5
	s_cbranch_scc1 .LBB61_99
; %bb.100:
	s_and_b32 s6, s29, 3
	s_cmp_eq_u32 s6, 0
	s_cbranch_scc0 .LBB61_103
	s_branch .LBB61_105
.LBB61_101:
                                        ; implicit-def: $vgpr4
	s_branch .LBB61_106
.LBB61_102:
	v_mov_b32_e32 v3, v1
	s_and_b32 s6, s29, 3
	s_cmp_eq_u32 s6, 0
	s_cbranch_scc1 .LBB61_105
.LBB61_103:
	s_lshl_b32 s2, s28, 2
	s_add_u32 s2, s2, s24
	s_addc_u32 s3, 0, s25
	s_add_u32 s2, s2, 0xc4
	s_addc_u32 s3, s3, 0
	s_mul_i32 s4, s28, 12
	s_add_u32 s4, s24, s4
	s_addc_u32 s5, 0, s25
.LBB61_104:                             ; =>This Inner Loop Header: Depth=1
	s_load_dwordx2 s[8:9], s[4:5], 0x4
	s_load_dword s7, s[4:5], 0xc
	s_load_dword s10, s[2:3], 0x0
	s_add_u32 s4, s4, 12
	s_addc_u32 s5, s5, 0
	s_waitcnt lgkmcnt(0)
	v_mul_hi_u32 v5, s9, v3
	v_add_u32_e32 v5, v3, v5
	v_lshrrev_b32_e32 v5, s7, v5
	s_add_u32 s2, s2, 4
	v_mul_lo_u32 v6, v5, s8
	s_addc_u32 s3, s3, 0
	s_add_i32 s6, s6, -1
	v_sub_u32_e32 v6, v3, v6
	s_cmp_lg_u32 s6, 0
	v_mov_b32_e32 v3, v5
	v_mad_u64_u32 v[4:5], s[8:9], v6, s10, v[4:5]
	s_cbranch_scc1 .LBB61_104
.LBB61_105:
	s_cbranch_execnz .LBB61_108
.LBB61_106:
	s_load_dwordx4 s[4:7], s[24:25], 0x4
	s_load_dword s2, s[24:25], 0xc4
	s_cmp_lt_u32 s33, 2
	s_waitcnt lgkmcnt(0)
	v_mul_hi_u32 v3, s5, v1
	v_add_u32_e32 v3, v1, v3
	v_lshrrev_b32_e32 v3, s6, v3
	v_mul_lo_u32 v4, v3, s4
	v_sub_u32_e32 v1, v1, v4
	v_mul_lo_u32 v4, v1, s2
	s_cbranch_scc1 .LBB61_108
; %bb.107:
	s_load_dwordx4 s[4:7], s[24:25], 0x10
	s_load_dword s2, s[24:25], 0xc8
	s_waitcnt lgkmcnt(0)
	v_mul_hi_u32 v1, s5, v3
	v_add_u32_e32 v1, v3, v1
	v_lshrrev_b32_e32 v1, s6, v1
	v_mul_lo_u32 v1, v1, s4
	v_sub_u32_e32 v1, v3, v1
	v_mad_u64_u32 v[4:5], s[2:3], v1, s2, v[4:5]
.LBB61_108:
	s_and_b64 vcc, exec, s[0:1]
	s_cbranch_vccnz .LBB61_114
; %bb.109:
	s_mov_b32 s26, 0
	s_cmp_eq_u32 s33, 0
	v_mov_b32_e32 v6, 0
	s_cbranch_scc1 .LBB61_118
; %bb.110:
	s_min_u32 s27, s50, 15
	s_add_i32 s27, s27, 1
	s_cmp_eq_u32 s50, 2
	v_mov_b32_e32 v6, 0
	s_cbranch_scc1 .LBB61_115
; %bb.111:
	s_add_u32 s16, s24, 0xc4
	s_addc_u32 s17, s25, 0
	s_and_b32 s26, s27, 28
	s_mov_b32 s28, 0
	v_mov_b32_e32 v6, 0
	s_mov_b64 s[18:19], s[24:25]
	v_mov_b32_e32 v1, v10
.LBB61_112:                             ; =>This Inner Loop Header: Depth=1
	s_load_dwordx8 s[0:7], s[18:19], 0x4
	s_load_dwordx4 s[8:11], s[18:19], 0x24
	s_load_dwordx4 s[12:15], s[16:17], 0x0
	s_add_u32 s18, s18, 48
	s_addc_u32 s19, s19, 0
	s_waitcnt lgkmcnt(0)
	v_mul_hi_u32 v3, s1, v1
	v_add_u32_e32 v3, v1, v3
	v_lshrrev_b32_e32 v3, s2, v3
	v_mul_lo_u32 v5, v3, s0
	v_mul_hi_u32 v7, s4, v3
	v_sub_u32_e32 v1, v1, v5
	v_add_u32_e32 v5, v3, v7
	v_lshrrev_b32_e32 v5, s5, v5
	v_mul_lo_u32 v7, v5, s3
	v_mul_hi_u32 v8, s7, v5
	v_sub_u32_e32 v3, v3, v7
	v_add_u32_e32 v7, v5, v8
	v_mul_lo_u32 v1, v1, s12
	v_mul_lo_u32 v3, v3, s13
	v_lshrrev_b32_e32 v7, s8, v7
	v_add3_u32 v3, v1, v6, v3
	v_mul_lo_u32 v1, v7, s6
	v_mul_hi_u32 v6, s10, v7
	v_sub_u32_e32 v1, v5, v1
	v_add_u32_e32 v5, v7, v6
	v_mul_lo_u32 v6, v1, s14
	v_lshrrev_b32_e32 v1, s11, v5
	s_add_i32 s28, s28, 4
	v_mul_lo_u32 v5, v1, s9
	s_add_u32 s16, s16, 16
	v_sub_u32_e32 v5, v7, v5
	s_addc_u32 s17, s17, 0
	v_mul_lo_u32 v5, v5, s15
	s_cmp_lg_u32 s26, s28
	v_add3_u32 v6, v6, v3, v5
	s_cbranch_scc1 .LBB61_112
; %bb.113:
	s_and_b32 s4, s27, 3
	s_cmp_eq_u32 s4, 0
	s_cbranch_scc0 .LBB61_116
	s_branch .LBB61_118
.LBB61_114:
                                        ; implicit-def: $vgpr6
	s_branch .LBB61_119
.LBB61_115:
	v_mov_b32_e32 v1, v10
	s_and_b32 s4, s27, 3
	s_cmp_eq_u32 s4, 0
	s_cbranch_scc1 .LBB61_118
.LBB61_116:
	s_lshl_b32 s0, s26, 2
	s_add_u32 s0, s0, s24
	s_addc_u32 s1, 0, s25
	s_add_u32 s0, s0, 0xc4
	s_addc_u32 s1, s1, 0
	s_mul_i32 s2, s26, 12
	s_add_u32 s2, s24, s2
	s_addc_u32 s3, 0, s25
.LBB61_117:                             ; =>This Inner Loop Header: Depth=1
	s_load_dwordx2 s[6:7], s[2:3], 0x4
	s_load_dword s5, s[2:3], 0xc
	s_load_dword s8, s[0:1], 0x0
	s_add_u32 s2, s2, 12
	s_addc_u32 s3, s3, 0
	s_waitcnt lgkmcnt(0)
	v_mul_hi_u32 v3, s7, v1
	v_add_u32_e32 v3, v1, v3
	v_lshrrev_b32_e32 v3, s5, v3
	s_add_u32 s0, s0, 4
	v_mul_lo_u32 v5, v3, s6
	s_addc_u32 s1, s1, 0
	s_add_i32 s4, s4, -1
	v_sub_u32_e32 v5, v1, v5
	s_cmp_lg_u32 s4, 0
	v_mov_b32_e32 v1, v3
	v_mad_u64_u32 v[6:7], s[6:7], v5, s8, v[6:7]
	s_cbranch_scc1 .LBB61_117
.LBB61_118:
	s_cbranch_execnz .LBB61_121
.LBB61_119:
	s_load_dwordx4 s[0:3], s[24:25], 0x4
	s_waitcnt lgkmcnt(0)
	s_load_dword s3, s[24:25], 0xc4
	s_cmp_lt_u32 s33, 2
	v_mul_hi_u32 v1, s1, v10
	v_add_u32_e32 v1, v10, v1
	v_lshrrev_b32_e32 v1, s2, v1
	v_mul_lo_u32 v3, v1, s0
	v_sub_u32_e32 v3, v10, v3
	s_waitcnt lgkmcnt(0)
	v_mul_lo_u32 v6, v3, s3
	s_cbranch_scc1 .LBB61_121
; %bb.120:
	s_load_dwordx4 s[0:3], s[24:25], 0x10
	s_waitcnt lgkmcnt(0)
	s_load_dword s3, s[24:25], 0xc8
	v_mul_hi_u32 v3, s1, v1
	v_add_u32_e32 v3, v1, v3
	v_lshrrev_b32_e32 v3, s2, v3
	v_mul_lo_u32 v3, v3, s0
	v_sub_u32_e32 v1, v1, v3
	s_waitcnt lgkmcnt(0)
	v_mad_u64_u32 v[6:7], s[0:1], v1, s3, v[6:7]
.LBB61_121:
	s_load_dwordx4 s[0:3], s[24:25], 0x108
	s_load_dwordx2 s[6:7], s[24:25], 0x118
	s_or_b64 s[20:21], s[20:21], exec
	s_waitcnt lgkmcnt(0)
	s_mov_b32 s4, s2
	s_mov_b32 s5, s3
	v_pk_mov_b32 v[12:13], s[6:7], s[6:7] op_sel:[0,1]
	v_mov_b32_e32 v1, s1
	v_add_co_u32_e32 v8, vcc, s0, v6
	v_pk_mov_b32 v[10:11], s[4:5], s[4:5] op_sel:[0,1]
	v_mov_b32_e32 v14, s2
	v_mov_b32_e32 v15, s3
	v_addc_co_u32_e32 v9, vcc, 0, v1, vcc
	global_store_dwordx4 v0, v[10:13], s[0:1]
	global_store_dwordx4 v2, v[10:13], s[0:1]
	;; [unrolled: 1-line block ×3, first 2 shown]
	global_store_dwordx2 v6, v[14:15], s[0:1]
	v_pk_mov_b32 v[0:1], s[6:7], s[6:7] op_sel:[0,1]
	s_or_b64 exec, exec, s[22:23]
	s_and_saveexec_b64 s[0:1], s[20:21]
	s_cbranch_execz .LBB61_3
.LBB61_122:
	global_store_dwordx2 v[8:9], v[0:1], off offset:8
	s_endpgm
	.section	.rodata,"a",@progbits
	.p2align	6, 0x0
	.amdhsa_kernel _ZN2at6native32elementwise_kernel_manual_unrollILi128ELi4EZNS0_22gpu_kernel_impl_nocastINS0_11FillFunctorIN3c107complexIdEEEEEEvRNS_18TensorIteratorBaseERKT_EUlibE_EEviT1_
		.amdhsa_group_segment_fixed_size 0
		.amdhsa_private_segment_fixed_size 0
		.amdhsa_kernarg_size 304
		.amdhsa_user_sgpr_count 6
		.amdhsa_user_sgpr_private_segment_buffer 1
		.amdhsa_user_sgpr_dispatch_ptr 0
		.amdhsa_user_sgpr_queue_ptr 0
		.amdhsa_user_sgpr_kernarg_segment_ptr 1
		.amdhsa_user_sgpr_dispatch_id 0
		.amdhsa_user_sgpr_flat_scratch_init 0
		.amdhsa_user_sgpr_kernarg_preload_length 0
		.amdhsa_user_sgpr_kernarg_preload_offset 0
		.amdhsa_user_sgpr_private_segment_size 0
		.amdhsa_uses_dynamic_stack 0
		.amdhsa_system_sgpr_private_segment_wavefront_offset 0
		.amdhsa_system_sgpr_workgroup_id_x 1
		.amdhsa_system_sgpr_workgroup_id_y 0
		.amdhsa_system_sgpr_workgroup_id_z 0
		.amdhsa_system_sgpr_workgroup_info 0
		.amdhsa_system_vgpr_workitem_id 0
		.amdhsa_next_free_vgpr 16
		.amdhsa_next_free_sgpr 56
		.amdhsa_accum_offset 16
		.amdhsa_reserve_vcc 1
		.amdhsa_reserve_flat_scratch 0
		.amdhsa_float_round_mode_32 0
		.amdhsa_float_round_mode_16_64 0
		.amdhsa_float_denorm_mode_32 3
		.amdhsa_float_denorm_mode_16_64 3
		.amdhsa_dx10_clamp 1
		.amdhsa_ieee_mode 1
		.amdhsa_fp16_overflow 0
		.amdhsa_tg_split 0
		.amdhsa_exception_fp_ieee_invalid_op 0
		.amdhsa_exception_fp_denorm_src 0
		.amdhsa_exception_fp_ieee_div_zero 0
		.amdhsa_exception_fp_ieee_overflow 0
		.amdhsa_exception_fp_ieee_underflow 0
		.amdhsa_exception_fp_ieee_inexact 0
		.amdhsa_exception_int_div_zero 0
	.end_amdhsa_kernel
	.section	.text._ZN2at6native32elementwise_kernel_manual_unrollILi128ELi4EZNS0_22gpu_kernel_impl_nocastINS0_11FillFunctorIN3c107complexIdEEEEEEvRNS_18TensorIteratorBaseERKT_EUlibE_EEviT1_,"axG",@progbits,_ZN2at6native32elementwise_kernel_manual_unrollILi128ELi4EZNS0_22gpu_kernel_impl_nocastINS0_11FillFunctorIN3c107complexIdEEEEEEvRNS_18TensorIteratorBaseERKT_EUlibE_EEviT1_,comdat
.Lfunc_end61:
	.size	_ZN2at6native32elementwise_kernel_manual_unrollILi128ELi4EZNS0_22gpu_kernel_impl_nocastINS0_11FillFunctorIN3c107complexIdEEEEEEvRNS_18TensorIteratorBaseERKT_EUlibE_EEviT1_, .Lfunc_end61-_ZN2at6native32elementwise_kernel_manual_unrollILi128ELi4EZNS0_22gpu_kernel_impl_nocastINS0_11FillFunctorIN3c107complexIdEEEEEEvRNS_18TensorIteratorBaseERKT_EUlibE_EEviT1_
                                        ; -- End function
	.section	.AMDGPU.csdata,"",@progbits
; Kernel info:
; codeLenInByte = 5076
; NumSgprs: 60
; NumVgprs: 16
; NumAgprs: 0
; TotalNumVgprs: 16
; ScratchSize: 0
; MemoryBound: 0
; FloatMode: 240
; IeeeMode: 1
; LDSByteSize: 0 bytes/workgroup (compile time only)
; SGPRBlocks: 7
; VGPRBlocks: 1
; NumSGPRsForWavesPerEU: 60
; NumVGPRsForWavesPerEU: 16
; AccumOffset: 16
; Occupancy: 8
; WaveLimiterHint : 1
; COMPUTE_PGM_RSRC2:SCRATCH_EN: 0
; COMPUTE_PGM_RSRC2:USER_SGPR: 6
; COMPUTE_PGM_RSRC2:TRAP_HANDLER: 0
; COMPUTE_PGM_RSRC2:TGID_X_EN: 1
; COMPUTE_PGM_RSRC2:TGID_Y_EN: 0
; COMPUTE_PGM_RSRC2:TGID_Z_EN: 0
; COMPUTE_PGM_RSRC2:TIDIG_COMP_CNT: 0
; COMPUTE_PGM_RSRC3_GFX90A:ACCUM_OFFSET: 3
; COMPUTE_PGM_RSRC3_GFX90A:TG_SPLIT: 0
	.section	.text._ZN2at6native32elementwise_kernel_manual_unrollILi128ELi4EZNS0_15gpu_kernel_implINS0_11FillFunctorIN3c107complexIdEEEEEEvRNS_18TensorIteratorBaseERKT_EUlibE_EEviT1_,"axG",@progbits,_ZN2at6native32elementwise_kernel_manual_unrollILi128ELi4EZNS0_15gpu_kernel_implINS0_11FillFunctorIN3c107complexIdEEEEEEvRNS_18TensorIteratorBaseERKT_EUlibE_EEviT1_,comdat
	.protected	_ZN2at6native32elementwise_kernel_manual_unrollILi128ELi4EZNS0_15gpu_kernel_implINS0_11FillFunctorIN3c107complexIdEEEEEEvRNS_18TensorIteratorBaseERKT_EUlibE_EEviT1_ ; -- Begin function _ZN2at6native32elementwise_kernel_manual_unrollILi128ELi4EZNS0_15gpu_kernel_implINS0_11FillFunctorIN3c107complexIdEEEEEEvRNS_18TensorIteratorBaseERKT_EUlibE_EEviT1_
	.globl	_ZN2at6native32elementwise_kernel_manual_unrollILi128ELi4EZNS0_15gpu_kernel_implINS0_11FillFunctorIN3c107complexIdEEEEEEvRNS_18TensorIteratorBaseERKT_EUlibE_EEviT1_
	.p2align	8
	.type	_ZN2at6native32elementwise_kernel_manual_unrollILi128ELi4EZNS0_15gpu_kernel_implINS0_11FillFunctorIN3c107complexIdEEEEEEvRNS_18TensorIteratorBaseERKT_EUlibE_EEviT1_,@function
_ZN2at6native32elementwise_kernel_manual_unrollILi128ELi4EZNS0_15gpu_kernel_implINS0_11FillFunctorIN3c107complexIdEEEEEEvRNS_18TensorIteratorBaseERKT_EUlibE_EEviT1_: ; @_ZN2at6native32elementwise_kernel_manual_unrollILi128ELi4EZNS0_15gpu_kernel_implINS0_11FillFunctorIN3c107complexIdEEEEEEvRNS_18TensorIteratorBaseERKT_EUlibE_EEviT1_
; %bb.0:
	v_lshl_or_b32 v18, s6, 9, v0
	s_load_dword s50, s[4:5], 0x0
	s_load_dwordx2 s[12:13], s[4:5], 0x10
	s_load_dword s54, s[4:5], 0x18
	s_load_dwordx4 s[8:11], s[4:5], 0x20
	s_load_dword s33, s[4:5], 0x30
	v_or_b32_e32 v0, 0x180, v18
	s_waitcnt lgkmcnt(0)
	v_cmp_le_i32_e32 vcc, s50, v0
	s_mov_b64 s[6:7], 0
	s_mov_b64 s[0:1], 0
	s_and_saveexec_b64 s[2:3], vcc
	s_xor_b64 s[14:15], exec, s[2:3]
	s_cbranch_execz .LBB62_404
; %bb.1:
	v_trunc_f64_e32 v[2:3], s[8:9]
	s_movk_i32 s0, 0xffe0
	v_ldexp_f64 v[0:1], v[2:3], s0
	v_floor_f64_e32 v[4:5], v[0:1]
	v_fmac_f64_e32 v[2:3], 0xc1f00000, v[4:5]
	v_cvt_u32_f64_e32 v0, v[2:3]
	v_cmp_neq_f64_e64 s[0:1], s[8:9], 0
	v_cmp_neq_f64_e64 s[2:3], s[10:11], 0
	v_cvt_f32_f64_e32 v2, s[8:9]
	s_or_b64 s[0:1], s[0:1], s[2:3]
	v_and_b32_e32 v8, 0x400000, v2
	v_cndmask_b32_e64 v10, 0, 1, s[0:1]
	v_bfe_u32 v7, v2, 23, 8
	s_movk_i32 s0, 0xff
	v_cmp_ne_u32_e32 vcc, 0, v8
	v_and_b32_e32 v8, 0x3fffff, v2
	v_cmp_eq_u32_e64 s[4:5], s0, v7
	v_or_b32_e32 v7, v7, v8
	v_cmp_ne_u32_e64 s[0:1], 0, v7
	v_readfirstlane_b32 s18, v2
	s_and_b64 s[0:1], vcc, s[0:1]
	s_and_b32 s34, s18, 0x7fffffff
	s_cmp_lt_u32 s34, 0x43800000
	s_cselect_b64 s[28:29], -1, 0
	s_cmp_gt_u32 s34, 0x3bffffff
	v_cndmask_b32_e64 v7, 0, 1, s[0:1]
	s_cselect_b64 s[2:3], -1, 0
	s_bfe_u32 s0, s18, 0x10014
	s_add_i32 s19, s18, s0
	s_add_i32 s0, s19, 0x487ffff
	s_lshr_b32 s62, s0, 20
	s_mov_b32 s0, 0x46000000
	v_add_f32_e64 v16, |v2|, s0
	v_readfirstlane_b32 s0, v16
	s_and_b32 s0, s0, 0xff
	s_cmp_lg_u32 s0, 0
	s_cselect_b64 s[30:31], -1, 0
	s_cmp_gt_u32 s34, 0x477fffff
	s_cselect_b64 s[16:17], -1, 0
	s_cmp_lt_u32 s34, 0x47800000
	s_movk_i32 s0, 0x80
	s_cselect_b64 s[24:25], -1, 0
	s_cmp_gt_u32 s34, 0x37ffffff
	v_and_b32_sdwa v12, v2, s0 dst_sel:DWORD dst_unused:UNUSED_PAD src0_sel:BYTE_3 src1_sel:DWORD
	s_cselect_b64 s[0:1], -1, 0
	s_bfe_u32 s20, s18, 0x10015
	s_add_i32 s35, s18, s20
	s_add_i32 s18, s35, 0x88fffff
	s_lshr_b32 s60, s18, 21
	s_mov_b32 s18, 0x42800000
	v_add_f32_e64 v14, |v2|, s18
	v_readfirstlane_b32 s18, v14
	s_and_b32 s18, s18, 0xff
	s_cmp_lg_u32 s18, 0
	s_cselect_b64 s[26:27], -1, 0
	s_cmp_gt_u32 s34, 0x43efffff
	s_cselect_b64 s[20:21], -1, 0
	s_cmp_lt_u32 s34, 0x3c800000
	s_cselect_b64 s[22:23], -1, 0
	s_add_i32 s19, s19, 0x407ffff
	s_lshr_b32 s18, s19, 20
	s_and_b32 s19, s19, 0xff00000
	s_cmp_lg_u32 s19, 0x7f00000
	v_lshrrev_b32_e32 v6, 23, v2
	s_cselect_b32 s58, s18, 0x7e
	s_mov_b32 s18, 0x46800000
	s_cmp_lt_u32 s34, 0x38800000
	v_add_u32_e32 v17, v6, v7
	v_add_f32_e64 v6, |v2|, s18
	s_cselect_b64 s[18:19], -1, 0
	s_add_i32 s35, s35, 0x80fffff
	s_lshr_b32 s55, s35, 21
	s_cmp_gt_u32 s34, 0x7f800000
	s_movk_i32 s34, 0x7f
	s_cselect_b32 s61, s34, 0x7e
	s_mov_b32 s34, 0x43000000
	v_readfirstlane_b32 s59, v6
	v_add_f32_e64 v6, |v2|, s34
	v_readfirstlane_b32 s56, v6
	v_bfe_u32 v6, v2, 16, 1
	v_add_u32_e32 v6, v2, v6
	v_add_u32_e32 v6, 0x7fff, v6
	v_cvt_f32_f64_e32 v3, s[10:11]
	v_lshrrev_b32_e32 v6, 16, v6
	v_mov_b32_e32 v7, 0x7fc0
	v_cmp_o_f32_e32 vcc, v2, v2
	v_cndmask_b32_e32 v13, v7, v6, vcc
	v_bfe_u32 v6, v3, 16, 1
	v_add_u32_e32 v6, v3, v6
	v_cvt_f16_f32_e32 v9, v2
	v_cvt_f16_f32_sdwa v8, v3 dst_sel:WORD_1 dst_unused:UNUSED_PAD src0_sel:DWORD
	v_add_u32_e32 v6, 0x7fff, v6
	v_and_b32_e32 v6, 0xffff0000, v6
	v_mov_b32_e32 v7, 0x7fc00000
	v_cmp_o_f32_e32 vcc, v3, v3
	s_movk_i32 s34, 0x7c
	v_cndmask_b32_e32 v6, v7, v6, vcc
	v_cvt_u32_f64_e32 v1, v[4:5]
	v_cvt_u32_f64_e32 v15, s[8:9]
	s_mov_b64 s[40:41], 0
	s_cselect_b32 s57, 0x7f, s34
	v_or_b32_e32 v19, v6, v13
	v_or_b32_e32 v11, v8, v9
	v_cvt_i32_f64_e32 v5, v[4:5]
	v_mov_b32_e32 v4, v0
	v_cvt_i32_f64_e32 v8, s[8:9]
	v_cmp_gt_i32_e32 vcc, s50, v18
	s_mov_b64 s[38:39], -1
	s_mov_b64 s[34:35], 0
	s_and_saveexec_b64 s[36:37], vcc
	s_cbranch_execz .LBB62_100
; %bb.2:
	v_mul_lo_u32 v6, v18, s54
	v_ashrrev_i32_e32 v7, 31, v6
	v_mov_b32_e32 v20, s13
	v_add_co_u32_e32 v6, vcc, s12, v6
	v_addc_co_u32_e32 v7, vcc, v20, v7, vcc
	v_mov_b32_e32 v20, 11
	v_cmp_lt_i16_sdwa s[34:35], s33, v20 src0_sel:BYTE_0 src1_sel:DWORD
	s_and_b64 vcc, exec, s[34:35]
	s_cbranch_vccnz .LBB62_9
; %bb.3:
	v_mov_b32_e32 v20, 25
	v_cmp_gt_i16_sdwa s[34:35], s33, v20 src0_sel:BYTE_0 src1_sel:DWORD
	s_and_b64 vcc, exec, s[34:35]
	s_cbranch_vccz .LBB62_12
; %bb.4:
	v_mov_b32_e32 v20, 28
	v_cmp_gt_i16_sdwa s[34:35], s33, v20 src0_sel:BYTE_0 src1_sel:DWORD
	s_and_b64 vcc, exec, s[34:35]
	s_cbranch_vccz .LBB62_13
	;; [unrolled: 5-line block ×4, first 2 shown]
; %bb.7:
	v_mov_b32_e32 v20, 46
	v_cmp_eq_u16_sdwa s[38:39], s33, v20 src0_sel:BYTE_0 src1_sel:DWORD
	s_mov_b64 s[42:43], 0
	s_mov_b64 s[34:35], -1
	s_and_b64 vcc, exec, s[38:39]
	s_mov_b64 s[38:39], 0
	s_cbranch_vccz .LBB62_16
; %bb.8:
	global_store_dword v[6:7], v19, off
	s_mov_b64 s[38:39], -1
	s_mov_b64 s[34:35], 0
	s_branch .LBB62_16
.LBB62_9:
	s_mov_b64 s[34:35], 0
	s_mov_b64 s[38:39], 0
	s_cbranch_execnz .LBB62_60
.LBB62_10:
	s_andn2_b64 vcc, exec, s[38:39]
	s_cbranch_vccnz .LBB62_98
.LBB62_11:
	v_add_u32_e32 v18, 0x80, v18
	s_mov_b64 s[38:39], -1
	s_branch .LBB62_99
.LBB62_12:
	s_mov_b64 s[34:35], 0
	s_mov_b64 s[38:39], 0
	s_cbranch_execnz .LBB62_38
	s_branch .LBB62_59
.LBB62_13:
	s_mov_b64 s[42:43], -1
	s_mov_b64 s[34:35], 0
	s_mov_b64 s[38:39], 0
	s_branch .LBB62_24
.LBB62_14:
	s_mov_b64 s[42:43], -1
	s_mov_b64 s[34:35], 0
	s_mov_b64 s[38:39], 0
	s_branch .LBB62_20
.LBB62_15:
	s_mov_b64 s[42:43], -1
	s_mov_b64 s[34:35], 0
	s_mov_b64 s[38:39], 0
.LBB62_16:
	s_and_b64 vcc, exec, s[42:43]
	s_cbranch_vccz .LBB62_19
; %bb.17:
	v_mov_b32_e32 v20, 44
	v_cmp_eq_u16_sdwa s[42:43], s33, v20 src0_sel:BYTE_0 src1_sel:DWORD
	s_mov_b64 s[34:35], -1
	s_and_b64 vcc, exec, s[42:43]
	s_cbranch_vccz .LBB62_19
; %bb.18:
	v_mov_b32_e32 v20, 0xff
	v_cndmask_b32_e64 v20, v17, v20, s[4:5]
	global_store_byte v[6:7], v20, off
	s_mov_b64 s[38:39], -1
	s_mov_b64 s[34:35], 0
.LBB62_19:
	s_mov_b64 s[42:43], 0
.LBB62_20:
	s_and_b64 vcc, exec, s[42:43]
	s_cbranch_vccz .LBB62_23
; %bb.21:
	v_mov_b32_e32 v20, 29
	v_cmp_eq_u16_sdwa s[42:43], s33, v20 src0_sel:BYTE_0 src1_sel:DWORD
	s_mov_b64 s[34:35], -1
	s_and_b64 vcc, exec, s[42:43]
	s_cbranch_vccz .LBB62_23
; %bb.22:
	global_store_dwordx2 v[6:7], v[0:1], off
	s_mov_b64 s[38:39], -1
	s_mov_b64 s[34:35], 0
.LBB62_23:
	s_mov_b64 s[42:43], 0
.LBB62_24:
	s_and_b64 vcc, exec, s[42:43]
	s_cbranch_vccz .LBB62_37
; %bb.25:
	v_mov_b32_e32 v20, 27
	v_cmp_lt_i16_sdwa s[42:43], s33, v20 src0_sel:BYTE_0 src1_sel:DWORD
	s_mov_b64 s[38:39], -1
	s_and_b64 vcc, exec, s[42:43]
	s_cbranch_vccnz .LBB62_31
; %bb.26:
	v_cmp_gt_i16_sdwa s[42:43], s33, v20 src0_sel:BYTE_0 src1_sel:DWORD
	s_and_b64 vcc, exec, s[42:43]
	s_cbranch_vccz .LBB62_28
; %bb.27:
	s_mov_b64 s[38:39], 0
	global_store_dword v[6:7], v15, off
.LBB62_28:
	s_andn2_b64 vcc, exec, s[38:39]
	s_cbranch_vccnz .LBB62_30
; %bb.29:
	global_store_short v[6:7], v15, off
.LBB62_30:
	s_mov_b64 s[38:39], 0
.LBB62_31:
	s_andn2_b64 vcc, exec, s[38:39]
	s_cbranch_vccnz .LBB62_36
; %bb.32:
	s_andn2_b64 vcc, exec, s[28:29]
	v_mov_b32_e32 v20, 0x80
	s_cbranch_vccnz .LBB62_35
; %bb.33:
	s_or_b64 s[38:39], s[2:3], s[30:31]
	s_andn2_b64 vcc, exec, s[38:39]
	v_mov_b32_e32 v20, 0
	s_cbranch_vccnz .LBB62_35
; %bb.34:
	v_mov_b32_e32 v20, s62
	v_cndmask_b32_e64 v20, v16, v20, s[2:3]
	v_or_b32_e32 v20, v20, v12
.LBB62_35:
	global_store_byte v[6:7], v20, off
.LBB62_36:
	s_mov_b64 s[38:39], -1
.LBB62_37:
	s_branch .LBB62_59
.LBB62_38:
	v_mov_b32_e32 v20, 22
	v_cmp_gt_i16_sdwa s[44:45], s33, v20 src0_sel:BYTE_0 src1_sel:DWORD
	s_mov_b64 s[42:43], -1
	s_and_b64 vcc, exec, s[44:45]
	s_cbranch_vccz .LBB62_51
; %bb.39:
	v_mov_b32_e32 v20, 24
	v_cmp_lt_i16_sdwa s[42:43], s33, v20 src0_sel:BYTE_0 src1_sel:DWORD
	s_mov_b64 s[38:39], -1
	s_and_b64 vcc, exec, s[42:43]
	s_cbranch_vccnz .LBB62_48
; %bb.40:
	v_cmp_gt_i16_sdwa s[42:43], s33, v20 src0_sel:BYTE_0 src1_sel:DWORD
	s_and_b64 vcc, exec, s[42:43]
	s_cbranch_vccz .LBB62_45
; %bb.41:
	s_andn2_b64 vcc, exec, s[24:25]
	v_mov_b32_e32 v20, 0x80
	s_cbranch_vccnz .LBB62_44
; %bb.42:
	s_or_b64 s[38:39], s[0:1], s[26:27]
	s_andn2_b64 vcc, exec, s[38:39]
	v_mov_b32_e32 v20, 0
	s_cbranch_vccnz .LBB62_44
; %bb.43:
	v_mov_b32_e32 v20, s60
	v_cndmask_b32_e64 v20, v14, v20, s[0:1]
	v_or_b32_e32 v20, v20, v12
.LBB62_44:
	s_mov_b64 s[38:39], 0
	global_store_byte v[6:7], v20, off
.LBB62_45:
	s_and_b64 vcc, exec, s[38:39]
	s_cbranch_vccz .LBB62_47
; %bb.46:
	s_and_b64 s[38:39], s[22:23], exec
	s_cselect_b32 s42, s59, s58
	s_and_b64 s[38:39], s[20:21], exec
	s_cselect_b32 s38, s61, s42
	v_or_b32_e32 v20, s38, v12
	global_store_byte v[6:7], v20, off
.LBB62_47:
	s_mov_b64 s[38:39], 0
.LBB62_48:
	s_andn2_b64 vcc, exec, s[38:39]
	s_cbranch_vccnz .LBB62_50
; %bb.49:
	s_and_b64 s[38:39], s[18:19], exec
	s_cselect_b32 s42, s56, s55
	s_and_b64 s[38:39], s[16:17], exec
	s_cselect_b32 s38, s57, s42
	v_or_b32_e32 v20, s38, v12
	global_store_byte v[6:7], v20, off
.LBB62_50:
	s_mov_b64 s[42:43], 0
	s_mov_b64 s[38:39], -1
.LBB62_51:
	s_andn2_b64 vcc, exec, s[42:43]
	s_cbranch_vccnz .LBB62_59
; %bb.52:
	v_mov_b32_e32 v20, 14
	v_cmp_gt_i16_sdwa s[44:45], s33, v20 src0_sel:BYTE_0 src1_sel:DWORD
	s_mov_b64 s[42:43], -1
	s_and_b64 vcc, exec, s[44:45]
	s_cbranch_vccz .LBB62_56
; %bb.53:
	v_mov_b32_e32 v20, 15
	v_cmp_eq_u16_sdwa s[42:43], s33, v20 src0_sel:BYTE_0 src1_sel:DWORD
	s_mov_b64 s[34:35], -1
	s_and_b64 vcc, exec, s[42:43]
	s_cbranch_vccz .LBB62_55
; %bb.54:
	global_store_short v[6:7], v13, off
	s_mov_b64 s[38:39], -1
	s_mov_b64 s[34:35], 0
.LBB62_55:
	s_mov_b64 s[42:43], 0
.LBB62_56:
	s_and_b64 vcc, exec, s[42:43]
	s_cbranch_vccz .LBB62_59
; %bb.57:
	v_mov_b32_e32 v20, 11
	v_cmp_eq_u16_sdwa s[42:43], s33, v20 src0_sel:BYTE_0 src1_sel:DWORD
	s_mov_b64 s[34:35], -1
	s_and_b64 vcc, exec, s[42:43]
	s_cbranch_vccz .LBB62_59
; %bb.58:
	s_mov_b64 s[38:39], -1
	s_mov_b64 s[34:35], 0
	global_store_byte v[6:7], v10, off
.LBB62_59:
	s_branch .LBB62_10
.LBB62_60:
	v_mov_b32_e32 v20, 5
	v_cmp_lt_i16_sdwa s[42:43], s33, v20 src0_sel:BYTE_0 src1_sel:DWORD
	s_mov_b64 s[38:39], -1
	s_and_b64 vcc, exec, s[42:43]
	s_cbranch_vccnz .LBB62_81
; %bb.61:
	v_mov_b32_e32 v20, 8
	v_cmp_lt_i16_sdwa s[42:43], s33, v20 src0_sel:BYTE_0 src1_sel:DWORD
	s_and_b64 vcc, exec, s[42:43]
	s_cbranch_vccnz .LBB62_71
; %bb.62:
	v_mov_b32_e32 v20, 9
	v_cmp_lt_i16_sdwa s[42:43], s33, v20 src0_sel:BYTE_0 src1_sel:DWORD
	s_and_b64 vcc, exec, s[42:43]
	s_cbranch_vccnz .LBB62_68
; %bb.63:
	v_cmp_gt_i16_sdwa s[42:43], s33, v20 src0_sel:BYTE_0 src1_sel:DWORD
	s_and_b64 vcc, exec, s[42:43]
	s_cbranch_vccz .LBB62_65
; %bb.64:
	v_mov_b32_e32 v20, s8
	v_mov_b32_e32 v21, s9
	v_mov_b32_e32 v22, s10
	v_mov_b32_e32 v23, s11
	global_store_dwordx4 v[6:7], v[20:23], off
	s_mov_b64 s[38:39], 0
.LBB62_65:
	s_andn2_b64 vcc, exec, s[38:39]
	s_cbranch_vccnz .LBB62_67
; %bb.66:
	global_store_dwordx2 v[6:7], v[2:3], off
.LBB62_67:
	s_mov_b64 s[38:39], 0
.LBB62_68:
	s_andn2_b64 vcc, exec, s[38:39]
	s_cbranch_vccnz .LBB62_70
; %bb.69:
	global_store_dword v[6:7], v11, off
.LBB62_70:
	s_mov_b64 s[38:39], 0
.LBB62_71:
	s_andn2_b64 vcc, exec, s[38:39]
	s_cbranch_vccnz .LBB62_80
; %bb.72:
	v_mov_b32_e32 v20, 6
	v_cmp_lt_i16_sdwa s[42:43], s33, v20 src0_sel:BYTE_0 src1_sel:DWORD
	s_mov_b64 s[38:39], -1
	s_and_b64 vcc, exec, s[42:43]
	s_cbranch_vccnz .LBB62_78
; %bb.73:
	v_cmp_gt_i16_sdwa s[42:43], s33, v20 src0_sel:BYTE_0 src1_sel:DWORD
	s_and_b64 vcc, exec, s[42:43]
	s_cbranch_vccz .LBB62_75
; %bb.74:
	v_pk_mov_b32 v[20:21], s[8:9], s[8:9] op_sel:[0,1]
	global_store_dwordx2 v[6:7], v[20:21], off
	s_mov_b64 s[38:39], 0
.LBB62_75:
	s_andn2_b64 vcc, exec, s[38:39]
	s_cbranch_vccnz .LBB62_77
; %bb.76:
	global_store_dword v[6:7], v2, off
.LBB62_77:
	s_mov_b64 s[38:39], 0
.LBB62_78:
	s_andn2_b64 vcc, exec, s[38:39]
	s_cbranch_vccnz .LBB62_80
; %bb.79:
	global_store_short v[6:7], v9, off
.LBB62_80:
	s_mov_b64 s[38:39], 0
.LBB62_81:
	s_andn2_b64 vcc, exec, s[38:39]
	s_cbranch_vccnz .LBB62_97
; %bb.82:
	v_mov_b32_e32 v20, 2
	v_cmp_lt_i16_sdwa s[42:43], s33, v20 src0_sel:BYTE_0 src1_sel:DWORD
	s_mov_b64 s[38:39], -1
	s_and_b64 vcc, exec, s[42:43]
	s_cbranch_vccnz .LBB62_92
; %bb.83:
	v_mov_b32_e32 v20, 3
	v_cmp_lt_i16_sdwa s[42:43], s33, v20 src0_sel:BYTE_0 src1_sel:DWORD
	s_and_b64 vcc, exec, s[42:43]
	s_cbranch_vccnz .LBB62_89
; %bb.84:
	v_cmp_gt_i16_sdwa s[42:43], s33, v20 src0_sel:BYTE_0 src1_sel:DWORD
	s_and_b64 vcc, exec, s[42:43]
	s_cbranch_vccz .LBB62_86
; %bb.85:
	global_store_dwordx2 v[6:7], v[4:5], off
	s_mov_b64 s[38:39], 0
.LBB62_86:
	s_andn2_b64 vcc, exec, s[38:39]
	s_cbranch_vccnz .LBB62_88
; %bb.87:
	global_store_dword v[6:7], v8, off
.LBB62_88:
	s_mov_b64 s[38:39], 0
.LBB62_89:
	s_andn2_b64 vcc, exec, s[38:39]
	s_cbranch_vccnz .LBB62_91
; %bb.90:
	global_store_short v[6:7], v8, off
.LBB62_91:
	s_mov_b64 s[38:39], 0
.LBB62_92:
	s_andn2_b64 vcc, exec, s[38:39]
	s_cbranch_vccnz .LBB62_97
; %bb.93:
	v_mov_b32_e32 v20, 0
	v_cmp_gt_i16_sdwa s[42:43], s33, v20 src0_sel:BYTE_0 src1_sel:DWORD
	s_mov_b64 s[38:39], -1
	s_and_b64 vcc, exec, s[42:43]
	s_cbranch_vccz .LBB62_95
; %bb.94:
	global_store_byte v[6:7], v8, off
	s_mov_b64 s[38:39], 0
.LBB62_95:
	s_andn2_b64 vcc, exec, s[38:39]
	s_cbranch_vccnz .LBB62_97
; %bb.96:
	global_store_byte v[6:7], v0, off
.LBB62_97:
	s_branch .LBB62_11
.LBB62_98:
	s_mov_b64 s[38:39], 0
                                        ; implicit-def: $vgpr18
.LBB62_99:
	s_and_b64 s[34:35], s[34:35], exec
	s_orn2_b64 s[38:39], s[38:39], exec
.LBB62_100:
	s_or_b64 exec, exec, s[36:37]
	s_mov_b64 s[42:43], 0
                                        ; implicit-def: $vgpr20
                                        ; implicit-def: $vgpr6_vgpr7
	s_and_saveexec_b64 s[36:37], s[38:39]
	s_cbranch_execz .LBB62_109
; %bb.101:
	v_cmp_gt_i32_e32 vcc, s50, v18
	s_mov_b64 s[44:45], -1
	s_mov_b64 s[38:39], s[34:35]
	s_and_saveexec_b64 s[40:41], vcc
	s_cbranch_execz .LBB62_204
; %bb.102:
	v_mul_lo_u32 v6, v18, s54
	v_ashrrev_i32_e32 v7, 31, v6
	v_mov_b32_e32 v20, s13
	v_add_co_u32_e32 v6, vcc, s12, v6
	v_addc_co_u32_e32 v7, vcc, v20, v7, vcc
	v_mov_b32_e32 v20, 11
	v_cmp_lt_i16_sdwa s[38:39], s33, v20 src0_sel:BYTE_0 src1_sel:DWORD
	s_and_b64 vcc, exec, s[38:39]
	s_cbranch_vccnz .LBB62_112
; %bb.103:
	v_mov_b32_e32 v20, 25
	v_cmp_gt_i16_sdwa s[38:39], s33, v20 src0_sel:BYTE_0 src1_sel:DWORD
	s_and_b64 vcc, exec, s[38:39]
	s_cbranch_vccz .LBB62_115
; %bb.104:
	v_mov_b32_e32 v20, 28
	v_cmp_gt_i16_sdwa s[38:39], s33, v20 src0_sel:BYTE_0 src1_sel:DWORD
	s_and_b64 vcc, exec, s[38:39]
	s_cbranch_vccz .LBB62_116
; %bb.105:
	v_mov_b32_e32 v20, 43
	v_cmp_gt_i16_sdwa s[38:39], s33, v20 src0_sel:BYTE_0 src1_sel:DWORD
	s_and_b64 vcc, exec, s[38:39]
	s_cbranch_vccz .LBB62_117
; %bb.106:
	v_mov_b32_e32 v20, 45
	v_cmp_gt_i16_sdwa s[38:39], s33, v20 src0_sel:BYTE_0 src1_sel:DWORD
	s_and_b64 vcc, exec, s[38:39]
	s_cbranch_vccz .LBB62_118
; %bb.107:
	v_mov_b32_e32 v20, 46
	v_cmp_eq_u16_sdwa s[42:43], s33, v20 src0_sel:BYTE_0 src1_sel:DWORD
	s_mov_b64 s[44:45], 0
	s_mov_b64 s[38:39], -1
	s_and_b64 vcc, exec, s[42:43]
	s_mov_b64 s[42:43], 0
	s_cbranch_vccz .LBB62_119
; %bb.108:
	global_store_dword v[6:7], v19, off
	s_mov_b64 s[42:43], -1
	s_mov_b64 s[38:39], 0
	s_branch .LBB62_119
.LBB62_109:
	s_or_b64 exec, exec, s[36:37]
	s_mov_b64 s[0:1], 0
	s_and_saveexec_b64 s[2:3], s[34:35]
	s_cbranch_execnz .LBB62_364
.LBB62_110:
	s_or_b64 exec, exec, s[2:3]
	s_and_saveexec_b64 s[2:3], s[40:41]
	s_xor_b64 s[2:3], exec, s[2:3]
	s_cbranch_execz .LBB62_365
.LBB62_111:
	global_store_byte v[6:7], v10, off
	s_or_b64 exec, exec, s[2:3]
	s_and_saveexec_b64 s[2:3], s[42:43]
	s_xor_b64 s[2:3], exec, s[2:3]
	s_cbranch_execz .LBB62_403
	s_branch .LBB62_366
.LBB62_112:
	s_mov_b64 s[38:39], s[34:35]
	s_and_b64 vcc, exec, s[44:45]
	s_cbranch_vccnz .LBB62_164
.LBB62_113:
	s_andn2_b64 vcc, exec, s[42:43]
	s_cbranch_vccnz .LBB62_202
.LBB62_114:
	v_add_u32_e32 v18, 0x80, v18
	s_mov_b64 s[42:43], -1
	s_branch .LBB62_203
.LBB62_115:
	s_mov_b64 s[38:39], s[34:35]
	s_branch .LBB62_141
.LBB62_116:
	s_mov_b64 s[38:39], s[34:35]
	s_branch .LBB62_127
.LBB62_117:
	s_mov_b64 s[38:39], s[34:35]
	s_branch .LBB62_123
.LBB62_118:
	s_mov_b64 s[38:39], s[34:35]
.LBB62_119:
	s_and_b64 vcc, exec, s[44:45]
	s_cbranch_vccz .LBB62_122
; %bb.120:
	v_mov_b32_e32 v20, 44
	v_cmp_eq_u16_sdwa s[44:45], s33, v20 src0_sel:BYTE_0 src1_sel:DWORD
	s_mov_b64 s[38:39], -1
	s_and_b64 vcc, exec, s[44:45]
	s_cbranch_vccz .LBB62_122
; %bb.121:
	v_mov_b32_e32 v20, 0xff
	v_cndmask_b32_e64 v20, v17, v20, s[4:5]
	s_mov_b64 s[42:43], -1
	s_mov_b64 s[38:39], 0
	global_store_byte v[6:7], v20, off
.LBB62_122:
	s_mov_b64 s[44:45], 0
.LBB62_123:
	s_and_b64 vcc, exec, s[44:45]
	s_cbranch_vccz .LBB62_126
; %bb.124:
	v_mov_b32_e32 v20, 29
	v_cmp_eq_u16_sdwa s[44:45], s33, v20 src0_sel:BYTE_0 src1_sel:DWORD
	s_mov_b64 s[38:39], -1
	s_and_b64 vcc, exec, s[44:45]
	s_cbranch_vccz .LBB62_126
; %bb.125:
	global_store_dwordx2 v[6:7], v[0:1], off
	s_mov_b64 s[42:43], -1
	s_mov_b64 s[38:39], 0
.LBB62_126:
	s_mov_b64 s[44:45], 0
.LBB62_127:
	s_and_b64 vcc, exec, s[44:45]
	s_cbranch_vccz .LBB62_140
; %bb.128:
	v_mov_b32_e32 v20, 27
	v_cmp_lt_i16_sdwa s[44:45], s33, v20 src0_sel:BYTE_0 src1_sel:DWORD
	s_mov_b64 s[42:43], -1
	s_and_b64 vcc, exec, s[44:45]
	s_cbranch_vccnz .LBB62_134
; %bb.129:
	v_cmp_gt_i16_sdwa s[44:45], s33, v20 src0_sel:BYTE_0 src1_sel:DWORD
	s_and_b64 vcc, exec, s[44:45]
	s_cbranch_vccz .LBB62_131
; %bb.130:
	s_mov_b64 s[42:43], 0
	global_store_dword v[6:7], v15, off
.LBB62_131:
	s_andn2_b64 vcc, exec, s[42:43]
	s_cbranch_vccnz .LBB62_133
; %bb.132:
	global_store_short v[6:7], v15, off
.LBB62_133:
	s_mov_b64 s[42:43], 0
.LBB62_134:
	s_andn2_b64 vcc, exec, s[42:43]
	s_cbranch_vccnz .LBB62_139
; %bb.135:
	s_andn2_b64 vcc, exec, s[28:29]
	v_mov_b32_e32 v20, 0x80
	s_cbranch_vccnz .LBB62_138
; %bb.136:
	s_or_b64 s[42:43], s[2:3], s[30:31]
	s_andn2_b64 vcc, exec, s[42:43]
	v_mov_b32_e32 v20, 0
	s_cbranch_vccnz .LBB62_138
; %bb.137:
	v_mov_b32_e32 v20, s62
	v_cndmask_b32_e64 v20, v16, v20, s[2:3]
	v_or_b32_e32 v20, v20, v12
.LBB62_138:
	global_store_byte v[6:7], v20, off
.LBB62_139:
	s_mov_b64 s[42:43], -1
.LBB62_140:
	s_mov_b64 s[44:45], 0
.LBB62_141:
	s_and_b64 vcc, exec, s[44:45]
	s_cbranch_vccz .LBB62_163
; %bb.142:
	v_mov_b32_e32 v20, 22
	v_cmp_gt_i16_sdwa s[46:47], s33, v20 src0_sel:BYTE_0 src1_sel:DWORD
	s_mov_b64 s[44:45], -1
	s_and_b64 vcc, exec, s[46:47]
	s_cbranch_vccz .LBB62_155
; %bb.143:
	v_mov_b32_e32 v20, 24
	v_cmp_lt_i16_sdwa s[44:45], s33, v20 src0_sel:BYTE_0 src1_sel:DWORD
	s_mov_b64 s[42:43], -1
	s_and_b64 vcc, exec, s[44:45]
	s_cbranch_vccnz .LBB62_152
; %bb.144:
	v_cmp_gt_i16_sdwa s[44:45], s33, v20 src0_sel:BYTE_0 src1_sel:DWORD
	s_and_b64 vcc, exec, s[44:45]
	s_cbranch_vccz .LBB62_149
; %bb.145:
	s_andn2_b64 vcc, exec, s[24:25]
	v_mov_b32_e32 v20, 0x80
	s_cbranch_vccnz .LBB62_148
; %bb.146:
	s_or_b64 s[42:43], s[0:1], s[26:27]
	s_andn2_b64 vcc, exec, s[42:43]
	v_mov_b32_e32 v20, 0
	s_cbranch_vccnz .LBB62_148
; %bb.147:
	v_mov_b32_e32 v20, s60
	v_cndmask_b32_e64 v20, v14, v20, s[0:1]
	v_or_b32_e32 v20, v20, v12
.LBB62_148:
	s_mov_b64 s[42:43], 0
	global_store_byte v[6:7], v20, off
.LBB62_149:
	s_and_b64 vcc, exec, s[42:43]
	s_cbranch_vccz .LBB62_151
; %bb.150:
	s_and_b64 s[42:43], s[22:23], exec
	s_cselect_b32 s44, s59, s58
	s_and_b64 s[42:43], s[20:21], exec
	s_cselect_b32 s42, s61, s44
	v_or_b32_e32 v20, s42, v12
	global_store_byte v[6:7], v20, off
.LBB62_151:
	s_mov_b64 s[42:43], 0
.LBB62_152:
	s_andn2_b64 vcc, exec, s[42:43]
	s_cbranch_vccnz .LBB62_154
; %bb.153:
	s_and_b64 s[42:43], s[18:19], exec
	s_cselect_b32 s44, s56, s55
	s_and_b64 s[42:43], s[16:17], exec
	s_cselect_b32 s42, s57, s44
	v_or_b32_e32 v20, s42, v12
	global_store_byte v[6:7], v20, off
.LBB62_154:
	s_mov_b64 s[44:45], 0
	s_mov_b64 s[42:43], -1
.LBB62_155:
	s_andn2_b64 vcc, exec, s[44:45]
	s_cbranch_vccnz .LBB62_163
; %bb.156:
	v_mov_b32_e32 v20, 14
	v_cmp_gt_i16_sdwa s[46:47], s33, v20 src0_sel:BYTE_0 src1_sel:DWORD
	s_mov_b64 s[44:45], -1
	s_and_b64 vcc, exec, s[46:47]
	s_cbranch_vccz .LBB62_160
; %bb.157:
	v_mov_b32_e32 v20, 15
	v_cmp_eq_u16_sdwa s[44:45], s33, v20 src0_sel:BYTE_0 src1_sel:DWORD
	s_mov_b64 s[38:39], -1
	s_and_b64 vcc, exec, s[44:45]
	s_cbranch_vccz .LBB62_159
; %bb.158:
	global_store_short v[6:7], v13, off
	s_mov_b64 s[42:43], -1
	s_mov_b64 s[38:39], 0
.LBB62_159:
	s_mov_b64 s[44:45], 0
.LBB62_160:
	s_and_b64 vcc, exec, s[44:45]
	s_cbranch_vccz .LBB62_163
; %bb.161:
	v_mov_b32_e32 v20, 11
	v_cmp_eq_u16_sdwa s[44:45], s33, v20 src0_sel:BYTE_0 src1_sel:DWORD
	s_mov_b64 s[38:39], -1
	s_and_b64 vcc, exec, s[44:45]
	s_cbranch_vccz .LBB62_163
; %bb.162:
	s_mov_b64 s[42:43], -1
	s_mov_b64 s[38:39], 0
	global_store_byte v[6:7], v10, off
.LBB62_163:
	s_branch .LBB62_113
.LBB62_164:
	v_mov_b32_e32 v20, 5
	v_cmp_lt_i16_sdwa s[44:45], s33, v20 src0_sel:BYTE_0 src1_sel:DWORD
	s_mov_b64 s[42:43], -1
	s_and_b64 vcc, exec, s[44:45]
	s_cbranch_vccnz .LBB62_185
; %bb.165:
	v_mov_b32_e32 v20, 8
	v_cmp_lt_i16_sdwa s[44:45], s33, v20 src0_sel:BYTE_0 src1_sel:DWORD
	s_and_b64 vcc, exec, s[44:45]
	s_cbranch_vccnz .LBB62_175
; %bb.166:
	v_mov_b32_e32 v20, 9
	v_cmp_lt_i16_sdwa s[44:45], s33, v20 src0_sel:BYTE_0 src1_sel:DWORD
	s_and_b64 vcc, exec, s[44:45]
	s_cbranch_vccnz .LBB62_172
; %bb.167:
	v_cmp_gt_i16_sdwa s[44:45], s33, v20 src0_sel:BYTE_0 src1_sel:DWORD
	s_and_b64 vcc, exec, s[44:45]
	s_cbranch_vccz .LBB62_169
; %bb.168:
	v_mov_b32_e32 v20, s8
	v_mov_b32_e32 v21, s9
	;; [unrolled: 1-line block ×4, first 2 shown]
	s_mov_b64 s[42:43], 0
	global_store_dwordx4 v[6:7], v[20:23], off
.LBB62_169:
	s_andn2_b64 vcc, exec, s[42:43]
	s_cbranch_vccnz .LBB62_171
; %bb.170:
	global_store_dwordx2 v[6:7], v[2:3], off
.LBB62_171:
	s_mov_b64 s[42:43], 0
.LBB62_172:
	s_andn2_b64 vcc, exec, s[42:43]
	s_cbranch_vccnz .LBB62_174
; %bb.173:
	global_store_dword v[6:7], v11, off
.LBB62_174:
	s_mov_b64 s[42:43], 0
.LBB62_175:
	s_andn2_b64 vcc, exec, s[42:43]
	s_cbranch_vccnz .LBB62_184
; %bb.176:
	v_mov_b32_e32 v20, 6
	v_cmp_lt_i16_sdwa s[44:45], s33, v20 src0_sel:BYTE_0 src1_sel:DWORD
	s_mov_b64 s[42:43], -1
	s_and_b64 vcc, exec, s[44:45]
	s_cbranch_vccnz .LBB62_182
; %bb.177:
	v_cmp_gt_i16_sdwa s[44:45], s33, v20 src0_sel:BYTE_0 src1_sel:DWORD
	s_and_b64 vcc, exec, s[44:45]
	s_cbranch_vccz .LBB62_179
; %bb.178:
	v_pk_mov_b32 v[20:21], s[8:9], s[8:9] op_sel:[0,1]
	s_mov_b64 s[42:43], 0
	global_store_dwordx2 v[6:7], v[20:21], off
.LBB62_179:
	s_andn2_b64 vcc, exec, s[42:43]
	s_cbranch_vccnz .LBB62_181
; %bb.180:
	global_store_dword v[6:7], v2, off
.LBB62_181:
	s_mov_b64 s[42:43], 0
.LBB62_182:
	s_andn2_b64 vcc, exec, s[42:43]
	s_cbranch_vccnz .LBB62_184
; %bb.183:
	global_store_short v[6:7], v9, off
.LBB62_184:
	s_mov_b64 s[42:43], 0
.LBB62_185:
	s_andn2_b64 vcc, exec, s[42:43]
	s_cbranch_vccnz .LBB62_201
; %bb.186:
	v_mov_b32_e32 v20, 2
	v_cmp_lt_i16_sdwa s[44:45], s33, v20 src0_sel:BYTE_0 src1_sel:DWORD
	s_mov_b64 s[42:43], -1
	s_and_b64 vcc, exec, s[44:45]
	s_cbranch_vccnz .LBB62_196
; %bb.187:
	v_mov_b32_e32 v20, 3
	v_cmp_lt_i16_sdwa s[44:45], s33, v20 src0_sel:BYTE_0 src1_sel:DWORD
	s_and_b64 vcc, exec, s[44:45]
	s_cbranch_vccnz .LBB62_193
; %bb.188:
	v_cmp_gt_i16_sdwa s[44:45], s33, v20 src0_sel:BYTE_0 src1_sel:DWORD
	s_and_b64 vcc, exec, s[44:45]
	s_cbranch_vccz .LBB62_190
; %bb.189:
	s_mov_b64 s[42:43], 0
	global_store_dwordx2 v[6:7], v[4:5], off
.LBB62_190:
	s_andn2_b64 vcc, exec, s[42:43]
	s_cbranch_vccnz .LBB62_192
; %bb.191:
	global_store_dword v[6:7], v8, off
.LBB62_192:
	s_mov_b64 s[42:43], 0
.LBB62_193:
	s_andn2_b64 vcc, exec, s[42:43]
	s_cbranch_vccnz .LBB62_195
; %bb.194:
	global_store_short v[6:7], v8, off
.LBB62_195:
	s_mov_b64 s[42:43], 0
.LBB62_196:
	s_andn2_b64 vcc, exec, s[42:43]
	s_cbranch_vccnz .LBB62_201
; %bb.197:
	v_mov_b32_e32 v20, 0
	v_cmp_gt_i16_sdwa s[44:45], s33, v20 src0_sel:BYTE_0 src1_sel:DWORD
	s_mov_b64 s[42:43], -1
	s_and_b64 vcc, exec, s[44:45]
	s_cbranch_vccz .LBB62_199
; %bb.198:
	s_mov_b64 s[42:43], 0
	global_store_byte v[6:7], v8, off
.LBB62_199:
	s_andn2_b64 vcc, exec, s[42:43]
	s_cbranch_vccnz .LBB62_201
; %bb.200:
	global_store_byte v[6:7], v0, off
.LBB62_201:
	s_branch .LBB62_114
.LBB62_202:
	s_mov_b64 s[42:43], 0
                                        ; implicit-def: $vgpr18
.LBB62_203:
	s_andn2_b64 s[44:45], s[34:35], exec
	s_and_b64 s[38:39], s[38:39], exec
	s_or_b64 s[38:39], s[44:45], s[38:39]
	s_orn2_b64 s[44:45], s[42:43], exec
.LBB62_204:
	s_or_b64 exec, exec, s[40:41]
	s_mov_b64 s[46:47], 0
	s_mov_b64 s[42:43], 0
                                        ; implicit-def: $vgpr20
                                        ; implicit-def: $vgpr6_vgpr7
	s_and_saveexec_b64 s[40:41], s[44:45]
	s_cbranch_execz .LBB62_363
; %bb.205:
	v_cmp_gt_i32_e32 vcc, s50, v18
	s_mov_b64 s[48:49], -1
	s_mov_b64 s[44:45], s[38:39]
	s_and_saveexec_b64 s[42:43], vcc
	s_cbranch_execz .LBB62_306
; %bb.206:
	v_mul_lo_u32 v6, v18, s54
	v_ashrrev_i32_e32 v7, 31, v6
	v_mov_b32_e32 v20, s13
	v_add_co_u32_e32 v6, vcc, s12, v6
	v_addc_co_u32_e32 v7, vcc, v20, v7, vcc
	v_mov_b32_e32 v20, 11
	v_cmp_lt_i16_sdwa s[44:45], s33, v20 src0_sel:BYTE_0 src1_sel:DWORD
	s_and_b64 vcc, exec, s[44:45]
	s_cbranch_vccnz .LBB62_213
; %bb.207:
	v_mov_b32_e32 v20, 25
	v_cmp_gt_i16_sdwa s[44:45], s33, v20 src0_sel:BYTE_0 src1_sel:DWORD
	s_and_b64 vcc, exec, s[44:45]
	s_cbranch_vccz .LBB62_214
; %bb.208:
	v_mov_b32_e32 v20, 28
	v_cmp_gt_i16_sdwa s[44:45], s33, v20 src0_sel:BYTE_0 src1_sel:DWORD
	s_and_b64 vcc, exec, s[44:45]
	s_cbranch_vccz .LBB62_215
	;; [unrolled: 5-line block ×4, first 2 shown]
; %bb.211:
	v_mov_b32_e32 v20, 46
	v_cmp_eq_u16_sdwa s[46:47], s33, v20 src0_sel:BYTE_0 src1_sel:DWORD
	s_mov_b64 s[48:49], 0
	s_mov_b64 s[44:45], -1
	s_and_b64 vcc, exec, s[46:47]
	s_mov_b64 s[46:47], 0
	s_cbranch_vccz .LBB62_218
; %bb.212:
	global_store_dword v[6:7], v19, off
	s_mov_b64 s[46:47], -1
	s_mov_b64 s[44:45], 0
	s_branch .LBB62_218
.LBB62_213:
	s_mov_b64 s[44:45], s[38:39]
	s_branch .LBB62_263
.LBB62_214:
	s_mov_b64 s[44:45], s[38:39]
	s_branch .LBB62_240
.LBB62_215:
	s_mov_b64 s[44:45], s[38:39]
	s_branch .LBB62_226
.LBB62_216:
	s_mov_b64 s[44:45], s[38:39]
	s_branch .LBB62_222
.LBB62_217:
	s_mov_b64 s[44:45], s[38:39]
.LBB62_218:
	s_and_b64 vcc, exec, s[48:49]
	s_cbranch_vccz .LBB62_221
; %bb.219:
	v_mov_b32_e32 v20, 44
	v_cmp_eq_u16_sdwa s[48:49], s33, v20 src0_sel:BYTE_0 src1_sel:DWORD
	s_mov_b64 s[44:45], -1
	s_and_b64 vcc, exec, s[48:49]
	s_cbranch_vccz .LBB62_221
; %bb.220:
	v_mov_b32_e32 v20, 0xff
	v_cndmask_b32_e64 v20, v17, v20, s[4:5]
	s_mov_b64 s[46:47], -1
	s_mov_b64 s[44:45], 0
	global_store_byte v[6:7], v20, off
.LBB62_221:
	s_mov_b64 s[48:49], 0
.LBB62_222:
	s_and_b64 vcc, exec, s[48:49]
	s_cbranch_vccz .LBB62_225
; %bb.223:
	v_mov_b32_e32 v20, 29
	v_cmp_eq_u16_sdwa s[48:49], s33, v20 src0_sel:BYTE_0 src1_sel:DWORD
	s_mov_b64 s[44:45], -1
	s_and_b64 vcc, exec, s[48:49]
	s_cbranch_vccz .LBB62_225
; %bb.224:
	global_store_dwordx2 v[6:7], v[0:1], off
	s_mov_b64 s[46:47], -1
	s_mov_b64 s[44:45], 0
.LBB62_225:
	s_mov_b64 s[48:49], 0
.LBB62_226:
	s_and_b64 vcc, exec, s[48:49]
	s_cbranch_vccz .LBB62_239
; %bb.227:
	v_mov_b32_e32 v20, 27
	v_cmp_lt_i16_sdwa s[48:49], s33, v20 src0_sel:BYTE_0 src1_sel:DWORD
	s_mov_b64 s[46:47], -1
	s_and_b64 vcc, exec, s[48:49]
	s_cbranch_vccnz .LBB62_233
; %bb.228:
	v_cmp_gt_i16_sdwa s[48:49], s33, v20 src0_sel:BYTE_0 src1_sel:DWORD
	s_and_b64 vcc, exec, s[48:49]
	s_cbranch_vccz .LBB62_230
; %bb.229:
	s_mov_b64 s[46:47], 0
	global_store_dword v[6:7], v15, off
.LBB62_230:
	s_andn2_b64 vcc, exec, s[46:47]
	s_cbranch_vccnz .LBB62_232
; %bb.231:
	global_store_short v[6:7], v15, off
.LBB62_232:
	s_mov_b64 s[46:47], 0
.LBB62_233:
	s_andn2_b64 vcc, exec, s[46:47]
	s_cbranch_vccnz .LBB62_238
; %bb.234:
	s_andn2_b64 vcc, exec, s[28:29]
	v_mov_b32_e32 v20, 0x80
	s_cbranch_vccnz .LBB62_237
; %bb.235:
	s_or_b64 s[46:47], s[2:3], s[30:31]
	s_andn2_b64 vcc, exec, s[46:47]
	v_mov_b32_e32 v20, 0
	s_cbranch_vccnz .LBB62_237
; %bb.236:
	v_mov_b32_e32 v20, s62
	v_cndmask_b32_e64 v20, v16, v20, s[2:3]
	v_or_b32_e32 v20, v20, v12
.LBB62_237:
	global_store_byte v[6:7], v20, off
.LBB62_238:
	s_mov_b64 s[46:47], -1
.LBB62_239:
	s_mov_b64 s[48:49], 0
.LBB62_240:
	s_and_b64 vcc, exec, s[48:49]
	s_cbranch_vccz .LBB62_262
; %bb.241:
	v_mov_b32_e32 v20, 22
	v_cmp_gt_i16_sdwa s[52:53], s33, v20 src0_sel:BYTE_0 src1_sel:DWORD
	s_mov_b64 s[48:49], -1
	s_and_b64 vcc, exec, s[52:53]
	s_cbranch_vccz .LBB62_254
; %bb.242:
	v_mov_b32_e32 v20, 24
	v_cmp_lt_i16_sdwa s[48:49], s33, v20 src0_sel:BYTE_0 src1_sel:DWORD
	s_mov_b64 s[46:47], -1
	s_and_b64 vcc, exec, s[48:49]
	s_cbranch_vccnz .LBB62_251
; %bb.243:
	v_cmp_gt_i16_sdwa s[48:49], s33, v20 src0_sel:BYTE_0 src1_sel:DWORD
	s_and_b64 vcc, exec, s[48:49]
	s_cbranch_vccz .LBB62_248
; %bb.244:
	s_andn2_b64 vcc, exec, s[24:25]
	v_mov_b32_e32 v20, 0x80
	s_cbranch_vccnz .LBB62_247
; %bb.245:
	s_or_b64 s[46:47], s[0:1], s[26:27]
	s_andn2_b64 vcc, exec, s[46:47]
	v_mov_b32_e32 v20, 0
	s_cbranch_vccnz .LBB62_247
; %bb.246:
	v_mov_b32_e32 v20, s60
	v_cndmask_b32_e64 v20, v14, v20, s[0:1]
	v_or_b32_e32 v20, v20, v12
.LBB62_247:
	s_mov_b64 s[46:47], 0
	global_store_byte v[6:7], v20, off
.LBB62_248:
	s_and_b64 vcc, exec, s[46:47]
	s_cbranch_vccz .LBB62_250
; %bb.249:
	s_and_b64 s[46:47], s[22:23], exec
	s_cselect_b32 s48, s59, s58
	s_and_b64 s[46:47], s[20:21], exec
	s_cselect_b32 s46, s61, s48
	v_or_b32_e32 v20, s46, v12
	global_store_byte v[6:7], v20, off
.LBB62_250:
	s_mov_b64 s[46:47], 0
.LBB62_251:
	s_andn2_b64 vcc, exec, s[46:47]
	s_cbranch_vccnz .LBB62_253
; %bb.252:
	s_and_b64 s[46:47], s[18:19], exec
	s_cselect_b32 s48, s56, s55
	s_and_b64 s[46:47], s[16:17], exec
	s_cselect_b32 s46, s57, s48
	v_or_b32_e32 v20, s46, v12
	global_store_byte v[6:7], v20, off
.LBB62_253:
	s_mov_b64 s[48:49], 0
	s_mov_b64 s[46:47], -1
.LBB62_254:
	s_andn2_b64 vcc, exec, s[48:49]
	s_cbranch_vccnz .LBB62_262
; %bb.255:
	v_mov_b32_e32 v20, 14
	v_cmp_gt_i16_sdwa s[52:53], s33, v20 src0_sel:BYTE_0 src1_sel:DWORD
	s_mov_b64 s[48:49], -1
	s_and_b64 vcc, exec, s[52:53]
	s_cbranch_vccz .LBB62_259
; %bb.256:
	v_mov_b32_e32 v20, 15
	v_cmp_eq_u16_sdwa s[48:49], s33, v20 src0_sel:BYTE_0 src1_sel:DWORD
	s_mov_b64 s[44:45], -1
	s_and_b64 vcc, exec, s[48:49]
	s_cbranch_vccz .LBB62_258
; %bb.257:
	global_store_short v[6:7], v13, off
	s_mov_b64 s[46:47], -1
	s_mov_b64 s[44:45], 0
.LBB62_258:
	s_mov_b64 s[48:49], 0
.LBB62_259:
	s_and_b64 vcc, exec, s[48:49]
	s_cbranch_vccz .LBB62_262
; %bb.260:
	v_mov_b32_e32 v20, 11
	v_cmp_eq_u16_sdwa s[48:49], s33, v20 src0_sel:BYTE_0 src1_sel:DWORD
	s_mov_b64 s[44:45], -1
	s_and_b64 vcc, exec, s[48:49]
	s_cbranch_vccz .LBB62_262
; %bb.261:
	s_mov_b64 s[46:47], -1
	s_mov_b64 s[44:45], 0
	global_store_byte v[6:7], v10, off
.LBB62_262:
	s_mov_b64 s[48:49], 0
.LBB62_263:
	s_and_b64 vcc, exec, s[48:49]
	s_cbranch_vccz .LBB62_302
; %bb.264:
	v_mov_b32_e32 v20, 5
	v_cmp_lt_i16_sdwa s[48:49], s33, v20 src0_sel:BYTE_0 src1_sel:DWORD
	s_mov_b64 s[46:47], -1
	s_and_b64 vcc, exec, s[48:49]
	s_cbranch_vccnz .LBB62_285
; %bb.265:
	v_mov_b32_e32 v20, 8
	v_cmp_lt_i16_sdwa s[48:49], s33, v20 src0_sel:BYTE_0 src1_sel:DWORD
	s_and_b64 vcc, exec, s[48:49]
	s_cbranch_vccnz .LBB62_275
; %bb.266:
	v_mov_b32_e32 v20, 9
	v_cmp_lt_i16_sdwa s[48:49], s33, v20 src0_sel:BYTE_0 src1_sel:DWORD
	s_and_b64 vcc, exec, s[48:49]
	s_cbranch_vccnz .LBB62_272
; %bb.267:
	v_cmp_gt_i16_sdwa s[48:49], s33, v20 src0_sel:BYTE_0 src1_sel:DWORD
	s_and_b64 vcc, exec, s[48:49]
	s_cbranch_vccz .LBB62_269
; %bb.268:
	v_mov_b32_e32 v20, s8
	v_mov_b32_e32 v21, s9
	v_mov_b32_e32 v22, s10
	v_mov_b32_e32 v23, s11
	s_mov_b64 s[46:47], 0
	global_store_dwordx4 v[6:7], v[20:23], off
.LBB62_269:
	s_andn2_b64 vcc, exec, s[46:47]
	s_cbranch_vccnz .LBB62_271
; %bb.270:
	global_store_dwordx2 v[6:7], v[2:3], off
.LBB62_271:
	s_mov_b64 s[46:47], 0
.LBB62_272:
	s_andn2_b64 vcc, exec, s[46:47]
	s_cbranch_vccnz .LBB62_274
; %bb.273:
	global_store_dword v[6:7], v11, off
.LBB62_274:
	s_mov_b64 s[46:47], 0
.LBB62_275:
	s_andn2_b64 vcc, exec, s[46:47]
	s_cbranch_vccnz .LBB62_284
; %bb.276:
	v_mov_b32_e32 v20, 6
	v_cmp_lt_i16_sdwa s[48:49], s33, v20 src0_sel:BYTE_0 src1_sel:DWORD
	s_mov_b64 s[46:47], -1
	s_and_b64 vcc, exec, s[48:49]
	s_cbranch_vccnz .LBB62_282
; %bb.277:
	v_cmp_gt_i16_sdwa s[48:49], s33, v20 src0_sel:BYTE_0 src1_sel:DWORD
	s_and_b64 vcc, exec, s[48:49]
	s_cbranch_vccz .LBB62_279
; %bb.278:
	v_pk_mov_b32 v[20:21], s[8:9], s[8:9] op_sel:[0,1]
	s_mov_b64 s[46:47], 0
	global_store_dwordx2 v[6:7], v[20:21], off
.LBB62_279:
	s_andn2_b64 vcc, exec, s[46:47]
	s_cbranch_vccnz .LBB62_281
; %bb.280:
	global_store_dword v[6:7], v2, off
.LBB62_281:
	s_mov_b64 s[46:47], 0
.LBB62_282:
	s_andn2_b64 vcc, exec, s[46:47]
	s_cbranch_vccnz .LBB62_284
; %bb.283:
	global_store_short v[6:7], v9, off
.LBB62_284:
	s_mov_b64 s[46:47], 0
.LBB62_285:
	s_andn2_b64 vcc, exec, s[46:47]
	s_cbranch_vccnz .LBB62_301
; %bb.286:
	v_mov_b32_e32 v20, 2
	v_cmp_lt_i16_sdwa s[48:49], s33, v20 src0_sel:BYTE_0 src1_sel:DWORD
	s_mov_b64 s[46:47], -1
	s_and_b64 vcc, exec, s[48:49]
	s_cbranch_vccnz .LBB62_296
; %bb.287:
	v_mov_b32_e32 v20, 3
	v_cmp_lt_i16_sdwa s[48:49], s33, v20 src0_sel:BYTE_0 src1_sel:DWORD
	s_and_b64 vcc, exec, s[48:49]
	s_cbranch_vccnz .LBB62_293
; %bb.288:
	v_cmp_gt_i16_sdwa s[48:49], s33, v20 src0_sel:BYTE_0 src1_sel:DWORD
	s_and_b64 vcc, exec, s[48:49]
	s_cbranch_vccz .LBB62_290
; %bb.289:
	s_mov_b64 s[46:47], 0
	global_store_dwordx2 v[6:7], v[4:5], off
.LBB62_290:
	s_andn2_b64 vcc, exec, s[46:47]
	s_cbranch_vccnz .LBB62_292
; %bb.291:
	global_store_dword v[6:7], v8, off
.LBB62_292:
	s_mov_b64 s[46:47], 0
.LBB62_293:
	s_andn2_b64 vcc, exec, s[46:47]
	s_cbranch_vccnz .LBB62_295
; %bb.294:
	global_store_short v[6:7], v8, off
.LBB62_295:
	s_mov_b64 s[46:47], 0
.LBB62_296:
	s_andn2_b64 vcc, exec, s[46:47]
	s_cbranch_vccnz .LBB62_301
; %bb.297:
	v_mov_b32_e32 v20, 0
	v_cmp_gt_i16_sdwa s[48:49], s33, v20 src0_sel:BYTE_0 src1_sel:DWORD
	s_mov_b64 s[46:47], -1
	s_and_b64 vcc, exec, s[48:49]
	s_cbranch_vccz .LBB62_299
; %bb.298:
	s_mov_b64 s[46:47], 0
	global_store_byte v[6:7], v8, off
.LBB62_299:
	s_andn2_b64 vcc, exec, s[46:47]
	s_cbranch_vccnz .LBB62_301
; %bb.300:
	global_store_byte v[6:7], v0, off
.LBB62_301:
	s_mov_b64 s[46:47], -1
.LBB62_302:
	s_andn2_b64 vcc, exec, s[46:47]
	s_cbranch_vccnz .LBB62_304
; %bb.303:
	v_add_u32_e32 v18, 0x80, v18
	s_mov_b64 s[46:47], -1
	s_branch .LBB62_305
.LBB62_304:
	s_mov_b64 s[46:47], 0
                                        ; implicit-def: $vgpr18
.LBB62_305:
	s_andn2_b64 s[48:49], s[38:39], exec
	s_and_b64 s[44:45], s[44:45], exec
	s_or_b64 s[44:45], s[48:49], s[44:45]
	s_orn2_b64 s[48:49], s[46:47], exec
.LBB62_306:
	s_or_b64 exec, exec, s[42:43]
	s_mov_b64 s[46:47], 0
	s_mov_b64 s[52:53], 0
                                        ; implicit-def: $vgpr20
                                        ; implicit-def: $vgpr6_vgpr7
	s_and_saveexec_b64 s[42:43], s[48:49]
	s_cbranch_execz .LBB62_362
; %bb.307:
	v_cmp_gt_i32_e32 vcc, s50, v18
	s_mov_b64 s[50:51], 0
	s_mov_b64 s[48:49], s[44:45]
                                        ; implicit-def: $vgpr20
                                        ; implicit-def: $vgpr6_vgpr7
	s_and_saveexec_b64 s[46:47], vcc
	s_cbranch_execz .LBB62_361
; %bb.308:
	v_mul_lo_u32 v6, v18, s54
	v_ashrrev_i32_e32 v7, 31, v6
	v_mov_b32_e32 v18, s13
	v_add_co_u32_e32 v6, vcc, s12, v6
	v_addc_co_u32_e32 v7, vcc, v18, v7, vcc
	v_mov_b32_e32 v18, 0xff
	v_and_b32_e32 v20, s33, v18
	v_cmp_gt_i16_e32 vcc, 11, v20
	s_cbranch_vccnz .LBB62_358
; %bb.309:
	v_cmp_lt_i16_e32 vcc, 25, v20
	s_mov_b64 s[50:51], -1
	s_mov_b64 s[48:49], s[44:45]
	s_cbranch_vccz .LBB62_337
; %bb.310:
	v_cmp_lt_i16_e32 vcc, 28, v20
	s_mov_b64 s[48:49], s[44:45]
	s_cbranch_vccz .LBB62_324
; %bb.311:
	v_cmp_lt_i16_e32 vcc, 43, v20
	;; [unrolled: 4-line block ×3, first 2 shown]
	s_mov_b64 s[48:49], s[44:45]
	s_cbranch_vccz .LBB62_316
; %bb.313:
	v_cmp_eq_u16_e32 vcc, 46, v20
	s_mov_b64 s[48:49], -1
	s_cbranch_vccz .LBB62_315
; %bb.314:
	global_store_dword v[6:7], v19, off
	s_mov_b64 s[48:49], 0
.LBB62_315:
	s_mov_b64 s[50:51], 0
.LBB62_316:
	s_and_b64 vcc, exec, s[50:51]
	s_cbranch_vccz .LBB62_319
; %bb.317:
	v_cmp_eq_u16_e32 vcc, 44, v20
	s_mov_b64 s[48:49], -1
	s_cbranch_vccz .LBB62_319
; %bb.318:
	v_mov_b32_e32 v18, 0xff
	v_cndmask_b32_e64 v17, v17, v18, s[4:5]
	global_store_byte v[6:7], v17, off
	s_mov_b64 s[48:49], 0
.LBB62_319:
	s_mov_b64 s[50:51], 0
.LBB62_320:
	s_and_b64 vcc, exec, s[50:51]
	s_cbranch_vccz .LBB62_323
; %bb.321:
	v_cmp_eq_u16_e32 vcc, 29, v20
	s_mov_b64 s[48:49], -1
	s_cbranch_vccz .LBB62_323
; %bb.322:
	global_store_dwordx2 v[6:7], v[0:1], off
	s_mov_b64 s[48:49], 0
.LBB62_323:
	s_mov_b64 s[50:51], 0
.LBB62_324:
	s_and_b64 vcc, exec, s[50:51]
	s_cbranch_vccz .LBB62_336
; %bb.325:
	v_cmp_gt_i16_e32 vcc, 27, v20
	s_mov_b64 s[4:5], -1
	s_cbranch_vccnz .LBB62_331
; %bb.326:
	v_cmp_lt_i16_e32 vcc, 27, v20
	s_cbranch_vccz .LBB62_328
; %bb.327:
	s_mov_b64 s[4:5], 0
	global_store_dword v[6:7], v15, off
.LBB62_328:
	s_andn2_b64 vcc, exec, s[4:5]
	s_cbranch_vccnz .LBB62_330
; %bb.329:
	global_store_short v[6:7], v15, off
.LBB62_330:
	s_mov_b64 s[4:5], 0
.LBB62_331:
	s_andn2_b64 vcc, exec, s[4:5]
	s_cbranch_vccnz .LBB62_336
; %bb.332:
	s_andn2_b64 vcc, exec, s[28:29]
	v_mov_b32_e32 v1, 0x80
	s_cbranch_vccnz .LBB62_335
; %bb.333:
	s_or_b64 s[4:5], s[2:3], s[30:31]
	s_andn2_b64 vcc, exec, s[4:5]
	v_mov_b32_e32 v1, 0
	s_cbranch_vccnz .LBB62_335
; %bb.334:
	v_mov_b32_e32 v1, s62
	v_cndmask_b32_e64 v1, v16, v1, s[2:3]
	v_or_b32_e32 v1, v1, v12
.LBB62_335:
	global_store_byte v[6:7], v1, off
.LBB62_336:
	s_mov_b64 s[50:51], 0
.LBB62_337:
	s_mov_b64 s[2:3], 0
	s_and_b64 vcc, exec, s[50:51]
	s_cbranch_vccz .LBB62_359
; %bb.338:
	v_cmp_lt_i16_e32 vcc, 22, v20
	s_mov_b64 s[4:5], -1
	s_cbranch_vccz .LBB62_351
; %bb.339:
	v_cmp_gt_i16_e32 vcc, 24, v20
	s_cbranch_vccnz .LBB62_348
; %bb.340:
	v_cmp_lt_i16_e32 vcc, 24, v20
	s_cbranch_vccz .LBB62_345
; %bb.341:
	s_andn2_b64 vcc, exec, s[24:25]
	v_mov_b32_e32 v1, 0x80
	s_cbranch_vccnz .LBB62_344
; %bb.342:
	s_or_b64 s[4:5], s[0:1], s[26:27]
	s_andn2_b64 vcc, exec, s[4:5]
	v_mov_b32_e32 v1, 0
	s_cbranch_vccnz .LBB62_344
; %bb.343:
	v_mov_b32_e32 v1, s60
	v_cndmask_b32_e64 v1, v14, v1, s[0:1]
	v_or_b32_e32 v1, v1, v12
.LBB62_344:
	s_mov_b64 s[4:5], 0
	global_store_byte v[6:7], v1, off
.LBB62_345:
	s_and_b64 vcc, exec, s[4:5]
	s_cbranch_vccz .LBB62_347
; %bb.346:
	s_and_b64 s[0:1], s[22:23], exec
	s_cselect_b32 s4, s59, s58
	s_and_b64 s[0:1], s[20:21], exec
	s_cselect_b32 s0, s61, s4
	v_or_b32_e32 v1, s0, v12
	global_store_byte v[6:7], v1, off
.LBB62_347:
	s_mov_b64 s[4:5], 0
.LBB62_348:
	s_andn2_b64 vcc, exec, s[4:5]
	s_cbranch_vccnz .LBB62_350
; %bb.349:
	s_and_b64 s[0:1], s[18:19], exec
	s_cselect_b32 s4, s56, s55
	s_and_b64 s[0:1], s[16:17], exec
	s_cselect_b32 s0, s57, s4
	v_or_b32_e32 v1, s0, v12
	global_store_byte v[6:7], v1, off
.LBB62_350:
	s_mov_b64 s[4:5], 0
.LBB62_351:
	s_andn2_b64 vcc, exec, s[4:5]
	s_mov_b64 s[0:1], 0
	s_cbranch_vccnz .LBB62_360
; %bb.352:
	v_cmp_lt_i16_e32 vcc, 14, v20
	s_mov_b64 s[4:5], -1
	s_cbranch_vccz .LBB62_356
; %bb.353:
	v_cmp_eq_u16_e32 vcc, 15, v20
	s_mov_b64 s[48:49], -1
	s_cbranch_vccz .LBB62_355
; %bb.354:
	global_store_short v[6:7], v13, off
	s_mov_b64 s[48:49], 0
.LBB62_355:
	s_mov_b64 s[4:5], 0
.LBB62_356:
	s_and_b64 vcc, exec, s[4:5]
	s_cbranch_vccz .LBB62_360
; %bb.357:
	v_cmp_ne_u16_e32 vcc, 11, v20
	s_andn2_b64 s[4:5], s[48:49], exec
	s_and_b64 s[16:17], vcc, exec
	s_mov_b64 s[0:1], -1
	s_or_b64 s[48:49], s[4:5], s[16:17]
	s_branch .LBB62_360
.LBB62_358:
	s_mov_b64 s[0:1], 0
	s_mov_b64 s[2:3], -1
	s_mov_b64 s[48:49], s[44:45]
	s_branch .LBB62_360
.LBB62_359:
	s_mov_b64 s[0:1], 0
.LBB62_360:
	s_and_b64 s[52:53], s[2:3], exec
	s_and_b64 s[50:51], s[0:1], exec
	s_andn2_b64 s[0:1], s[44:45], exec
	s_and_b64 s[2:3], s[48:49], exec
	s_or_b64 s[48:49], s[0:1], s[2:3]
.LBB62_361:
	s_or_b64 exec, exec, s[46:47]
	s_andn2_b64 s[0:1], s[44:45], exec
	s_and_b64 s[2:3], s[48:49], exec
	s_and_b64 s[52:53], s[52:53], exec
	;; [unrolled: 1-line block ×3, first 2 shown]
	s_or_b64 s[44:45], s[0:1], s[2:3]
.LBB62_362:
	s_or_b64 exec, exec, s[42:43]
	s_andn2_b64 s[0:1], s[38:39], exec
	s_and_b64 s[2:3], s[44:45], exec
	s_and_b64 s[42:43], s[52:53], exec
	;; [unrolled: 1-line block ×3, first 2 shown]
	s_or_b64 s[38:39], s[0:1], s[2:3]
.LBB62_363:
	s_or_b64 exec, exec, s[40:41]
	s_andn2_b64 s[0:1], s[34:35], exec
	s_and_b64 s[2:3], s[38:39], exec
	s_and_b64 s[42:43], s[42:43], exec
	;; [unrolled: 1-line block ×3, first 2 shown]
	s_or_b64 s[34:35], s[0:1], s[2:3]
	s_or_b64 exec, exec, s[36:37]
	s_mov_b64 s[0:1], 0
	s_and_saveexec_b64 s[2:3], s[34:35]
	s_cbranch_execz .LBB62_110
.LBB62_364:
	s_mov_b64 s[0:1], exec
	s_andn2_b64 s[40:41], s[40:41], exec
	s_trap 2
	s_or_b64 exec, exec, s[2:3]
	s_and_saveexec_b64 s[2:3], s[40:41]
	s_xor_b64 s[2:3], exec, s[2:3]
	s_cbranch_execnz .LBB62_111
.LBB62_365:
	s_or_b64 exec, exec, s[2:3]
	s_and_saveexec_b64 s[2:3], s[42:43]
	s_xor_b64 s[2:3], exec, s[2:3]
	s_cbranch_execz .LBB62_403
.LBB62_366:
	v_cmp_gt_i16_e32 vcc, 5, v20
	s_mov_b64 s[4:5], -1
	s_cbranch_vccnz .LBB62_387
; %bb.367:
	v_cmp_gt_i16_e32 vcc, 8, v20
	s_cbranch_vccnz .LBB62_377
; %bb.368:
	v_cmp_gt_i16_e32 vcc, 9, v20
	s_cbranch_vccnz .LBB62_374
; %bb.369:
	v_cmp_lt_i16_e32 vcc, 9, v20
	s_cbranch_vccz .LBB62_371
; %bb.370:
	v_mov_b32_e32 v12, s8
	v_mov_b32_e32 v13, s9
	;; [unrolled: 1-line block ×4, first 2 shown]
	s_mov_b64 s[4:5], 0
	global_store_dwordx4 v[6:7], v[12:15], off
.LBB62_371:
	s_andn2_b64 vcc, exec, s[4:5]
	s_cbranch_vccnz .LBB62_373
; %bb.372:
	global_store_dwordx2 v[6:7], v[2:3], off
.LBB62_373:
	s_mov_b64 s[4:5], 0
.LBB62_374:
	s_andn2_b64 vcc, exec, s[4:5]
	s_cbranch_vccnz .LBB62_376
; %bb.375:
	global_store_dword v[6:7], v11, off
.LBB62_376:
	s_mov_b64 s[4:5], 0
.LBB62_377:
	s_andn2_b64 vcc, exec, s[4:5]
	s_cbranch_vccnz .LBB62_386
; %bb.378:
	v_cmp_gt_i16_e32 vcc, 6, v20
	s_mov_b64 s[4:5], -1
	s_cbranch_vccnz .LBB62_384
; %bb.379:
	v_cmp_lt_i16_e32 vcc, 6, v20
	s_cbranch_vccz .LBB62_381
; %bb.380:
	v_pk_mov_b32 v[10:11], s[8:9], s[8:9] op_sel:[0,1]
	s_mov_b64 s[4:5], 0
	global_store_dwordx2 v[6:7], v[10:11], off
.LBB62_381:
	s_andn2_b64 vcc, exec, s[4:5]
	s_cbranch_vccnz .LBB62_383
; %bb.382:
	global_store_dword v[6:7], v2, off
.LBB62_383:
	s_mov_b64 s[4:5], 0
.LBB62_384:
	s_andn2_b64 vcc, exec, s[4:5]
	s_cbranch_vccnz .LBB62_386
; %bb.385:
	global_store_short v[6:7], v9, off
.LBB62_386:
	s_mov_b64 s[4:5], 0
.LBB62_387:
	s_andn2_b64 vcc, exec, s[4:5]
	s_cbranch_vccnz .LBB62_403
; %bb.388:
	v_cmp_gt_i16_e32 vcc, 2, v20
	s_mov_b64 s[4:5], -1
	s_cbranch_vccnz .LBB62_398
; %bb.389:
	v_cmp_gt_i16_e32 vcc, 3, v20
	s_cbranch_vccnz .LBB62_395
; %bb.390:
	v_cmp_lt_i16_e32 vcc, 3, v20
	s_cbranch_vccz .LBB62_392
; %bb.391:
	s_mov_b64 s[4:5], 0
	global_store_dwordx2 v[6:7], v[4:5], off
.LBB62_392:
	s_andn2_b64 vcc, exec, s[4:5]
	s_cbranch_vccnz .LBB62_394
; %bb.393:
	global_store_dword v[6:7], v8, off
.LBB62_394:
	s_mov_b64 s[4:5], 0
.LBB62_395:
	s_andn2_b64 vcc, exec, s[4:5]
	s_cbranch_vccnz .LBB62_397
; %bb.396:
	global_store_short v[6:7], v8, off
.LBB62_397:
	s_mov_b64 s[4:5], 0
.LBB62_398:
	s_andn2_b64 vcc, exec, s[4:5]
	s_cbranch_vccnz .LBB62_403
; %bb.399:
	v_cmp_lt_i16_e32 vcc, 0, v20
	s_mov_b64 s[4:5], -1
	s_cbranch_vccz .LBB62_401
; %bb.400:
	s_mov_b64 s[4:5], 0
	global_store_byte v[6:7], v8, off
.LBB62_401:
	s_andn2_b64 vcc, exec, s[4:5]
	s_cbranch_vccnz .LBB62_403
; %bb.402:
	global_store_byte v[6:7], v0, off
.LBB62_403:
	s_or_b64 exec, exec, s[2:3]
	s_and_b64 s[0:1], s[0:1], exec
                                        ; implicit-def: $vgpr18
.LBB62_404:
	s_or_saveexec_b64 s[2:3], s[14:15]
	s_mov_b64 s[14:15], 0
                                        ; implicit-def: $vgpr2
                                        ; implicit-def: $vgpr0_vgpr1
	s_xor_b64 exec, exec, s[2:3]
	s_cbranch_execz .LBB62_412
; %bb.405:
	v_mul_lo_u32 v2, s54, v18
	v_ashrrev_i32_e32 v1, 31, v2
	v_mov_b32_e32 v3, s13
	v_add_co_u32_e32 v0, vcc, s12, v2
	v_addc_co_u32_e32 v1, vcc, v3, v1, vcc
	v_mov_b32_e32 v3, 11
	v_cmp_lt_i16_sdwa s[4:5], s33, v3 src0_sel:BYTE_0 src1_sel:DWORD
	s_and_b64 vcc, exec, s[4:5]
	s_cbranch_vccnz .LBB62_415
; %bb.406:
	v_mov_b32_e32 v3, 25
	v_cmp_gt_i16_sdwa s[4:5], s33, v3 src0_sel:BYTE_0 src1_sel:DWORD
	s_mov_b64 s[16:17], -1
	s_and_b64 vcc, exec, s[4:5]
	s_mov_b64 s[4:5], 0
	s_cbranch_vccz .LBB62_447
; %bb.407:
	v_mov_b32_e32 v3, 28
	v_cmp_gt_i16_sdwa s[4:5], s33, v3 src0_sel:BYTE_0 src1_sel:DWORD
	s_and_b64 vcc, exec, s[4:5]
	s_cbranch_vccz .LBB62_417
; %bb.408:
	v_mov_b32_e32 v3, 43
	v_cmp_gt_i16_sdwa s[4:5], s33, v3 src0_sel:BYTE_0 src1_sel:DWORD
	s_and_b64 vcc, exec, s[4:5]
	;; [unrolled: 5-line block ×3, first 2 shown]
	s_cbranch_vccz .LBB62_419
; %bb.410:
	v_mov_b32_e32 v3, 46
	v_cmp_eq_u16_sdwa s[14:15], s33, v3 src0_sel:BYTE_0 src1_sel:DWORD
	s_mov_b64 s[4:5], -1
	s_mov_b64 s[16:17], 0
	s_and_b64 vcc, exec, s[14:15]
	s_mov_b64 s[14:15], 0
	s_cbranch_vccz .LBB62_420
; %bb.411:
	v_cvt_f32_f64_e32 v4, s[10:11]
	v_cvt_f32_f64_e32 v3, s[8:9]
	v_bfe_u32 v6, v4, 16, 1
	v_bfe_u32 v5, v3, 16, 1
	v_add_u32_e32 v6, v4, v6
	v_add_u32_e32 v5, v3, v5
	;; [unrolled: 1-line block ×4, first 2 shown]
	v_and_b32_e32 v6, 0xffff0000, v6
	v_mov_b32_e32 v7, 0x7fc00000
	v_cmp_o_f32_e32 vcc, v4, v4
	v_lshrrev_b32_e32 v5, 16, v5
	v_cndmask_b32_e32 v4, v7, v6, vcc
	v_mov_b32_e32 v6, 0x7fc0
	v_cmp_o_f32_e32 vcc, v3, v3
	v_cndmask_b32_e32 v3, v6, v5, vcc
	v_or_b32_e32 v3, v4, v3
	global_store_dword v[0:1], v3, off
	s_mov_b64 s[4:5], 0
	s_mov_b64 s[14:15], -1
	s_branch .LBB62_420
.LBB62_412:
	s_or_b64 exec, exec, s[2:3]
	s_and_saveexec_b64 s[2:3], s[0:1]
	s_cbranch_execz .LBB62_841
.LBB62_413:
	; divergent unreachable
	s_or_b64 exec, exec, s[2:3]
	s_and_saveexec_b64 s[0:1], s[6:7]
	s_xor_b64 s[0:1], exec, s[0:1]
	s_cbranch_execnz .LBB62_842
.LBB62_414:
	s_or_b64 exec, exec, s[0:1]
	s_and_saveexec_b64 s[0:1], s[14:15]
	s_cbranch_execnz .LBB62_843
	s_branch .LBB62_880
.LBB62_415:
	s_mov_b64 s[4:5], s[0:1]
	s_cbranch_execnz .LBB62_497
.LBB62_416:
	s_andn2_b64 vcc, exec, s[14:15]
	s_cbranch_vccz .LBB62_535
	s_branch .LBB62_839
.LBB62_417:
	s_mov_b64 s[4:5], 0
	s_and_b64 vcc, exec, s[16:17]
	s_cbranch_vccz .LBB62_446
	s_branch .LBB62_429
.LBB62_418:
	s_mov_b64 s[4:5], 0
	s_and_b64 vcc, exec, s[16:17]
	s_cbranch_vccnz .LBB62_426
	s_branch .LBB62_428
.LBB62_419:
	s_mov_b64 s[4:5], 0
.LBB62_420:
	s_and_b64 vcc, exec, s[16:17]
	s_cbranch_vccz .LBB62_425
; %bb.421:
	v_mov_b32_e32 v3, 44
	v_cmp_eq_u16_sdwa s[16:17], s33, v3 src0_sel:BYTE_0 src1_sel:DWORD
	s_mov_b64 s[4:5], -1
	s_and_b64 vcc, exec, s[16:17]
	s_cbranch_vccz .LBB62_425
; %bb.422:
	v_cvt_f32_f64_e32 v3, s[8:9]
	v_readfirstlane_b32 s4, v3
	s_bfe_u32 s5, s4, 0x80017
	s_cmpk_eq_i32 s5, 0xff
	v_mov_b32_e32 v4, 0xff
	s_cbranch_scc1 .LBB62_424
; %bb.423:
	s_bitcmp1_b32 s4, 22
	s_cselect_b64 s[14:15], -1, 0
	s_and_b32 s4, s4, 0x3fffff
	s_or_b32 s4, s5, s4
	s_cmp_lg_u32 s4, 0
	s_cselect_b64 s[4:5], -1, 0
	s_and_b64 s[4:5], s[14:15], s[4:5]
	v_lshrrev_b32_e32 v3, 23, v3
	v_cndmask_b32_e64 v4, 0, 1, s[4:5]
	v_add_u32_e32 v4, v3, v4
.LBB62_424:
	s_mov_b64 s[4:5], 0
	s_mov_b64 s[14:15], -1
	global_store_byte v[0:1], v4, off
.LBB62_425:
	s_branch .LBB62_428
.LBB62_426:
	v_mov_b32_e32 v3, 29
	v_cmp_eq_u16_sdwa s[16:17], s33, v3 src0_sel:BYTE_0 src1_sel:DWORD
	s_mov_b64 s[4:5], -1
	s_and_b64 vcc, exec, s[16:17]
	s_cbranch_vccz .LBB62_428
; %bb.427:
	v_trunc_f64_e32 v[4:5], s[8:9]
	s_movk_i32 s4, 0xffe0
	v_ldexp_f64 v[6:7], v[4:5], s4
	v_floor_f64_e32 v[6:7], v[6:7]
	v_fmac_f64_e32 v[4:5], 0xc1f00000, v[6:7]
	v_cvt_u32_f64_e32 v9, v[6:7]
	v_cvt_u32_f64_e32 v8, v[4:5]
	global_store_dwordx2 v[0:1], v[8:9], off
	s_mov_b64 s[4:5], 0
	s_mov_b64 s[14:15], -1
.LBB62_428:
	s_branch .LBB62_446
.LBB62_429:
	v_mov_b32_e32 v3, 27
	v_cmp_lt_i16_sdwa s[16:17], s33, v3 src0_sel:BYTE_0 src1_sel:DWORD
	s_mov_b64 s[14:15], -1
	s_and_b64 vcc, exec, s[16:17]
	s_cbranch_vccnz .LBB62_435
; %bb.430:
	v_cmp_gt_i16_sdwa s[16:17], s33, v3 src0_sel:BYTE_0 src1_sel:DWORD
	s_and_b64 vcc, exec, s[16:17]
	s_cbranch_vccz .LBB62_432
; %bb.431:
	v_cvt_u32_f64_e32 v3, s[8:9]
	s_mov_b64 s[14:15], 0
	global_store_dword v[0:1], v3, off
.LBB62_432:
	s_andn2_b64 vcc, exec, s[14:15]
	s_cbranch_vccnz .LBB62_434
; %bb.433:
	v_cvt_u32_f64_e32 v3, s[8:9]
	global_store_short v[0:1], v3, off
.LBB62_434:
	s_mov_b64 s[14:15], 0
.LBB62_435:
	s_andn2_b64 vcc, exec, s[14:15]
	s_cbranch_vccnz .LBB62_445
; %bb.436:
	v_cvt_f32_f64_e32 v3, s[8:9]
	v_readfirstlane_b32 s18, v3
	s_and_b32 s14, s18, 0x7fffffff
	s_cmp_gt_u32 s14, 0x437fffff
	v_mov_b32_e32 v4, 0x80
	s_cbranch_scc1 .LBB62_444
; %bb.437:
	s_cmp_gt_u32 s14, 0x3bffffff
	s_cbranch_scc0 .LBB62_439
; %bb.438:
	s_bfe_u32 s14, s18, 0x10014
	s_add_i32 s14, s18, s14
	s_add_i32 s14, s14, 0x487ffff
	s_lshr_b32 s19, s14, 20
	s_mov_b64 s[16:17], 0
	s_mov_b64 s[14:15], -1
	s_branch .LBB62_440
.LBB62_439:
	s_mov_b64 s[16:17], -1
	s_mov_b64 s[14:15], 0
                                        ; implicit-def: $sgpr19
.LBB62_440:
	s_andn2_b64 vcc, exec, s[16:17]
	v_mov_b32_e32 v3, s19
                                        ; implicit-def: $sgpr16
	s_cbranch_vccnz .LBB62_442
; %bb.441:
	v_mov_b32_e32 v3, 0x46000000
	v_add_f32_e64 v3, |s18|, v3
	v_and_b32_e32 v3, 0xff, v3
	s_mov_b32 s16, 0
	v_cmp_ne_u32_e64 s[14:15], 0, v3
.LBB62_442:
	s_andn2_b64 vcc, exec, s[14:15]
	v_mov_b32_e32 v4, s16
	s_cbranch_vccnz .LBB62_444
; %bb.443:
	s_lshr_b32 s14, s18, 24
	s_and_b32 s14, s14, 0x80
	v_or_b32_e32 v4, s14, v3
.LBB62_444:
	global_store_byte v[0:1], v4, off
.LBB62_445:
	s_mov_b64 s[14:15], -1
.LBB62_446:
	s_mov_b64 s[16:17], 0
.LBB62_447:
	s_and_b64 vcc, exec, s[16:17]
	s_cbranch_vccz .LBB62_493
; %bb.448:
	v_mov_b32_e32 v3, 22
	v_cmp_gt_i16_sdwa s[16:17], s33, v3 src0_sel:BYTE_0 src1_sel:DWORD
	s_mov_b64 s[6:7], -1
	s_and_b64 vcc, exec, s[16:17]
	s_cbranch_vccz .LBB62_486
; %bb.449:
	v_mov_b32_e32 v3, 24
	v_cmp_lt_i16_sdwa s[14:15], s33, v3 src0_sel:BYTE_0 src1_sel:DWORD
	s_and_b64 vcc, exec, s[14:15]
	s_cbranch_vccnz .LBB62_473
; %bb.450:
	v_cmp_gt_i16_sdwa s[14:15], s33, v3 src0_sel:BYTE_0 src1_sel:DWORD
	s_and_b64 vcc, exec, s[14:15]
	s_cbranch_vccz .LBB62_460
; %bb.451:
	v_cvt_f32_f64_e32 v3, s[8:9]
	v_readfirstlane_b32 s16, v3
	s_and_b32 s6, s16, 0x7fffffff
	s_cmp_gt_u32 s6, 0x477fffff
	v_mov_b32_e32 v4, 0x80
	s_cbranch_scc1 .LBB62_459
; %bb.452:
	s_cmp_gt_u32 s6, 0x37ffffff
	s_cbranch_scc0 .LBB62_454
; %bb.453:
	s_bfe_u32 s6, s16, 0x10015
	s_add_i32 s6, s16, s6
	s_add_i32 s6, s6, 0x88fffff
	s_lshr_b32 s17, s6, 21
	s_mov_b64 s[14:15], 0
	s_mov_b64 s[6:7], -1
	s_branch .LBB62_455
.LBB62_454:
	s_mov_b64 s[14:15], -1
	s_mov_b64 s[6:7], 0
                                        ; implicit-def: $sgpr17
.LBB62_455:
	s_andn2_b64 vcc, exec, s[14:15]
	v_mov_b32_e32 v3, s17
                                        ; implicit-def: $sgpr14
	s_cbranch_vccnz .LBB62_457
; %bb.456:
	v_mov_b32_e32 v3, 0x42800000
	v_add_f32_e64 v3, |s16|, v3
	v_and_b32_e32 v3, 0xff, v3
	s_mov_b32 s14, 0
	v_cmp_ne_u32_e64 s[6:7], 0, v3
.LBB62_457:
	s_andn2_b64 vcc, exec, s[6:7]
	v_mov_b32_e32 v4, s14
	s_cbranch_vccnz .LBB62_459
; %bb.458:
	s_lshr_b32 s6, s16, 24
	s_and_b32 s6, s6, 0x80
	v_or_b32_e32 v4, s6, v3
.LBB62_459:
	s_mov_b64 s[6:7], 0
	global_store_byte v[0:1], v4, off
.LBB62_460:
	s_and_b64 vcc, exec, s[6:7]
	s_cbranch_vccz .LBB62_472
; %bb.461:
	v_cvt_f32_f64_e32 v3, s[8:9]
	v_readfirstlane_b32 s14, v3
	s_and_b32 s15, s14, 0x7fffffff
	s_cmp_lt_u32 s15, 0x43f00000
	s_cbranch_scc0 .LBB62_464
; %bb.462:
	s_cmp_gt_u32 s15, 0x3c7fffff
	s_cbranch_scc0 .LBB62_465
; %bb.463:
	s_bfe_u32 s6, s14, 0x10014
	s_add_i32 s6, s14, s6
	s_add_i32 s6, s6, 0x407ffff
	s_lshr_b32 s7, s6, 20
	s_and_b32 s6, s6, 0xff00000
	s_cmp_lg_u32 s6, 0x7f00000
	s_cselect_b32 s16, s7, 0x7e
	s_mov_b64 s[6:7], 0
	s_branch .LBB62_466
.LBB62_464:
	s_mov_b64 s[6:7], -1
                                        ; implicit-def: $vgpr4
	s_branch .LBB62_469
.LBB62_465:
	s_mov_b64 s[6:7], -1
                                        ; implicit-def: $sgpr16
.LBB62_466:
	s_andn2_b64 vcc, exec, s[6:7]
	v_mov_b32_e32 v4, s16
	s_cbranch_vccnz .LBB62_468
; %bb.467:
	s_mov_b32 s6, 0x46800000
	v_add_f32_e64 v4, |v3|, s6
.LBB62_468:
	s_mov_b64 s[6:7], 0
.LBB62_469:
	s_andn2_b64 vcc, exec, s[6:7]
	s_cbranch_vccnz .LBB62_471
; %bb.470:
	s_cmp_gt_u32 s15, 0x7f800000
	s_movk_i32 s6, 0x7f
	s_cselect_b32 s6, s6, 0x7e
	v_mov_b32_e32 v4, s6
.LBB62_471:
	s_lshr_b32 s6, s14, 24
	s_and_b32 s6, s6, 0x80
	v_or_b32_e32 v3, s6, v4
	global_store_byte v[0:1], v3, off
.LBB62_472:
	s_mov_b64 s[6:7], 0
.LBB62_473:
	s_andn2_b64 vcc, exec, s[6:7]
	s_cbranch_vccnz .LBB62_485
; %bb.474:
	v_cvt_f32_f64_e32 v3, s[8:9]
	v_readfirstlane_b32 s14, v3
	s_and_b32 s15, s14, 0x7fffffff
	s_cmp_lt_u32 s15, 0x47800000
	s_cbranch_scc0 .LBB62_477
; %bb.475:
	s_cmp_gt_u32 s15, 0x387fffff
	s_cbranch_scc0 .LBB62_478
; %bb.476:
	s_bfe_u32 s6, s14, 0x10015
	s_add_i32 s6, s14, s6
	s_add_i32 s6, s6, 0x80fffff
	s_lshr_b32 s16, s6, 21
	s_mov_b64 s[6:7], 0
	s_branch .LBB62_479
.LBB62_477:
	s_mov_b64 s[6:7], -1
                                        ; implicit-def: $vgpr4
	s_branch .LBB62_482
.LBB62_478:
	s_mov_b64 s[6:7], -1
                                        ; implicit-def: $sgpr16
.LBB62_479:
	s_andn2_b64 vcc, exec, s[6:7]
	v_mov_b32_e32 v4, s16
	s_cbranch_vccnz .LBB62_481
; %bb.480:
	s_mov_b32 s6, 0x43000000
	v_add_f32_e64 v4, |v3|, s6
.LBB62_481:
	s_mov_b64 s[6:7], 0
.LBB62_482:
	s_andn2_b64 vcc, exec, s[6:7]
	s_cbranch_vccnz .LBB62_484
; %bb.483:
	s_cmp_gt_u32 s15, 0x7f800000
	s_movk_i32 s6, 0x7f
	s_cselect_b32 s6, s6, 0x7c
	v_mov_b32_e32 v4, s6
.LBB62_484:
	s_lshr_b32 s6, s14, 24
	s_and_b32 s6, s6, 0x80
	v_or_b32_e32 v3, s6, v4
	global_store_byte v[0:1], v3, off
.LBB62_485:
	s_mov_b64 s[6:7], 0
	s_mov_b64 s[14:15], -1
.LBB62_486:
	s_andn2_b64 vcc, exec, s[6:7]
	s_mov_b64 s[6:7], 0
	s_cbranch_vccnz .LBB62_493
; %bb.487:
	v_mov_b32_e32 v3, 14
	v_cmp_gt_i16_sdwa s[6:7], s33, v3 src0_sel:BYTE_0 src1_sel:DWORD
	s_mov_b64 s[16:17], -1
	s_and_b64 vcc, exec, s[6:7]
	s_cbranch_vccz .LBB62_491
; %bb.488:
	v_mov_b32_e32 v3, 15
	v_cmp_eq_u16_sdwa s[6:7], s33, v3 src0_sel:BYTE_0 src1_sel:DWORD
	s_mov_b64 s[4:5], -1
	s_and_b64 vcc, exec, s[6:7]
	s_cbranch_vccz .LBB62_490
; %bb.489:
	v_cvt_f32_f64_e32 v3, s[8:9]
	v_bfe_u32 v4, v3, 16, 1
	v_add_u32_e32 v4, v3, v4
	v_add_u32_e32 v4, 0x7fff, v4
	v_lshrrev_b32_e32 v4, 16, v4
	v_mov_b32_e32 v5, 0x7fc0
	v_cmp_o_f32_e32 vcc, v3, v3
	v_cndmask_b32_e32 v3, v5, v4, vcc
	global_store_short v[0:1], v3, off
	s_mov_b64 s[4:5], 0
	s_mov_b64 s[14:15], -1
.LBB62_490:
	s_mov_b64 s[16:17], 0
.LBB62_491:
	s_mov_b64 s[6:7], 0
	s_and_b64 vcc, exec, s[16:17]
	s_cbranch_vccz .LBB62_493
; %bb.492:
	v_mov_b32_e32 v3, 11
	v_cmp_ne_u16_sdwa s[4:5], s33, v3 src0_sel:BYTE_0 src1_sel:DWORD
	s_mov_b64 s[6:7], -1
.LBB62_493:
	s_and_b64 vcc, exec, s[4:5]
	s_mov_b64 s[4:5], s[0:1]
	s_cbranch_vccnz .LBB62_546
; %bb.494:
	s_andn2_b64 vcc, exec, s[6:7]
	s_cbranch_vccnz .LBB62_496
.LBB62_495:
	v_cmp_neq_f64_e64 s[6:7], s[8:9], 0
	v_cmp_neq_f64_e64 s[14:15], s[10:11], 0
	s_or_b64 s[6:7], s[6:7], s[14:15]
	v_cndmask_b32_e64 v3, 0, 1, s[6:7]
	s_mov_b64 s[14:15], -1
	global_store_byte v[0:1], v3, off
.LBB62_496:
	s_branch .LBB62_416
.LBB62_497:
	v_mov_b32_e32 v3, 5
	v_cmp_lt_i16_sdwa s[14:15], s33, v3 src0_sel:BYTE_0 src1_sel:DWORD
	s_mov_b64 s[6:7], -1
	s_and_b64 vcc, exec, s[14:15]
	s_cbranch_vccnz .LBB62_518
; %bb.498:
	v_mov_b32_e32 v3, 8
	v_cmp_lt_i16_sdwa s[14:15], s33, v3 src0_sel:BYTE_0 src1_sel:DWORD
	s_and_b64 vcc, exec, s[14:15]
	s_cbranch_vccnz .LBB62_508
; %bb.499:
	v_mov_b32_e32 v3, 9
	v_cmp_lt_i16_sdwa s[14:15], s33, v3 src0_sel:BYTE_0 src1_sel:DWORD
	s_and_b64 vcc, exec, s[14:15]
	s_cbranch_vccnz .LBB62_505
; %bb.500:
	v_cmp_gt_i16_sdwa s[14:15], s33, v3 src0_sel:BYTE_0 src1_sel:DWORD
	s_and_b64 vcc, exec, s[14:15]
	s_cbranch_vccz .LBB62_502
; %bb.501:
	v_mov_b32_e32 v4, s8
	v_mov_b32_e32 v5, s9
	;; [unrolled: 1-line block ×4, first 2 shown]
	global_store_dwordx4 v[0:1], v[4:7], off
	s_mov_b64 s[6:7], 0
.LBB62_502:
	s_andn2_b64 vcc, exec, s[6:7]
	s_cbranch_vccnz .LBB62_504
; %bb.503:
	v_cvt_f32_f64_e32 v5, s[10:11]
	v_cvt_f32_f64_e32 v4, s[8:9]
	global_store_dwordx2 v[0:1], v[4:5], off
.LBB62_504:
	s_mov_b64 s[6:7], 0
.LBB62_505:
	s_andn2_b64 vcc, exec, s[6:7]
	s_cbranch_vccnz .LBB62_507
; %bb.506:
	v_cvt_f32_f64_e32 v3, s[8:9]
	v_cvt_f32_f64_e32 v4, s[10:11]
	v_cvt_f16_f32_e32 v3, v3
	v_cvt_f16_f32_sdwa v4, v4 dst_sel:WORD_1 dst_unused:UNUSED_PAD src0_sel:DWORD
	v_or_b32_e32 v3, v4, v3
	global_store_dword v[0:1], v3, off
.LBB62_507:
	s_mov_b64 s[6:7], 0
.LBB62_508:
	s_andn2_b64 vcc, exec, s[6:7]
	s_cbranch_vccnz .LBB62_517
; %bb.509:
	v_mov_b32_e32 v3, 6
	v_cmp_lt_i16_sdwa s[14:15], s33, v3 src0_sel:BYTE_0 src1_sel:DWORD
	s_mov_b64 s[6:7], -1
	s_and_b64 vcc, exec, s[14:15]
	s_cbranch_vccnz .LBB62_515
; %bb.510:
	v_cmp_gt_i16_sdwa s[14:15], s33, v3 src0_sel:BYTE_0 src1_sel:DWORD
	s_and_b64 vcc, exec, s[14:15]
	s_cbranch_vccz .LBB62_512
; %bb.511:
	v_pk_mov_b32 v[4:5], s[8:9], s[8:9] op_sel:[0,1]
	global_store_dwordx2 v[0:1], v[4:5], off
	s_mov_b64 s[6:7], 0
.LBB62_512:
	s_andn2_b64 vcc, exec, s[6:7]
	s_cbranch_vccnz .LBB62_514
; %bb.513:
	v_cvt_f32_f64_e32 v3, s[8:9]
	global_store_dword v[0:1], v3, off
.LBB62_514:
	s_mov_b64 s[6:7], 0
.LBB62_515:
	s_andn2_b64 vcc, exec, s[6:7]
	s_cbranch_vccnz .LBB62_517
; %bb.516:
	v_cvt_f32_f64_e32 v3, s[8:9]
	v_cvt_f16_f32_e32 v3, v3
	global_store_short v[0:1], v3, off
.LBB62_517:
	s_mov_b64 s[6:7], 0
.LBB62_518:
	s_andn2_b64 vcc, exec, s[6:7]
	s_cbranch_vccnz .LBB62_534
; %bb.519:
	v_mov_b32_e32 v3, 2
	v_cmp_lt_i16_sdwa s[14:15], s33, v3 src0_sel:BYTE_0 src1_sel:DWORD
	s_mov_b64 s[6:7], -1
	s_and_b64 vcc, exec, s[14:15]
	s_cbranch_vccnz .LBB62_529
; %bb.520:
	v_mov_b32_e32 v3, 3
	v_cmp_lt_i16_sdwa s[14:15], s33, v3 src0_sel:BYTE_0 src1_sel:DWORD
	s_and_b64 vcc, exec, s[14:15]
	s_cbranch_vccnz .LBB62_526
; %bb.521:
	v_cmp_gt_i16_sdwa s[14:15], s33, v3 src0_sel:BYTE_0 src1_sel:DWORD
	s_and_b64 vcc, exec, s[14:15]
	s_cbranch_vccz .LBB62_523
; %bb.522:
	v_trunc_f64_e32 v[4:5], s[8:9]
	s_movk_i32 s6, 0xffe0
	v_ldexp_f64 v[6:7], v[4:5], s6
	v_floor_f64_e32 v[6:7], v[6:7]
	v_fmac_f64_e32 v[4:5], 0xc1f00000, v[6:7]
	v_cvt_i32_f64_e32 v9, v[6:7]
	v_cvt_u32_f64_e32 v8, v[4:5]
	global_store_dwordx2 v[0:1], v[8:9], off
	s_mov_b64 s[6:7], 0
.LBB62_523:
	s_andn2_b64 vcc, exec, s[6:7]
	s_cbranch_vccnz .LBB62_525
; %bb.524:
	v_cvt_i32_f64_e32 v3, s[8:9]
	global_store_dword v[0:1], v3, off
.LBB62_525:
	s_mov_b64 s[6:7], 0
.LBB62_526:
	s_andn2_b64 vcc, exec, s[6:7]
	s_cbranch_vccnz .LBB62_528
; %bb.527:
	v_cvt_i32_f64_e32 v3, s[8:9]
	global_store_short v[0:1], v3, off
.LBB62_528:
	s_mov_b64 s[6:7], 0
.LBB62_529:
	s_andn2_b64 vcc, exec, s[6:7]
	s_cbranch_vccnz .LBB62_534
; %bb.530:
	v_mov_b32_e32 v3, 0
	v_cmp_gt_i16_sdwa s[14:15], s33, v3 src0_sel:BYTE_0 src1_sel:DWORD
	s_mov_b64 s[6:7], -1
	s_and_b64 vcc, exec, s[14:15]
	s_cbranch_vccz .LBB62_532
; %bb.531:
	v_cvt_i32_f64_e32 v3, s[8:9]
	global_store_byte v[0:1], v3, off
	s_mov_b64 s[6:7], 0
.LBB62_532:
	s_andn2_b64 vcc, exec, s[6:7]
	s_cbranch_vccnz .LBB62_534
; %bb.533:
	v_trunc_f64_e32 v[4:5], s[8:9]
	s_movk_i32 s6, 0xffe0
	v_ldexp_f64 v[6:7], v[4:5], s6
	v_floor_f64_e32 v[6:7], v[6:7]
	v_fmac_f64_e32 v[4:5], 0xc1f00000, v[6:7]
	v_cvt_u32_f64_e32 v3, v[4:5]
	global_store_byte v[0:1], v3, off
.LBB62_534:
.LBB62_535:
	s_lshl_b32 s20, s54, 7
	v_add_u32_e32 v2, s20, v2
	v_ashrrev_i32_e32 v1, 31, v2
	v_mov_b32_e32 v3, s13
	v_add_co_u32_e32 v0, vcc, s12, v2
	v_addc_co_u32_e32 v1, vcc, v3, v1, vcc
	v_mov_b32_e32 v3, 11
	v_cmp_lt_i16_sdwa s[6:7], s33, v3 src0_sel:BYTE_0 src1_sel:DWORD
	s_and_b64 vcc, exec, s[6:7]
	s_cbranch_vccnz .LBB62_542
; %bb.536:
	v_mov_b32_e32 v3, 25
	v_cmp_gt_i16_sdwa s[6:7], s33, v3 src0_sel:BYTE_0 src1_sel:DWORD
	s_mov_b64 s[18:19], -1
	s_mov_b64 s[14:15], 0
	s_and_b64 vcc, exec, s[6:7]
	s_mov_b64 s[16:17], 0
	s_mov_b64 s[6:7], 0
	s_cbranch_vccz .LBB62_577
; %bb.537:
	v_mov_b32_e32 v3, 28
	v_cmp_gt_i16_sdwa s[6:7], s33, v3 src0_sel:BYTE_0 src1_sel:DWORD
	s_and_b64 vcc, exec, s[6:7]
	s_cbranch_vccz .LBB62_544
; %bb.538:
	v_mov_b32_e32 v3, 43
	v_cmp_gt_i16_sdwa s[6:7], s33, v3 src0_sel:BYTE_0 src1_sel:DWORD
	s_and_b64 vcc, exec, s[6:7]
	;; [unrolled: 5-line block ×3, first 2 shown]
	s_cbranch_vccz .LBB62_547
; %bb.540:
	v_mov_b32_e32 v3, 46
	v_cmp_eq_u16_sdwa s[16:17], s33, v3 src0_sel:BYTE_0 src1_sel:DWORD
	s_mov_b64 s[6:7], -1
	s_mov_b64 s[18:19], 0
	s_and_b64 vcc, exec, s[16:17]
	s_mov_b64 s[16:17], 0
	s_cbranch_vccz .LBB62_548
; %bb.541:
	v_cvt_f32_f64_e32 v4, s[10:11]
	v_cvt_f32_f64_e32 v3, s[8:9]
	v_bfe_u32 v6, v4, 16, 1
	v_bfe_u32 v5, v3, 16, 1
	v_add_u32_e32 v6, v4, v6
	v_add_u32_e32 v5, v3, v5
	;; [unrolled: 1-line block ×4, first 2 shown]
	v_and_b32_e32 v6, 0xffff0000, v6
	v_mov_b32_e32 v7, 0x7fc00000
	v_cmp_o_f32_e32 vcc, v4, v4
	v_lshrrev_b32_e32 v5, 16, v5
	v_cndmask_b32_e32 v4, v7, v6, vcc
	v_mov_b32_e32 v6, 0x7fc0
	v_cmp_o_f32_e32 vcc, v3, v3
	v_cndmask_b32_e32 v3, v6, v5, vcc
	v_or_b32_e32 v3, v4, v3
	global_store_dword v[0:1], v3, off
	s_mov_b64 s[6:7], 0
	s_mov_b64 s[16:17], -1
	s_branch .LBB62_548
.LBB62_542:
	s_mov_b64 s[16:17], 0
	s_cbranch_execnz .LBB62_627
.LBB62_543:
	s_andn2_b64 vcc, exec, s[16:17]
	s_cbranch_vccz .LBB62_665
	s_branch .LBB62_839
.LBB62_544:
	s_mov_b64 s[6:7], 0
	s_branch .LBB62_558
.LBB62_545:
	s_mov_b64 s[6:7], 0
	s_branch .LBB62_554
.LBB62_546:
	s_or_b64 s[4:5], s[0:1], exec
	s_trap 2
	s_cbranch_execz .LBB62_495
	s_branch .LBB62_496
.LBB62_547:
	s_mov_b64 s[6:7], 0
.LBB62_548:
	s_and_b64 vcc, exec, s[18:19]
	s_cbranch_vccz .LBB62_553
; %bb.549:
	v_mov_b32_e32 v3, 44
	v_cmp_eq_u16_sdwa s[18:19], s33, v3 src0_sel:BYTE_0 src1_sel:DWORD
	s_mov_b64 s[6:7], -1
	s_and_b64 vcc, exec, s[18:19]
	s_cbranch_vccz .LBB62_553
; %bb.550:
	v_cvt_f32_f64_e32 v3, s[8:9]
	v_readfirstlane_b32 s6, v3
	s_bfe_u32 s7, s6, 0x80017
	s_cmpk_eq_i32 s7, 0xff
	v_mov_b32_e32 v4, 0xff
	s_cbranch_scc1 .LBB62_552
; %bb.551:
	s_bitcmp1_b32 s6, 22
	s_cselect_b64 s[16:17], -1, 0
	s_and_b32 s6, s6, 0x3fffff
	s_or_b32 s6, s7, s6
	s_cmp_lg_u32 s6, 0
	s_cselect_b64 s[6:7], -1, 0
	s_and_b64 s[6:7], s[16:17], s[6:7]
	v_lshrrev_b32_e32 v3, 23, v3
	v_cndmask_b32_e64 v4, 0, 1, s[6:7]
	v_add_u32_e32 v4, v3, v4
.LBB62_552:
	s_mov_b64 s[6:7], 0
	s_mov_b64 s[16:17], -1
	global_store_byte v[0:1], v4, off
.LBB62_553:
	s_mov_b64 s[18:19], 0
.LBB62_554:
	s_and_b64 vcc, exec, s[18:19]
	s_cbranch_vccz .LBB62_557
; %bb.555:
	v_mov_b32_e32 v3, 29
	v_cmp_eq_u16_sdwa s[18:19], s33, v3 src0_sel:BYTE_0 src1_sel:DWORD
	s_mov_b64 s[6:7], -1
	s_and_b64 vcc, exec, s[18:19]
	s_cbranch_vccz .LBB62_557
; %bb.556:
	v_trunc_f64_e32 v[4:5], s[8:9]
	s_movk_i32 s6, 0xffe0
	v_ldexp_f64 v[6:7], v[4:5], s6
	v_floor_f64_e32 v[6:7], v[6:7]
	v_fmac_f64_e32 v[4:5], 0xc1f00000, v[6:7]
	v_cvt_u32_f64_e32 v9, v[6:7]
	v_cvt_u32_f64_e32 v8, v[4:5]
	global_store_dwordx2 v[0:1], v[8:9], off
	s_mov_b64 s[6:7], 0
	s_mov_b64 s[16:17], -1
.LBB62_557:
	s_mov_b64 s[18:19], 0
.LBB62_558:
	s_and_b64 vcc, exec, s[18:19]
	s_cbranch_vccz .LBB62_576
; %bb.559:
	v_mov_b32_e32 v3, 27
	v_cmp_lt_i16_sdwa s[18:19], s33, v3 src0_sel:BYTE_0 src1_sel:DWORD
	s_mov_b64 s[16:17], -1
	s_and_b64 vcc, exec, s[18:19]
	s_cbranch_vccnz .LBB62_565
; %bb.560:
	v_cmp_gt_i16_sdwa s[18:19], s33, v3 src0_sel:BYTE_0 src1_sel:DWORD
	s_and_b64 vcc, exec, s[18:19]
	s_cbranch_vccz .LBB62_562
; %bb.561:
	v_cvt_u32_f64_e32 v3, s[8:9]
	s_mov_b64 s[16:17], 0
	global_store_dword v[0:1], v3, off
.LBB62_562:
	s_andn2_b64 vcc, exec, s[16:17]
	s_cbranch_vccnz .LBB62_564
; %bb.563:
	v_cvt_u32_f64_e32 v3, s[8:9]
	global_store_short v[0:1], v3, off
.LBB62_564:
	s_mov_b64 s[16:17], 0
.LBB62_565:
	s_andn2_b64 vcc, exec, s[16:17]
	s_cbranch_vccnz .LBB62_575
; %bb.566:
	v_cvt_f32_f64_e32 v3, s[8:9]
	v_readfirstlane_b32 s21, v3
	s_and_b32 s16, s21, 0x7fffffff
	s_cmp_gt_u32 s16, 0x437fffff
	v_mov_b32_e32 v4, 0x80
	s_cbranch_scc1 .LBB62_574
; %bb.567:
	s_cmp_gt_u32 s16, 0x3bffffff
	s_cbranch_scc0 .LBB62_569
; %bb.568:
	s_bfe_u32 s16, s21, 0x10014
	s_add_i32 s16, s21, s16
	s_add_i32 s16, s16, 0x487ffff
	s_lshr_b32 s22, s16, 20
	s_mov_b64 s[18:19], 0
	s_mov_b64 s[16:17], -1
	s_branch .LBB62_570
.LBB62_569:
	s_mov_b64 s[18:19], -1
	s_mov_b64 s[16:17], 0
                                        ; implicit-def: $sgpr22
.LBB62_570:
	s_andn2_b64 vcc, exec, s[18:19]
	v_mov_b32_e32 v3, s22
                                        ; implicit-def: $sgpr18
	s_cbranch_vccnz .LBB62_572
; %bb.571:
	v_mov_b32_e32 v3, 0x46000000
	v_add_f32_e64 v3, |s21|, v3
	v_and_b32_e32 v3, 0xff, v3
	s_mov_b32 s18, 0
	v_cmp_ne_u32_e64 s[16:17], 0, v3
.LBB62_572:
	s_andn2_b64 vcc, exec, s[16:17]
	v_mov_b32_e32 v4, s18
	s_cbranch_vccnz .LBB62_574
; %bb.573:
	s_lshr_b32 s16, s21, 24
	s_and_b32 s16, s16, 0x80
	v_or_b32_e32 v4, s16, v3
.LBB62_574:
	global_store_byte v[0:1], v4, off
.LBB62_575:
	s_mov_b64 s[16:17], -1
.LBB62_576:
	s_mov_b64 s[18:19], 0
.LBB62_577:
	s_and_b64 vcc, exec, s[18:19]
	s_cbranch_vccz .LBB62_623
; %bb.578:
	v_mov_b32_e32 v3, 22
	v_cmp_gt_i16_sdwa s[18:19], s33, v3 src0_sel:BYTE_0 src1_sel:DWORD
	s_mov_b64 s[14:15], -1
	s_and_b64 vcc, exec, s[18:19]
	s_cbranch_vccz .LBB62_616
; %bb.579:
	v_mov_b32_e32 v3, 24
	v_cmp_lt_i16_sdwa s[16:17], s33, v3 src0_sel:BYTE_0 src1_sel:DWORD
	s_and_b64 vcc, exec, s[16:17]
	s_cbranch_vccnz .LBB62_603
; %bb.580:
	v_cmp_gt_i16_sdwa s[16:17], s33, v3 src0_sel:BYTE_0 src1_sel:DWORD
	s_and_b64 vcc, exec, s[16:17]
	s_cbranch_vccz .LBB62_590
; %bb.581:
	v_cvt_f32_f64_e32 v3, s[8:9]
	v_readfirstlane_b32 s18, v3
	s_and_b32 s14, s18, 0x7fffffff
	s_cmp_gt_u32 s14, 0x477fffff
	v_mov_b32_e32 v4, 0x80
	s_cbranch_scc1 .LBB62_589
; %bb.582:
	s_cmp_gt_u32 s14, 0x37ffffff
	s_cbranch_scc0 .LBB62_584
; %bb.583:
	s_bfe_u32 s14, s18, 0x10015
	s_add_i32 s14, s18, s14
	s_add_i32 s14, s14, 0x88fffff
	s_lshr_b32 s19, s14, 21
	s_mov_b64 s[16:17], 0
	s_mov_b64 s[14:15], -1
	s_branch .LBB62_585
.LBB62_584:
	s_mov_b64 s[16:17], -1
	s_mov_b64 s[14:15], 0
                                        ; implicit-def: $sgpr19
.LBB62_585:
	s_andn2_b64 vcc, exec, s[16:17]
	v_mov_b32_e32 v3, s19
                                        ; implicit-def: $sgpr16
	s_cbranch_vccnz .LBB62_587
; %bb.586:
	v_mov_b32_e32 v3, 0x42800000
	v_add_f32_e64 v3, |s18|, v3
	v_and_b32_e32 v3, 0xff, v3
	s_mov_b32 s16, 0
	v_cmp_ne_u32_e64 s[14:15], 0, v3
.LBB62_587:
	s_andn2_b64 vcc, exec, s[14:15]
	v_mov_b32_e32 v4, s16
	s_cbranch_vccnz .LBB62_589
; %bb.588:
	s_lshr_b32 s14, s18, 24
	s_and_b32 s14, s14, 0x80
	v_or_b32_e32 v4, s14, v3
.LBB62_589:
	s_mov_b64 s[14:15], 0
	global_store_byte v[0:1], v4, off
.LBB62_590:
	s_and_b64 vcc, exec, s[14:15]
	s_cbranch_vccz .LBB62_602
; %bb.591:
	v_cvt_f32_f64_e32 v3, s[8:9]
	v_readfirstlane_b32 s16, v3
	s_and_b32 s17, s16, 0x7fffffff
	s_cmp_lt_u32 s17, 0x43f00000
	s_cbranch_scc0 .LBB62_594
; %bb.592:
	s_cmp_gt_u32 s17, 0x3c7fffff
	s_cbranch_scc0 .LBB62_595
; %bb.593:
	s_bfe_u32 s14, s16, 0x10014
	s_add_i32 s14, s16, s14
	s_add_i32 s14, s14, 0x407ffff
	s_lshr_b32 s15, s14, 20
	s_and_b32 s14, s14, 0xff00000
	s_cmp_lg_u32 s14, 0x7f00000
	s_cselect_b32 s18, s15, 0x7e
	s_mov_b64 s[14:15], 0
	s_branch .LBB62_596
.LBB62_594:
	s_mov_b64 s[14:15], -1
                                        ; implicit-def: $vgpr4
	s_branch .LBB62_599
.LBB62_595:
	s_mov_b64 s[14:15], -1
                                        ; implicit-def: $sgpr18
.LBB62_596:
	s_andn2_b64 vcc, exec, s[14:15]
	v_mov_b32_e32 v4, s18
	s_cbranch_vccnz .LBB62_598
; %bb.597:
	s_mov_b32 s14, 0x46800000
	v_add_f32_e64 v4, |v3|, s14
.LBB62_598:
	s_mov_b64 s[14:15], 0
.LBB62_599:
	s_andn2_b64 vcc, exec, s[14:15]
	s_cbranch_vccnz .LBB62_601
; %bb.600:
	s_cmp_gt_u32 s17, 0x7f800000
	s_movk_i32 s14, 0x7f
	s_cselect_b32 s14, s14, 0x7e
	v_mov_b32_e32 v4, s14
.LBB62_601:
	s_lshr_b32 s14, s16, 24
	s_and_b32 s14, s14, 0x80
	v_or_b32_e32 v3, s14, v4
	global_store_byte v[0:1], v3, off
.LBB62_602:
	s_mov_b64 s[14:15], 0
.LBB62_603:
	s_andn2_b64 vcc, exec, s[14:15]
	s_cbranch_vccnz .LBB62_615
; %bb.604:
	v_cvt_f32_f64_e32 v3, s[8:9]
	v_readfirstlane_b32 s16, v3
	s_and_b32 s17, s16, 0x7fffffff
	s_cmp_lt_u32 s17, 0x47800000
	s_cbranch_scc0 .LBB62_607
; %bb.605:
	s_cmp_gt_u32 s17, 0x387fffff
	s_cbranch_scc0 .LBB62_608
; %bb.606:
	s_bfe_u32 s14, s16, 0x10015
	s_add_i32 s14, s16, s14
	s_add_i32 s14, s14, 0x80fffff
	s_lshr_b32 s18, s14, 21
	s_mov_b64 s[14:15], 0
	s_branch .LBB62_609
.LBB62_607:
	s_mov_b64 s[14:15], -1
                                        ; implicit-def: $vgpr4
	s_branch .LBB62_612
.LBB62_608:
	s_mov_b64 s[14:15], -1
                                        ; implicit-def: $sgpr18
.LBB62_609:
	s_andn2_b64 vcc, exec, s[14:15]
	v_mov_b32_e32 v4, s18
	s_cbranch_vccnz .LBB62_611
; %bb.610:
	s_mov_b32 s14, 0x43000000
	v_add_f32_e64 v4, |v3|, s14
.LBB62_611:
	s_mov_b64 s[14:15], 0
.LBB62_612:
	s_andn2_b64 vcc, exec, s[14:15]
	s_cbranch_vccnz .LBB62_614
; %bb.613:
	s_cmp_gt_u32 s17, 0x7f800000
	s_movk_i32 s14, 0x7f
	s_cselect_b32 s14, s14, 0x7c
	v_mov_b32_e32 v4, s14
.LBB62_614:
	s_lshr_b32 s14, s16, 24
	s_and_b32 s14, s14, 0x80
	v_or_b32_e32 v3, s14, v4
	global_store_byte v[0:1], v3, off
.LBB62_615:
	s_mov_b64 s[14:15], 0
	s_mov_b64 s[16:17], -1
.LBB62_616:
	s_andn2_b64 vcc, exec, s[14:15]
	s_mov_b64 s[14:15], 0
	s_cbranch_vccnz .LBB62_623
; %bb.617:
	v_mov_b32_e32 v3, 14
	v_cmp_gt_i16_sdwa s[14:15], s33, v3 src0_sel:BYTE_0 src1_sel:DWORD
	s_mov_b64 s[18:19], -1
	s_and_b64 vcc, exec, s[14:15]
	s_cbranch_vccz .LBB62_621
; %bb.618:
	v_mov_b32_e32 v3, 15
	v_cmp_eq_u16_sdwa s[14:15], s33, v3 src0_sel:BYTE_0 src1_sel:DWORD
	s_mov_b64 s[6:7], -1
	s_and_b64 vcc, exec, s[14:15]
	s_cbranch_vccz .LBB62_620
; %bb.619:
	v_cvt_f32_f64_e32 v3, s[8:9]
	v_bfe_u32 v4, v3, 16, 1
	v_add_u32_e32 v4, v3, v4
	v_add_u32_e32 v4, 0x7fff, v4
	v_lshrrev_b32_e32 v4, 16, v4
	v_mov_b32_e32 v5, 0x7fc0
	v_cmp_o_f32_e32 vcc, v3, v3
	v_cndmask_b32_e32 v3, v5, v4, vcc
	global_store_short v[0:1], v3, off
	s_mov_b64 s[6:7], 0
	s_mov_b64 s[16:17], -1
.LBB62_620:
	s_mov_b64 s[18:19], 0
.LBB62_621:
	s_mov_b64 s[14:15], 0
	s_and_b64 vcc, exec, s[18:19]
	s_cbranch_vccz .LBB62_623
; %bb.622:
	v_mov_b32_e32 v3, 11
	v_cmp_ne_u16_sdwa s[6:7], s33, v3 src0_sel:BYTE_0 src1_sel:DWORD
	s_mov_b64 s[14:15], -1
.LBB62_623:
	s_and_b64 vcc, exec, s[6:7]
	s_cbranch_vccnz .LBB62_706
; %bb.624:
	s_andn2_b64 vcc, exec, s[14:15]
	s_cbranch_vccnz .LBB62_626
.LBB62_625:
	v_cmp_neq_f64_e64 s[6:7], s[8:9], 0
	v_cmp_neq_f64_e64 s[14:15], s[10:11], 0
	s_or_b64 s[6:7], s[6:7], s[14:15]
	v_cndmask_b32_e64 v3, 0, 1, s[6:7]
	s_mov_b64 s[16:17], -1
	global_store_byte v[0:1], v3, off
.LBB62_626:
	s_branch .LBB62_543
.LBB62_627:
	v_mov_b32_e32 v3, 5
	v_cmp_lt_i16_sdwa s[14:15], s33, v3 src0_sel:BYTE_0 src1_sel:DWORD
	s_mov_b64 s[6:7], -1
	s_and_b64 vcc, exec, s[14:15]
	s_cbranch_vccnz .LBB62_648
; %bb.628:
	v_mov_b32_e32 v3, 8
	v_cmp_lt_i16_sdwa s[14:15], s33, v3 src0_sel:BYTE_0 src1_sel:DWORD
	s_and_b64 vcc, exec, s[14:15]
	s_cbranch_vccnz .LBB62_638
; %bb.629:
	v_mov_b32_e32 v3, 9
	v_cmp_lt_i16_sdwa s[14:15], s33, v3 src0_sel:BYTE_0 src1_sel:DWORD
	s_and_b64 vcc, exec, s[14:15]
	s_cbranch_vccnz .LBB62_635
; %bb.630:
	v_cmp_gt_i16_sdwa s[14:15], s33, v3 src0_sel:BYTE_0 src1_sel:DWORD
	s_and_b64 vcc, exec, s[14:15]
	s_cbranch_vccz .LBB62_632
; %bb.631:
	v_mov_b32_e32 v4, s8
	v_mov_b32_e32 v5, s9
	v_mov_b32_e32 v6, s10
	v_mov_b32_e32 v7, s11
	global_store_dwordx4 v[0:1], v[4:7], off
	s_mov_b64 s[6:7], 0
.LBB62_632:
	s_andn2_b64 vcc, exec, s[6:7]
	s_cbranch_vccnz .LBB62_634
; %bb.633:
	v_cvt_f32_f64_e32 v5, s[10:11]
	v_cvt_f32_f64_e32 v4, s[8:9]
	global_store_dwordx2 v[0:1], v[4:5], off
.LBB62_634:
	s_mov_b64 s[6:7], 0
.LBB62_635:
	s_andn2_b64 vcc, exec, s[6:7]
	s_cbranch_vccnz .LBB62_637
; %bb.636:
	v_cvt_f32_f64_e32 v3, s[8:9]
	v_cvt_f32_f64_e32 v4, s[10:11]
	v_cvt_f16_f32_e32 v3, v3
	v_cvt_f16_f32_sdwa v4, v4 dst_sel:WORD_1 dst_unused:UNUSED_PAD src0_sel:DWORD
	v_or_b32_e32 v3, v4, v3
	global_store_dword v[0:1], v3, off
.LBB62_637:
	s_mov_b64 s[6:7], 0
.LBB62_638:
	s_andn2_b64 vcc, exec, s[6:7]
	s_cbranch_vccnz .LBB62_647
; %bb.639:
	v_mov_b32_e32 v3, 6
	v_cmp_lt_i16_sdwa s[14:15], s33, v3 src0_sel:BYTE_0 src1_sel:DWORD
	s_mov_b64 s[6:7], -1
	s_and_b64 vcc, exec, s[14:15]
	s_cbranch_vccnz .LBB62_645
; %bb.640:
	v_cmp_gt_i16_sdwa s[14:15], s33, v3 src0_sel:BYTE_0 src1_sel:DWORD
	s_and_b64 vcc, exec, s[14:15]
	s_cbranch_vccz .LBB62_642
; %bb.641:
	v_pk_mov_b32 v[4:5], s[8:9], s[8:9] op_sel:[0,1]
	global_store_dwordx2 v[0:1], v[4:5], off
	s_mov_b64 s[6:7], 0
.LBB62_642:
	s_andn2_b64 vcc, exec, s[6:7]
	s_cbranch_vccnz .LBB62_644
; %bb.643:
	v_cvt_f32_f64_e32 v3, s[8:9]
	global_store_dword v[0:1], v3, off
.LBB62_644:
	s_mov_b64 s[6:7], 0
.LBB62_645:
	s_andn2_b64 vcc, exec, s[6:7]
	s_cbranch_vccnz .LBB62_647
; %bb.646:
	v_cvt_f32_f64_e32 v3, s[8:9]
	v_cvt_f16_f32_e32 v3, v3
	global_store_short v[0:1], v3, off
.LBB62_647:
	s_mov_b64 s[6:7], 0
.LBB62_648:
	s_andn2_b64 vcc, exec, s[6:7]
	s_cbranch_vccnz .LBB62_664
; %bb.649:
	v_mov_b32_e32 v3, 2
	v_cmp_lt_i16_sdwa s[14:15], s33, v3 src0_sel:BYTE_0 src1_sel:DWORD
	s_mov_b64 s[6:7], -1
	s_and_b64 vcc, exec, s[14:15]
	s_cbranch_vccnz .LBB62_659
; %bb.650:
	v_mov_b32_e32 v3, 3
	v_cmp_lt_i16_sdwa s[14:15], s33, v3 src0_sel:BYTE_0 src1_sel:DWORD
	s_and_b64 vcc, exec, s[14:15]
	s_cbranch_vccnz .LBB62_656
; %bb.651:
	v_cmp_gt_i16_sdwa s[14:15], s33, v3 src0_sel:BYTE_0 src1_sel:DWORD
	s_and_b64 vcc, exec, s[14:15]
	s_cbranch_vccz .LBB62_653
; %bb.652:
	v_trunc_f64_e32 v[4:5], s[8:9]
	s_movk_i32 s6, 0xffe0
	v_ldexp_f64 v[6:7], v[4:5], s6
	v_floor_f64_e32 v[6:7], v[6:7]
	v_fmac_f64_e32 v[4:5], 0xc1f00000, v[6:7]
	v_cvt_i32_f64_e32 v9, v[6:7]
	v_cvt_u32_f64_e32 v8, v[4:5]
	global_store_dwordx2 v[0:1], v[8:9], off
	s_mov_b64 s[6:7], 0
.LBB62_653:
	s_andn2_b64 vcc, exec, s[6:7]
	s_cbranch_vccnz .LBB62_655
; %bb.654:
	v_cvt_i32_f64_e32 v3, s[8:9]
	global_store_dword v[0:1], v3, off
.LBB62_655:
	s_mov_b64 s[6:7], 0
.LBB62_656:
	s_andn2_b64 vcc, exec, s[6:7]
	s_cbranch_vccnz .LBB62_658
; %bb.657:
	v_cvt_i32_f64_e32 v3, s[8:9]
	global_store_short v[0:1], v3, off
.LBB62_658:
	s_mov_b64 s[6:7], 0
.LBB62_659:
	s_andn2_b64 vcc, exec, s[6:7]
	s_cbranch_vccnz .LBB62_664
; %bb.660:
	v_mov_b32_e32 v3, 0
	v_cmp_gt_i16_sdwa s[14:15], s33, v3 src0_sel:BYTE_0 src1_sel:DWORD
	s_mov_b64 s[6:7], -1
	s_and_b64 vcc, exec, s[14:15]
	s_cbranch_vccz .LBB62_662
; %bb.661:
	v_cvt_i32_f64_e32 v3, s[8:9]
	global_store_byte v[0:1], v3, off
	s_mov_b64 s[6:7], 0
.LBB62_662:
	s_andn2_b64 vcc, exec, s[6:7]
	s_cbranch_vccnz .LBB62_664
; %bb.663:
	v_trunc_f64_e32 v[4:5], s[8:9]
	s_movk_i32 s6, 0xffe0
	v_ldexp_f64 v[6:7], v[4:5], s6
	v_floor_f64_e32 v[6:7], v[6:7]
	v_fmac_f64_e32 v[4:5], 0xc1f00000, v[6:7]
	v_cvt_u32_f64_e32 v3, v[4:5]
	global_store_byte v[0:1], v3, off
.LBB62_664:
.LBB62_665:
	v_add_u32_e32 v2, s20, v2
	v_ashrrev_i32_e32 v1, 31, v2
	v_mov_b32_e32 v3, s13
	v_add_co_u32_e32 v0, vcc, s12, v2
	v_addc_co_u32_e32 v1, vcc, v3, v1, vcc
	v_mov_b32_e32 v3, 11
	v_cmp_lt_i16_sdwa s[6:7], s33, v3 src0_sel:BYTE_0 src1_sel:DWORD
	s_and_b64 vcc, exec, s[6:7]
	s_cbranch_vccnz .LBB62_672
; %bb.666:
	v_mov_b32_e32 v3, 25
	v_cmp_gt_i16_sdwa s[6:7], s33, v3 src0_sel:BYTE_0 src1_sel:DWORD
	s_mov_b64 s[18:19], -1
	s_mov_b64 s[14:15], 0
	s_and_b64 vcc, exec, s[6:7]
	s_mov_b64 s[16:17], 0
	s_mov_b64 s[6:7], 0
	s_cbranch_vccz .LBB62_737
; %bb.667:
	v_mov_b32_e32 v3, 28
	v_cmp_gt_i16_sdwa s[6:7], s33, v3 src0_sel:BYTE_0 src1_sel:DWORD
	s_and_b64 vcc, exec, s[6:7]
	s_cbranch_vccz .LBB62_704
; %bb.668:
	v_mov_b32_e32 v3, 43
	v_cmp_gt_i16_sdwa s[6:7], s33, v3 src0_sel:BYTE_0 src1_sel:DWORD
	s_and_b64 vcc, exec, s[6:7]
	;; [unrolled: 5-line block ×3, first 2 shown]
	s_cbranch_vccz .LBB62_707
; %bb.670:
	v_mov_b32_e32 v3, 46
	v_cmp_eq_u16_sdwa s[16:17], s33, v3 src0_sel:BYTE_0 src1_sel:DWORD
	s_mov_b64 s[6:7], -1
	s_mov_b64 s[18:19], 0
	s_and_b64 vcc, exec, s[16:17]
	s_mov_b64 s[16:17], 0
	s_cbranch_vccz .LBB62_708
; %bb.671:
	v_cvt_f32_f64_e32 v4, s[10:11]
	v_cvt_f32_f64_e32 v3, s[8:9]
	v_bfe_u32 v6, v4, 16, 1
	v_bfe_u32 v5, v3, 16, 1
	v_add_u32_e32 v6, v4, v6
	v_add_u32_e32 v5, v3, v5
	;; [unrolled: 1-line block ×4, first 2 shown]
	v_and_b32_e32 v6, 0xffff0000, v6
	v_mov_b32_e32 v7, 0x7fc00000
	v_cmp_o_f32_e32 vcc, v4, v4
	v_lshrrev_b32_e32 v5, 16, v5
	v_cndmask_b32_e32 v4, v7, v6, vcc
	v_mov_b32_e32 v6, 0x7fc0
	v_cmp_o_f32_e32 vcc, v3, v3
	v_cndmask_b32_e32 v3, v6, v5, vcc
	v_or_b32_e32 v3, v4, v3
	global_store_dword v[0:1], v3, off
	s_mov_b64 s[6:7], 0
	s_mov_b64 s[16:17], -1
	s_branch .LBB62_708
.LBB62_672:
	s_mov_b64 s[16:17], 0
	s_cbranch_execnz .LBB62_801
.LBB62_673:
	s_andn2_b64 vcc, exec, s[16:17]
	s_cbranch_vccnz .LBB62_839
.LBB62_674:
	v_add_u32_e32 v0, s20, v2
	v_ashrrev_i32_e32 v1, 31, v0
	v_mov_b32_e32 v2, s13
	v_add_co_u32_e32 v0, vcc, s12, v0
	v_addc_co_u32_e32 v1, vcc, v2, v1, vcc
	v_mov_b32_e32 v2, 0xff
	v_and_b32_e32 v2, s33, v2
	v_cmp_gt_i16_e32 vcc, 11, v2
	s_cbranch_vccnz .LBB62_703
; %bb.675:
	v_cmp_lt_i16_e32 vcc, 25, v2
	s_mov_b64 s[14:15], -1
	s_mov_b64 s[12:13], 0
	s_mov_b64 s[6:7], 0
	s_cbranch_vccz .LBB62_751
; %bb.676:
	v_cmp_lt_i16_e32 vcc, 28, v2
	s_cbranch_vccz .LBB62_692
; %bb.677:
	v_cmp_lt_i16_e32 vcc, 43, v2
	;; [unrolled: 3-line block ×3, first 2 shown]
	s_cbranch_vccz .LBB62_682
; %bb.679:
	v_cmp_eq_u16_e32 vcc, 46, v2
	s_mov_b64 s[6:7], -1
	s_cbranch_vccz .LBB62_681
; %bb.680:
	v_cvt_f32_f64_e32 v4, s[8:9]
	v_cvt_f32_f64_e32 v3, s[10:11]
	v_bfe_u32 v5, v4, 16, 1
	v_bfe_u32 v6, v3, 16, 1
	v_add_u32_e32 v5, v4, v5
	v_add_u32_e32 v6, v3, v6
	;; [unrolled: 1-line block ×4, first 2 shown]
	v_lshrrev_b32_e32 v5, 16, v5
	v_mov_b32_e32 v7, 0x7fc0
	v_cmp_o_f32_e32 vcc, v4, v4
	v_and_b32_e32 v6, 0xffff0000, v6
	v_cndmask_b32_e32 v4, v7, v5, vcc
	v_mov_b32_e32 v5, 0x7fc00000
	v_cmp_o_f32_e32 vcc, v3, v3
	v_cndmask_b32_e32 v3, v5, v6, vcc
	v_or_b32_e32 v3, v3, v4
	global_store_dword v[0:1], v3, off
	s_mov_b64 s[6:7], 0
.LBB62_681:
	s_mov_b64 s[14:15], 0
.LBB62_682:
	s_and_b64 vcc, exec, s[14:15]
	s_cbranch_vccz .LBB62_687
; %bb.683:
	v_cmp_eq_u16_e32 vcc, 44, v2
	s_mov_b64 s[6:7], -1
	s_cbranch_vccz .LBB62_687
; %bb.684:
	v_cvt_f32_f64_e32 v3, s[8:9]
	v_readfirstlane_b32 s6, v3
	s_bfe_u32 s7, s6, 0x80017
	s_cmpk_eq_i32 s7, 0xff
	v_mov_b32_e32 v4, 0xff
	s_cbranch_scc1 .LBB62_686
; %bb.685:
	s_bitcmp1_b32 s6, 22
	s_cselect_b64 s[14:15], -1, 0
	s_and_b32 s6, s6, 0x3fffff
	s_or_b32 s6, s7, s6
	s_cmp_lg_u32 s6, 0
	s_cselect_b64 s[6:7], -1, 0
	s_and_b64 s[6:7], s[14:15], s[6:7]
	v_lshrrev_b32_e32 v3, 23, v3
	v_cndmask_b32_e64 v4, 0, 1, s[6:7]
	v_add_u32_e32 v4, v3, v4
.LBB62_686:
	s_mov_b64 s[6:7], 0
	global_store_byte v[0:1], v4, off
.LBB62_687:
	s_mov_b64 s[14:15], 0
.LBB62_688:
	s_and_b64 vcc, exec, s[14:15]
	s_cbranch_vccz .LBB62_691
; %bb.689:
	v_cmp_eq_u16_e32 vcc, 29, v2
	s_mov_b64 s[6:7], -1
	s_cbranch_vccz .LBB62_691
; %bb.690:
	v_trunc_f64_e32 v[4:5], s[8:9]
	s_movk_i32 s6, 0xffe0
	v_ldexp_f64 v[6:7], v[4:5], s6
	v_floor_f64_e32 v[6:7], v[6:7]
	v_fmac_f64_e32 v[4:5], 0xc1f00000, v[6:7]
	v_cvt_u32_f64_e32 v9, v[6:7]
	v_cvt_u32_f64_e32 v8, v[4:5]
	global_store_dwordx2 v[0:1], v[8:9], off
	s_mov_b64 s[6:7], 0
.LBB62_691:
	s_mov_b64 s[14:15], 0
.LBB62_692:
	s_and_b64 vcc, exec, s[14:15]
	s_cbranch_vccz .LBB62_750
; %bb.693:
	v_cmp_gt_i16_e32 vcc, 27, v2
	s_mov_b64 s[14:15], -1
	s_cbranch_vccnz .LBB62_699
; %bb.694:
	v_cmp_lt_i16_e32 vcc, 27, v2
	v_cvt_u32_f64_e32 v3, s[8:9]
	s_cbranch_vccz .LBB62_696
; %bb.695:
	global_store_dword v[0:1], v3, off
	s_mov_b64 s[14:15], 0
.LBB62_696:
	s_andn2_b64 vcc, exec, s[14:15]
	s_cbranch_vccnz .LBB62_698
; %bb.697:
	global_store_short v[0:1], v3, off
.LBB62_698:
	s_mov_b64 s[14:15], 0
.LBB62_699:
	s_andn2_b64 vcc, exec, s[14:15]
	s_cbranch_vccnz .LBB62_750
; %bb.700:
	v_cvt_f32_f64_e32 v3, s[8:9]
	v_readfirstlane_b32 s18, v3
	s_and_b32 s14, s18, 0x7fffffff
	s_cmp_gt_u32 s14, 0x437fffff
	v_mov_b32_e32 v4, 0x80
	s_cbranch_scc1 .LBB62_749
; %bb.701:
	s_cmp_gt_u32 s14, 0x3bffffff
	s_cbranch_scc0 .LBB62_744
; %bb.702:
	s_bfe_u32 s14, s18, 0x10014
	s_add_i32 s14, s18, s14
	s_add_i32 s14, s14, 0x487ffff
	s_lshr_b32 s19, s14, 20
	s_mov_b64 s[16:17], 0
	s_mov_b64 s[14:15], -1
	s_branch .LBB62_745
.LBB62_703:
	s_mov_b64 s[12:13], 0
	s_mov_b64 s[6:7], -1
	s_branch .LBB62_840
.LBB62_704:
	s_mov_b64 s[6:7], 0
	s_branch .LBB62_718
.LBB62_705:
	s_mov_b64 s[6:7], 0
	s_branch .LBB62_714
.LBB62_706:
	s_trap 2
	s_or_b64 s[4:5], s[4:5], exec
	s_cbranch_execz .LBB62_625
	s_branch .LBB62_626
.LBB62_707:
	s_mov_b64 s[6:7], 0
.LBB62_708:
	s_and_b64 vcc, exec, s[18:19]
	s_cbranch_vccz .LBB62_713
; %bb.709:
	v_mov_b32_e32 v3, 44
	v_cmp_eq_u16_sdwa s[18:19], s33, v3 src0_sel:BYTE_0 src1_sel:DWORD
	s_mov_b64 s[6:7], -1
	s_and_b64 vcc, exec, s[18:19]
	s_cbranch_vccz .LBB62_713
; %bb.710:
	v_cvt_f32_f64_e32 v3, s[8:9]
	v_readfirstlane_b32 s6, v3
	s_bfe_u32 s7, s6, 0x80017
	s_cmpk_eq_i32 s7, 0xff
	v_mov_b32_e32 v4, 0xff
	s_cbranch_scc1 .LBB62_712
; %bb.711:
	s_bitcmp1_b32 s6, 22
	s_cselect_b64 s[16:17], -1, 0
	s_and_b32 s6, s6, 0x3fffff
	s_or_b32 s6, s7, s6
	s_cmp_lg_u32 s6, 0
	s_cselect_b64 s[6:7], -1, 0
	s_and_b64 s[6:7], s[16:17], s[6:7]
	v_lshrrev_b32_e32 v3, 23, v3
	v_cndmask_b32_e64 v4, 0, 1, s[6:7]
	v_add_u32_e32 v4, v3, v4
.LBB62_712:
	s_mov_b64 s[6:7], 0
	s_mov_b64 s[16:17], -1
	global_store_byte v[0:1], v4, off
.LBB62_713:
	s_mov_b64 s[18:19], 0
.LBB62_714:
	s_and_b64 vcc, exec, s[18:19]
	s_cbranch_vccz .LBB62_717
; %bb.715:
	v_mov_b32_e32 v3, 29
	v_cmp_eq_u16_sdwa s[18:19], s33, v3 src0_sel:BYTE_0 src1_sel:DWORD
	s_mov_b64 s[6:7], -1
	s_and_b64 vcc, exec, s[18:19]
	s_cbranch_vccz .LBB62_717
; %bb.716:
	v_trunc_f64_e32 v[4:5], s[8:9]
	s_movk_i32 s6, 0xffe0
	v_ldexp_f64 v[6:7], v[4:5], s6
	v_floor_f64_e32 v[6:7], v[6:7]
	v_fmac_f64_e32 v[4:5], 0xc1f00000, v[6:7]
	v_cvt_u32_f64_e32 v9, v[6:7]
	v_cvt_u32_f64_e32 v8, v[4:5]
	global_store_dwordx2 v[0:1], v[8:9], off
	s_mov_b64 s[6:7], 0
	s_mov_b64 s[16:17], -1
.LBB62_717:
	s_mov_b64 s[18:19], 0
.LBB62_718:
	s_and_b64 vcc, exec, s[18:19]
	s_cbranch_vccz .LBB62_736
; %bb.719:
	v_mov_b32_e32 v3, 27
	v_cmp_lt_i16_sdwa s[18:19], s33, v3 src0_sel:BYTE_0 src1_sel:DWORD
	s_mov_b64 s[16:17], -1
	s_and_b64 vcc, exec, s[18:19]
	s_cbranch_vccnz .LBB62_725
; %bb.720:
	v_cmp_gt_i16_sdwa s[18:19], s33, v3 src0_sel:BYTE_0 src1_sel:DWORD
	s_and_b64 vcc, exec, s[18:19]
	s_cbranch_vccz .LBB62_722
; %bb.721:
	v_cvt_u32_f64_e32 v3, s[8:9]
	s_mov_b64 s[16:17], 0
	global_store_dword v[0:1], v3, off
.LBB62_722:
	s_andn2_b64 vcc, exec, s[16:17]
	s_cbranch_vccnz .LBB62_724
; %bb.723:
	v_cvt_u32_f64_e32 v3, s[8:9]
	global_store_short v[0:1], v3, off
.LBB62_724:
	s_mov_b64 s[16:17], 0
.LBB62_725:
	s_andn2_b64 vcc, exec, s[16:17]
	s_cbranch_vccnz .LBB62_735
; %bb.726:
	v_cvt_f32_f64_e32 v3, s[8:9]
	v_readfirstlane_b32 s21, v3
	s_and_b32 s16, s21, 0x7fffffff
	s_cmp_gt_u32 s16, 0x437fffff
	v_mov_b32_e32 v4, 0x80
	s_cbranch_scc1 .LBB62_734
; %bb.727:
	s_cmp_gt_u32 s16, 0x3bffffff
	s_cbranch_scc0 .LBB62_729
; %bb.728:
	s_bfe_u32 s16, s21, 0x10014
	s_add_i32 s16, s21, s16
	s_add_i32 s16, s16, 0x487ffff
	s_lshr_b32 s22, s16, 20
	s_mov_b64 s[18:19], 0
	s_mov_b64 s[16:17], -1
	s_branch .LBB62_730
.LBB62_729:
	s_mov_b64 s[18:19], -1
	s_mov_b64 s[16:17], 0
                                        ; implicit-def: $sgpr22
.LBB62_730:
	s_andn2_b64 vcc, exec, s[18:19]
	v_mov_b32_e32 v3, s22
                                        ; implicit-def: $sgpr18
	s_cbranch_vccnz .LBB62_732
; %bb.731:
	v_mov_b32_e32 v3, 0x46000000
	v_add_f32_e64 v3, |s21|, v3
	v_and_b32_e32 v3, 0xff, v3
	s_mov_b32 s18, 0
	v_cmp_ne_u32_e64 s[16:17], 0, v3
.LBB62_732:
	s_andn2_b64 vcc, exec, s[16:17]
	v_mov_b32_e32 v4, s18
	s_cbranch_vccnz .LBB62_734
; %bb.733:
	s_lshr_b32 s16, s21, 24
	s_and_b32 s16, s16, 0x80
	v_or_b32_e32 v4, s16, v3
.LBB62_734:
	global_store_byte v[0:1], v4, off
.LBB62_735:
	s_mov_b64 s[16:17], -1
.LBB62_736:
	s_mov_b64 s[18:19], 0
.LBB62_737:
	s_and_b64 vcc, exec, s[18:19]
	s_cbranch_vccz .LBB62_797
; %bb.738:
	v_mov_b32_e32 v3, 22
	v_cmp_gt_i16_sdwa s[18:19], s33, v3 src0_sel:BYTE_0 src1_sel:DWORD
	s_mov_b64 s[14:15], -1
	s_and_b64 vcc, exec, s[18:19]
	s_cbranch_vccz .LBB62_790
; %bb.739:
	v_mov_b32_e32 v3, 24
	v_cmp_lt_i16_sdwa s[16:17], s33, v3 src0_sel:BYTE_0 src1_sel:DWORD
	s_and_b64 vcc, exec, s[16:17]
	s_cbranch_vccnz .LBB62_777
; %bb.740:
	v_cmp_gt_i16_sdwa s[16:17], s33, v3 src0_sel:BYTE_0 src1_sel:DWORD
	s_and_b64 vcc, exec, s[16:17]
	s_cbranch_vccz .LBB62_764
; %bb.741:
	v_cvt_f32_f64_e32 v3, s[8:9]
	v_readfirstlane_b32 s18, v3
	s_and_b32 s14, s18, 0x7fffffff
	s_cmp_gt_u32 s14, 0x477fffff
	v_mov_b32_e32 v4, 0x80
	s_cbranch_scc1 .LBB62_763
; %bb.742:
	s_cmp_gt_u32 s14, 0x37ffffff
	s_cbranch_scc0 .LBB62_758
; %bb.743:
	s_bfe_u32 s14, s18, 0x10015
	s_add_i32 s14, s18, s14
	s_add_i32 s14, s14, 0x88fffff
	s_lshr_b32 s19, s14, 21
	s_mov_b64 s[16:17], 0
	s_mov_b64 s[14:15], -1
	s_branch .LBB62_759
.LBB62_744:
	s_mov_b64 s[16:17], -1
	s_mov_b64 s[14:15], 0
                                        ; implicit-def: $sgpr19
.LBB62_745:
	s_andn2_b64 vcc, exec, s[16:17]
	v_mov_b32_e32 v3, s19
                                        ; implicit-def: $sgpr16
	s_cbranch_vccnz .LBB62_747
; %bb.746:
	v_mov_b32_e32 v3, 0x46000000
	v_add_f32_e64 v3, |s18|, v3
	v_and_b32_e32 v3, 0xff, v3
	s_mov_b32 s16, 0
	v_cmp_ne_u32_e64 s[14:15], 0, v3
.LBB62_747:
	s_andn2_b64 vcc, exec, s[14:15]
	v_mov_b32_e32 v4, s16
	s_cbranch_vccnz .LBB62_749
; %bb.748:
	s_lshr_b32 s14, s18, 24
	s_and_b32 s14, s14, 0x80
	v_or_b32_e32 v4, s14, v3
.LBB62_749:
	global_store_byte v[0:1], v4, off
.LBB62_750:
	s_mov_b64 s[14:15], 0
.LBB62_751:
	s_and_b64 vcc, exec, s[14:15]
	s_cbranch_vccz .LBB62_921
; %bb.752:
	v_cmp_lt_i16_e32 vcc, 22, v2
	s_mov_b64 s[12:13], -1
	s_cbranch_vccz .LBB62_914
; %bb.753:
	v_cmp_gt_i16_e32 vcc, 24, v2
	s_cbranch_vccnz .LBB62_901
; %bb.754:
	v_cmp_lt_i16_e32 vcc, 24, v2
	s_cbranch_vccz .LBB62_888
; %bb.755:
	v_cvt_f32_f64_e32 v3, s[8:9]
	v_readfirstlane_b32 s16, v3
	s_and_b32 s12, s16, 0x7fffffff
	s_cmp_gt_u32 s12, 0x477fffff
	v_mov_b32_e32 v4, 0x80
	s_cbranch_scc1 .LBB62_887
; %bb.756:
	s_cmp_gt_u32 s12, 0x37ffffff
	s_cbranch_scc0 .LBB62_882
; %bb.757:
	s_bfe_u32 s12, s16, 0x10015
	s_add_i32 s12, s16, s12
	s_add_i32 s12, s12, 0x88fffff
	s_lshr_b32 s17, s12, 21
	s_mov_b64 s[14:15], 0
	s_mov_b64 s[12:13], -1
	s_branch .LBB62_883
.LBB62_758:
	s_mov_b64 s[16:17], -1
	s_mov_b64 s[14:15], 0
                                        ; implicit-def: $sgpr19
.LBB62_759:
	s_andn2_b64 vcc, exec, s[16:17]
	v_mov_b32_e32 v3, s19
                                        ; implicit-def: $sgpr16
	s_cbranch_vccnz .LBB62_761
; %bb.760:
	v_mov_b32_e32 v3, 0x42800000
	v_add_f32_e64 v3, |s18|, v3
	v_and_b32_e32 v3, 0xff, v3
	s_mov_b32 s16, 0
	v_cmp_ne_u32_e64 s[14:15], 0, v3
.LBB62_761:
	s_andn2_b64 vcc, exec, s[14:15]
	v_mov_b32_e32 v4, s16
	s_cbranch_vccnz .LBB62_763
; %bb.762:
	s_lshr_b32 s14, s18, 24
	s_and_b32 s14, s14, 0x80
	v_or_b32_e32 v4, s14, v3
.LBB62_763:
	s_mov_b64 s[14:15], 0
	global_store_byte v[0:1], v4, off
.LBB62_764:
	s_and_b64 vcc, exec, s[14:15]
	s_cbranch_vccz .LBB62_776
; %bb.765:
	v_cvt_f32_f64_e32 v3, s[8:9]
	v_readfirstlane_b32 s16, v3
	s_and_b32 s17, s16, 0x7fffffff
	s_cmp_lt_u32 s17, 0x43f00000
	s_cbranch_scc0 .LBB62_768
; %bb.766:
	s_cmp_gt_u32 s17, 0x3c7fffff
	s_cbranch_scc0 .LBB62_769
; %bb.767:
	s_bfe_u32 s14, s16, 0x10014
	s_add_i32 s14, s16, s14
	s_add_i32 s14, s14, 0x407ffff
	s_lshr_b32 s15, s14, 20
	s_and_b32 s14, s14, 0xff00000
	s_cmp_lg_u32 s14, 0x7f00000
	s_cselect_b32 s18, s15, 0x7e
	s_mov_b64 s[14:15], 0
	s_branch .LBB62_770
.LBB62_768:
	s_mov_b64 s[14:15], -1
                                        ; implicit-def: $vgpr4
	s_branch .LBB62_773
.LBB62_769:
	s_mov_b64 s[14:15], -1
                                        ; implicit-def: $sgpr18
.LBB62_770:
	s_andn2_b64 vcc, exec, s[14:15]
	v_mov_b32_e32 v4, s18
	s_cbranch_vccnz .LBB62_772
; %bb.771:
	s_mov_b32 s14, 0x46800000
	v_add_f32_e64 v4, |v3|, s14
.LBB62_772:
	s_mov_b64 s[14:15], 0
.LBB62_773:
	s_andn2_b64 vcc, exec, s[14:15]
	s_cbranch_vccnz .LBB62_775
; %bb.774:
	s_cmp_gt_u32 s17, 0x7f800000
	s_movk_i32 s14, 0x7f
	s_cselect_b32 s14, s14, 0x7e
	v_mov_b32_e32 v4, s14
.LBB62_775:
	s_lshr_b32 s14, s16, 24
	s_and_b32 s14, s14, 0x80
	v_or_b32_e32 v3, s14, v4
	global_store_byte v[0:1], v3, off
.LBB62_776:
	s_mov_b64 s[14:15], 0
.LBB62_777:
	s_andn2_b64 vcc, exec, s[14:15]
	s_cbranch_vccnz .LBB62_789
; %bb.778:
	v_cvt_f32_f64_e32 v3, s[8:9]
	v_readfirstlane_b32 s16, v3
	s_and_b32 s17, s16, 0x7fffffff
	s_cmp_lt_u32 s17, 0x47800000
	s_cbranch_scc0 .LBB62_781
; %bb.779:
	s_cmp_gt_u32 s17, 0x387fffff
	s_cbranch_scc0 .LBB62_782
; %bb.780:
	s_bfe_u32 s14, s16, 0x10015
	s_add_i32 s14, s16, s14
	s_add_i32 s14, s14, 0x80fffff
	s_lshr_b32 s18, s14, 21
	s_mov_b64 s[14:15], 0
	s_branch .LBB62_783
.LBB62_781:
	s_mov_b64 s[14:15], -1
                                        ; implicit-def: $vgpr4
	s_branch .LBB62_786
.LBB62_782:
	s_mov_b64 s[14:15], -1
                                        ; implicit-def: $sgpr18
.LBB62_783:
	s_andn2_b64 vcc, exec, s[14:15]
	v_mov_b32_e32 v4, s18
	s_cbranch_vccnz .LBB62_785
; %bb.784:
	s_mov_b32 s14, 0x43000000
	v_add_f32_e64 v4, |v3|, s14
.LBB62_785:
	s_mov_b64 s[14:15], 0
.LBB62_786:
	s_andn2_b64 vcc, exec, s[14:15]
	s_cbranch_vccnz .LBB62_788
; %bb.787:
	s_cmp_gt_u32 s17, 0x7f800000
	s_movk_i32 s14, 0x7f
	s_cselect_b32 s14, s14, 0x7c
	v_mov_b32_e32 v4, s14
.LBB62_788:
	s_lshr_b32 s14, s16, 24
	s_and_b32 s14, s14, 0x80
	v_or_b32_e32 v3, s14, v4
	global_store_byte v[0:1], v3, off
.LBB62_789:
	s_mov_b64 s[14:15], 0
	s_mov_b64 s[16:17], -1
.LBB62_790:
	s_andn2_b64 vcc, exec, s[14:15]
	s_mov_b64 s[14:15], 0
	s_cbranch_vccnz .LBB62_797
; %bb.791:
	v_mov_b32_e32 v3, 14
	v_cmp_gt_i16_sdwa s[14:15], s33, v3 src0_sel:BYTE_0 src1_sel:DWORD
	s_mov_b64 s[18:19], -1
	s_and_b64 vcc, exec, s[14:15]
	s_cbranch_vccz .LBB62_795
; %bb.792:
	v_mov_b32_e32 v3, 15
	v_cmp_eq_u16_sdwa s[14:15], s33, v3 src0_sel:BYTE_0 src1_sel:DWORD
	s_mov_b64 s[6:7], -1
	s_and_b64 vcc, exec, s[14:15]
	s_cbranch_vccz .LBB62_794
; %bb.793:
	v_cvt_f32_f64_e32 v3, s[8:9]
	v_bfe_u32 v4, v3, 16, 1
	v_add_u32_e32 v4, v3, v4
	v_add_u32_e32 v4, 0x7fff, v4
	v_lshrrev_b32_e32 v4, 16, v4
	v_mov_b32_e32 v5, 0x7fc0
	v_cmp_o_f32_e32 vcc, v3, v3
	v_cndmask_b32_e32 v3, v5, v4, vcc
	global_store_short v[0:1], v3, off
	s_mov_b64 s[6:7], 0
	s_mov_b64 s[16:17], -1
.LBB62_794:
	s_mov_b64 s[18:19], 0
.LBB62_795:
	s_mov_b64 s[14:15], 0
	s_and_b64 vcc, exec, s[18:19]
	s_cbranch_vccz .LBB62_797
; %bb.796:
	v_mov_b32_e32 v3, 11
	v_cmp_ne_u16_sdwa s[6:7], s33, v3 src0_sel:BYTE_0 src1_sel:DWORD
	s_mov_b64 s[14:15], -1
.LBB62_797:
	s_and_b64 vcc, exec, s[6:7]
	s_cbranch_vccnz .LBB62_881
; %bb.798:
	s_andn2_b64 vcc, exec, s[14:15]
	s_cbranch_vccnz .LBB62_800
.LBB62_799:
	v_cmp_neq_f64_e64 s[6:7], s[8:9], 0
	v_cmp_neq_f64_e64 s[14:15], s[10:11], 0
	s_or_b64 s[6:7], s[6:7], s[14:15]
	v_cndmask_b32_e64 v3, 0, 1, s[6:7]
	s_mov_b64 s[16:17], -1
	global_store_byte v[0:1], v3, off
.LBB62_800:
	s_branch .LBB62_673
.LBB62_801:
	v_mov_b32_e32 v3, 5
	v_cmp_lt_i16_sdwa s[14:15], s33, v3 src0_sel:BYTE_0 src1_sel:DWORD
	s_mov_b64 s[6:7], -1
	s_and_b64 vcc, exec, s[14:15]
	s_cbranch_vccnz .LBB62_822
; %bb.802:
	v_mov_b32_e32 v3, 8
	v_cmp_lt_i16_sdwa s[14:15], s33, v3 src0_sel:BYTE_0 src1_sel:DWORD
	s_and_b64 vcc, exec, s[14:15]
	s_cbranch_vccnz .LBB62_812
; %bb.803:
	v_mov_b32_e32 v3, 9
	v_cmp_lt_i16_sdwa s[14:15], s33, v3 src0_sel:BYTE_0 src1_sel:DWORD
	s_and_b64 vcc, exec, s[14:15]
	s_cbranch_vccnz .LBB62_809
; %bb.804:
	v_cmp_gt_i16_sdwa s[14:15], s33, v3 src0_sel:BYTE_0 src1_sel:DWORD
	s_and_b64 vcc, exec, s[14:15]
	s_cbranch_vccz .LBB62_806
; %bb.805:
	v_mov_b32_e32 v4, s8
	v_mov_b32_e32 v5, s9
	;; [unrolled: 1-line block ×4, first 2 shown]
	global_store_dwordx4 v[0:1], v[4:7], off
	s_mov_b64 s[6:7], 0
.LBB62_806:
	s_andn2_b64 vcc, exec, s[6:7]
	s_cbranch_vccnz .LBB62_808
; %bb.807:
	v_cvt_f32_f64_e32 v5, s[10:11]
	v_cvt_f32_f64_e32 v4, s[8:9]
	global_store_dwordx2 v[0:1], v[4:5], off
.LBB62_808:
	s_mov_b64 s[6:7], 0
.LBB62_809:
	s_andn2_b64 vcc, exec, s[6:7]
	s_cbranch_vccnz .LBB62_811
; %bb.810:
	v_cvt_f32_f64_e32 v3, s[8:9]
	v_cvt_f32_f64_e32 v4, s[10:11]
	v_cvt_f16_f32_e32 v3, v3
	v_cvt_f16_f32_sdwa v4, v4 dst_sel:WORD_1 dst_unused:UNUSED_PAD src0_sel:DWORD
	v_or_b32_e32 v3, v4, v3
	global_store_dword v[0:1], v3, off
.LBB62_811:
	s_mov_b64 s[6:7], 0
.LBB62_812:
	s_andn2_b64 vcc, exec, s[6:7]
	s_cbranch_vccnz .LBB62_821
; %bb.813:
	v_mov_b32_e32 v3, 6
	v_cmp_lt_i16_sdwa s[14:15], s33, v3 src0_sel:BYTE_0 src1_sel:DWORD
	s_mov_b64 s[6:7], -1
	s_and_b64 vcc, exec, s[14:15]
	s_cbranch_vccnz .LBB62_819
; %bb.814:
	v_cmp_gt_i16_sdwa s[14:15], s33, v3 src0_sel:BYTE_0 src1_sel:DWORD
	s_and_b64 vcc, exec, s[14:15]
	s_cbranch_vccz .LBB62_816
; %bb.815:
	v_pk_mov_b32 v[4:5], s[8:9], s[8:9] op_sel:[0,1]
	global_store_dwordx2 v[0:1], v[4:5], off
	s_mov_b64 s[6:7], 0
.LBB62_816:
	s_andn2_b64 vcc, exec, s[6:7]
	s_cbranch_vccnz .LBB62_818
; %bb.817:
	v_cvt_f32_f64_e32 v3, s[8:9]
	global_store_dword v[0:1], v3, off
.LBB62_818:
	s_mov_b64 s[6:7], 0
.LBB62_819:
	s_andn2_b64 vcc, exec, s[6:7]
	s_cbranch_vccnz .LBB62_821
; %bb.820:
	v_cvt_f32_f64_e32 v3, s[8:9]
	v_cvt_f16_f32_e32 v3, v3
	global_store_short v[0:1], v3, off
.LBB62_821:
	s_mov_b64 s[6:7], 0
.LBB62_822:
	s_andn2_b64 vcc, exec, s[6:7]
	s_cbranch_vccnz .LBB62_838
; %bb.823:
	v_mov_b32_e32 v3, 2
	v_cmp_lt_i16_sdwa s[14:15], s33, v3 src0_sel:BYTE_0 src1_sel:DWORD
	s_mov_b64 s[6:7], -1
	s_and_b64 vcc, exec, s[14:15]
	s_cbranch_vccnz .LBB62_833
; %bb.824:
	v_mov_b32_e32 v3, 3
	v_cmp_lt_i16_sdwa s[14:15], s33, v3 src0_sel:BYTE_0 src1_sel:DWORD
	s_and_b64 vcc, exec, s[14:15]
	s_cbranch_vccnz .LBB62_830
; %bb.825:
	v_cmp_gt_i16_sdwa s[14:15], s33, v3 src0_sel:BYTE_0 src1_sel:DWORD
	s_and_b64 vcc, exec, s[14:15]
	s_cbranch_vccz .LBB62_827
; %bb.826:
	v_trunc_f64_e32 v[4:5], s[8:9]
	s_movk_i32 s6, 0xffe0
	v_ldexp_f64 v[6:7], v[4:5], s6
	v_floor_f64_e32 v[6:7], v[6:7]
	v_fmac_f64_e32 v[4:5], 0xc1f00000, v[6:7]
	v_cvt_i32_f64_e32 v9, v[6:7]
	v_cvt_u32_f64_e32 v8, v[4:5]
	global_store_dwordx2 v[0:1], v[8:9], off
	s_mov_b64 s[6:7], 0
.LBB62_827:
	s_andn2_b64 vcc, exec, s[6:7]
	s_cbranch_vccnz .LBB62_829
; %bb.828:
	v_cvt_i32_f64_e32 v3, s[8:9]
	global_store_dword v[0:1], v3, off
.LBB62_829:
	s_mov_b64 s[6:7], 0
.LBB62_830:
	s_andn2_b64 vcc, exec, s[6:7]
	s_cbranch_vccnz .LBB62_832
; %bb.831:
	v_cvt_i32_f64_e32 v3, s[8:9]
	global_store_short v[0:1], v3, off
.LBB62_832:
	s_mov_b64 s[6:7], 0
.LBB62_833:
	s_andn2_b64 vcc, exec, s[6:7]
	s_cbranch_vccnz .LBB62_838
; %bb.834:
	v_mov_b32_e32 v3, 0
	v_cmp_gt_i16_sdwa s[14:15], s33, v3 src0_sel:BYTE_0 src1_sel:DWORD
	s_mov_b64 s[6:7], -1
	s_and_b64 vcc, exec, s[14:15]
	s_cbranch_vccz .LBB62_836
; %bb.835:
	v_cvt_i32_f64_e32 v3, s[8:9]
	global_store_byte v[0:1], v3, off
	s_mov_b64 s[6:7], 0
.LBB62_836:
	s_andn2_b64 vcc, exec, s[6:7]
	s_cbranch_vccnz .LBB62_838
; %bb.837:
	v_trunc_f64_e32 v[4:5], s[8:9]
	s_movk_i32 s6, 0xffe0
	v_ldexp_f64 v[6:7], v[4:5], s6
	v_floor_f64_e32 v[6:7], v[6:7]
	v_fmac_f64_e32 v[4:5], 0xc1f00000, v[6:7]
	v_cvt_u32_f64_e32 v3, v[4:5]
	global_store_byte v[0:1], v3, off
.LBB62_838:
	s_branch .LBB62_674
.LBB62_839:
	s_mov_b64 s[6:7], 0
	s_mov_b64 s[12:13], 0
                                        ; implicit-def: $vgpr2
                                        ; implicit-def: $vgpr0_vgpr1
.LBB62_840:
	s_andn2_b64 s[0:1], s[0:1], exec
	s_and_b64 s[4:5], s[4:5], exec
	s_and_b64 s[14:15], s[6:7], exec
	;; [unrolled: 1-line block ×3, first 2 shown]
	s_or_b64 s[0:1], s[0:1], s[4:5]
	s_or_b64 exec, exec, s[2:3]
	s_and_saveexec_b64 s[2:3], s[0:1]
	s_cbranch_execnz .LBB62_413
.LBB62_841:
	s_or_b64 exec, exec, s[2:3]
	s_and_saveexec_b64 s[0:1], s[6:7]
	s_xor_b64 s[0:1], exec, s[0:1]
	s_cbranch_execz .LBB62_414
.LBB62_842:
	v_cmp_neq_f64_e64 s[2:3], s[8:9], 0
	v_cmp_neq_f64_e64 s[4:5], s[10:11], 0
	s_or_b64 s[2:3], s[2:3], s[4:5]
	v_cndmask_b32_e64 v3, 0, 1, s[2:3]
	global_store_byte v[0:1], v3, off
	s_or_b64 exec, exec, s[0:1]
	s_and_saveexec_b64 s[0:1], s[14:15]
	s_cbranch_execz .LBB62_880
.LBB62_843:
	v_cmp_gt_i16_e32 vcc, 5, v2
	s_mov_b64 s[0:1], -1
	s_cbranch_vccnz .LBB62_864
; %bb.844:
	v_cmp_gt_i16_e32 vcc, 8, v2
	s_cbranch_vccnz .LBB62_854
; %bb.845:
	v_cmp_gt_i16_e32 vcc, 9, v2
	s_cbranch_vccnz .LBB62_851
; %bb.846:
	v_cmp_lt_i16_e32 vcc, 9, v2
	s_cbranch_vccz .LBB62_848
; %bb.847:
	v_mov_b32_e32 v4, s8
	v_mov_b32_e32 v5, s9
	;; [unrolled: 1-line block ×4, first 2 shown]
	global_store_dwordx4 v[0:1], v[4:7], off
	s_mov_b64 s[0:1], 0
.LBB62_848:
	s_andn2_b64 vcc, exec, s[0:1]
	s_cbranch_vccnz .LBB62_850
; %bb.849:
	v_cvt_f32_f64_e32 v5, s[10:11]
	v_cvt_f32_f64_e32 v4, s[8:9]
	global_store_dwordx2 v[0:1], v[4:5], off
.LBB62_850:
	s_mov_b64 s[0:1], 0
.LBB62_851:
	s_andn2_b64 vcc, exec, s[0:1]
	s_cbranch_vccnz .LBB62_853
; %bb.852:
	v_cvt_f32_f64_e32 v3, s[8:9]
	v_cvt_f32_f64_e32 v4, s[10:11]
	v_cvt_f16_f32_e32 v3, v3
	v_cvt_f16_f32_sdwa v4, v4 dst_sel:WORD_1 dst_unused:UNUSED_PAD src0_sel:DWORD
	v_or_b32_e32 v3, v4, v3
	global_store_dword v[0:1], v3, off
.LBB62_853:
	s_mov_b64 s[0:1], 0
.LBB62_854:
	s_andn2_b64 vcc, exec, s[0:1]
	s_cbranch_vccnz .LBB62_863
; %bb.855:
	v_cmp_gt_i16_e32 vcc, 6, v2
	s_mov_b64 s[0:1], -1
	s_cbranch_vccnz .LBB62_861
; %bb.856:
	v_cmp_lt_i16_e32 vcc, 6, v2
	s_cbranch_vccz .LBB62_858
; %bb.857:
	v_pk_mov_b32 v[4:5], s[8:9], s[8:9] op_sel:[0,1]
	global_store_dwordx2 v[0:1], v[4:5], off
	s_mov_b64 s[0:1], 0
.LBB62_858:
	s_andn2_b64 vcc, exec, s[0:1]
	s_cbranch_vccnz .LBB62_860
; %bb.859:
	v_cvt_f32_f64_e32 v3, s[8:9]
	global_store_dword v[0:1], v3, off
.LBB62_860:
	s_mov_b64 s[0:1], 0
.LBB62_861:
	s_andn2_b64 vcc, exec, s[0:1]
	s_cbranch_vccnz .LBB62_863
; %bb.862:
	v_cvt_f32_f64_e32 v3, s[8:9]
	v_cvt_f16_f32_e32 v3, v3
	global_store_short v[0:1], v3, off
.LBB62_863:
	s_mov_b64 s[0:1], 0
.LBB62_864:
	s_andn2_b64 vcc, exec, s[0:1]
	s_cbranch_vccnz .LBB62_880
; %bb.865:
	v_cmp_gt_i16_e32 vcc, 2, v2
	s_mov_b64 s[0:1], -1
	s_cbranch_vccnz .LBB62_875
; %bb.866:
	v_cmp_gt_i16_e32 vcc, 3, v2
	s_cbranch_vccnz .LBB62_872
; %bb.867:
	v_cmp_lt_i16_e32 vcc, 3, v2
	s_cbranch_vccz .LBB62_869
; %bb.868:
	v_trunc_f64_e32 v[4:5], s[8:9]
	s_movk_i32 s0, 0xffe0
	v_ldexp_f64 v[6:7], v[4:5], s0
	v_floor_f64_e32 v[6:7], v[6:7]
	v_fmac_f64_e32 v[4:5], 0xc1f00000, v[6:7]
	v_cvt_i32_f64_e32 v9, v[6:7]
	v_cvt_u32_f64_e32 v8, v[4:5]
	global_store_dwordx2 v[0:1], v[8:9], off
	s_mov_b64 s[0:1], 0
.LBB62_869:
	s_andn2_b64 vcc, exec, s[0:1]
	s_cbranch_vccnz .LBB62_871
; %bb.870:
	v_cvt_i32_f64_e32 v3, s[8:9]
	global_store_dword v[0:1], v3, off
.LBB62_871:
	s_mov_b64 s[0:1], 0
.LBB62_872:
	s_andn2_b64 vcc, exec, s[0:1]
	s_cbranch_vccnz .LBB62_874
; %bb.873:
	v_cvt_i32_f64_e32 v3, s[8:9]
	global_store_short v[0:1], v3, off
.LBB62_874:
	s_mov_b64 s[0:1], 0
.LBB62_875:
	s_andn2_b64 vcc, exec, s[0:1]
	s_cbranch_vccnz .LBB62_880
; %bb.876:
	v_cmp_lt_i16_e32 vcc, 0, v2
	s_mov_b64 s[0:1], -1
	s_cbranch_vccz .LBB62_878
; %bb.877:
	v_cvt_i32_f64_e32 v2, s[8:9]
	global_store_byte v[0:1], v2, off
	s_mov_b64 s[0:1], 0
.LBB62_878:
	s_andn2_b64 vcc, exec, s[0:1]
	s_cbranch_vccnz .LBB62_880
; %bb.879:
	v_trunc_f64_e32 v[2:3], s[8:9]
	s_movk_i32 s0, 0xffe0
	v_ldexp_f64 v[4:5], v[2:3], s0
	v_floor_f64_e32 v[4:5], v[4:5]
	v_fmac_f64_e32 v[2:3], 0xc1f00000, v[4:5]
	v_cvt_u32_f64_e32 v2, v[2:3]
	global_store_byte v[0:1], v2, off
	s_endpgm
.LBB62_880:
	s_endpgm
.LBB62_881:
	s_trap 2
	s_or_b64 s[4:5], s[4:5], exec
	s_cbranch_execz .LBB62_799
	s_branch .LBB62_800
.LBB62_882:
	s_mov_b64 s[14:15], -1
	s_mov_b64 s[12:13], 0
                                        ; implicit-def: $sgpr17
.LBB62_883:
	s_andn2_b64 vcc, exec, s[14:15]
	v_mov_b32_e32 v3, s17
                                        ; implicit-def: $sgpr14
	s_cbranch_vccnz .LBB62_885
; %bb.884:
	v_mov_b32_e32 v3, 0x42800000
	v_add_f32_e64 v3, |s16|, v3
	v_and_b32_e32 v3, 0xff, v3
	s_mov_b32 s14, 0
	v_cmp_ne_u32_e64 s[12:13], 0, v3
.LBB62_885:
	s_andn2_b64 vcc, exec, s[12:13]
	v_mov_b32_e32 v4, s14
	s_cbranch_vccnz .LBB62_887
; %bb.886:
	s_lshr_b32 s12, s16, 24
	s_and_b32 s12, s12, 0x80
	v_or_b32_e32 v4, s12, v3
.LBB62_887:
	s_mov_b64 s[12:13], 0
	global_store_byte v[0:1], v4, off
.LBB62_888:
	s_and_b64 vcc, exec, s[12:13]
	s_cbranch_vccz .LBB62_900
; %bb.889:
	v_cvt_f32_f64_e32 v3, s[8:9]
	v_readfirstlane_b32 s14, v3
	s_and_b32 s15, s14, 0x7fffffff
	s_cmp_lt_u32 s15, 0x43f00000
	s_cbranch_scc0 .LBB62_892
; %bb.890:
	s_cmp_gt_u32 s15, 0x3c7fffff
	s_cbranch_scc0 .LBB62_893
; %bb.891:
	s_bfe_u32 s12, s14, 0x10014
	s_add_i32 s12, s14, s12
	s_add_i32 s12, s12, 0x407ffff
	s_lshr_b32 s13, s12, 20
	s_and_b32 s12, s12, 0xff00000
	s_cmp_lg_u32 s12, 0x7f00000
	s_cselect_b32 s16, s13, 0x7e
	s_mov_b64 s[12:13], 0
	s_branch .LBB62_894
.LBB62_892:
	s_mov_b64 s[12:13], -1
                                        ; implicit-def: $vgpr4
	s_branch .LBB62_897
.LBB62_893:
	s_mov_b64 s[12:13], -1
                                        ; implicit-def: $sgpr16
.LBB62_894:
	s_andn2_b64 vcc, exec, s[12:13]
	v_mov_b32_e32 v4, s16
	s_cbranch_vccnz .LBB62_896
; %bb.895:
	s_mov_b32 s12, 0x46800000
	v_add_f32_e64 v4, |v3|, s12
.LBB62_896:
	s_mov_b64 s[12:13], 0
.LBB62_897:
	s_andn2_b64 vcc, exec, s[12:13]
	s_cbranch_vccnz .LBB62_899
; %bb.898:
	s_cmp_gt_u32 s15, 0x7f800000
	s_movk_i32 s12, 0x7f
	s_cselect_b32 s12, s12, 0x7e
	v_mov_b32_e32 v4, s12
.LBB62_899:
	s_lshr_b32 s12, s14, 24
	s_and_b32 s12, s12, 0x80
	v_or_b32_e32 v3, s12, v4
	global_store_byte v[0:1], v3, off
.LBB62_900:
	s_mov_b64 s[12:13], 0
.LBB62_901:
	s_andn2_b64 vcc, exec, s[12:13]
	s_cbranch_vccnz .LBB62_913
; %bb.902:
	v_cvt_f32_f64_e32 v3, s[8:9]
	v_readfirstlane_b32 s14, v3
	s_and_b32 s15, s14, 0x7fffffff
	s_cmp_lt_u32 s15, 0x47800000
	s_cbranch_scc0 .LBB62_905
; %bb.903:
	s_cmp_gt_u32 s15, 0x387fffff
	s_cbranch_scc0 .LBB62_906
; %bb.904:
	s_bfe_u32 s12, s14, 0x10015
	s_add_i32 s12, s14, s12
	s_add_i32 s12, s12, 0x80fffff
	s_lshr_b32 s16, s12, 21
	s_mov_b64 s[12:13], 0
	s_branch .LBB62_907
.LBB62_905:
	s_mov_b64 s[12:13], -1
                                        ; implicit-def: $vgpr4
	s_branch .LBB62_910
.LBB62_906:
	s_mov_b64 s[12:13], -1
                                        ; implicit-def: $sgpr16
.LBB62_907:
	s_andn2_b64 vcc, exec, s[12:13]
	v_mov_b32_e32 v4, s16
	s_cbranch_vccnz .LBB62_909
; %bb.908:
	s_mov_b32 s12, 0x43000000
	v_add_f32_e64 v4, |v3|, s12
.LBB62_909:
	s_mov_b64 s[12:13], 0
.LBB62_910:
	s_andn2_b64 vcc, exec, s[12:13]
	s_cbranch_vccnz .LBB62_912
; %bb.911:
	s_cmp_gt_u32 s15, 0x7f800000
	s_movk_i32 s12, 0x7f
	s_cselect_b32 s12, s12, 0x7c
	v_mov_b32_e32 v4, s12
.LBB62_912:
	s_lshr_b32 s12, s14, 24
	s_and_b32 s12, s12, 0x80
	v_or_b32_e32 v3, s12, v4
	global_store_byte v[0:1], v3, off
.LBB62_913:
	s_mov_b64 s[12:13], 0
.LBB62_914:
	s_andn2_b64 vcc, exec, s[12:13]
	s_mov_b64 s[12:13], 0
	s_cbranch_vccnz .LBB62_921
; %bb.915:
	v_cmp_lt_i16_e32 vcc, 14, v2
	s_mov_b64 s[14:15], -1
	s_cbranch_vccz .LBB62_919
; %bb.916:
	v_cmp_eq_u16_e32 vcc, 15, v2
	s_mov_b64 s[6:7], -1
	s_cbranch_vccz .LBB62_918
; %bb.917:
	v_cvt_f32_f64_e32 v3, s[8:9]
	v_bfe_u32 v4, v3, 16, 1
	v_add_u32_e32 v4, v3, v4
	v_add_u32_e32 v4, 0x7fff, v4
	v_lshrrev_b32_e32 v4, 16, v4
	v_mov_b32_e32 v5, 0x7fc0
	v_cmp_o_f32_e32 vcc, v3, v3
	v_cndmask_b32_e32 v3, v5, v4, vcc
	global_store_short v[0:1], v3, off
	s_mov_b64 s[6:7], 0
.LBB62_918:
	s_mov_b64 s[14:15], 0
.LBB62_919:
	s_and_b64 vcc, exec, s[14:15]
	s_cbranch_vccz .LBB62_921
; %bb.920:
	v_cmp_ne_u16_e64 s[6:7], 11, v2
	s_mov_b64 s[12:13], -1
.LBB62_921:
	s_and_b64 vcc, exec, s[6:7]
	s_cbranch_vccnz .LBB62_923
.LBB62_922:
	s_mov_b64 s[6:7], 0
	s_branch .LBB62_840
.LBB62_923:
	s_mov_b64 s[12:13], 0
	s_or_b64 s[4:5], s[4:5], exec
	s_trap 2
	s_branch .LBB62_922
	.section	.rodata,"a",@progbits
	.p2align	6, 0x0
	.amdhsa_kernel _ZN2at6native32elementwise_kernel_manual_unrollILi128ELi4EZNS0_15gpu_kernel_implINS0_11FillFunctorIN3c107complexIdEEEEEEvRNS_18TensorIteratorBaseERKT_EUlibE_EEviT1_
		.amdhsa_group_segment_fixed_size 0
		.amdhsa_private_segment_fixed_size 0
		.amdhsa_kernarg_size 64
		.amdhsa_user_sgpr_count 6
		.amdhsa_user_sgpr_private_segment_buffer 1
		.amdhsa_user_sgpr_dispatch_ptr 0
		.amdhsa_user_sgpr_queue_ptr 0
		.amdhsa_user_sgpr_kernarg_segment_ptr 1
		.amdhsa_user_sgpr_dispatch_id 0
		.amdhsa_user_sgpr_flat_scratch_init 0
		.amdhsa_user_sgpr_kernarg_preload_length 0
		.amdhsa_user_sgpr_kernarg_preload_offset 0
		.amdhsa_user_sgpr_private_segment_size 0
		.amdhsa_uses_dynamic_stack 0
		.amdhsa_system_sgpr_private_segment_wavefront_offset 0
		.amdhsa_system_sgpr_workgroup_id_x 1
		.amdhsa_system_sgpr_workgroup_id_y 0
		.amdhsa_system_sgpr_workgroup_id_z 0
		.amdhsa_system_sgpr_workgroup_info 0
		.amdhsa_system_vgpr_workitem_id 0
		.amdhsa_next_free_vgpr 24
		.amdhsa_next_free_sgpr 63
		.amdhsa_accum_offset 24
		.amdhsa_reserve_vcc 1
		.amdhsa_reserve_flat_scratch 0
		.amdhsa_float_round_mode_32 0
		.amdhsa_float_round_mode_16_64 0
		.amdhsa_float_denorm_mode_32 3
		.amdhsa_float_denorm_mode_16_64 3
		.amdhsa_dx10_clamp 1
		.amdhsa_ieee_mode 1
		.amdhsa_fp16_overflow 0
		.amdhsa_tg_split 0
		.amdhsa_exception_fp_ieee_invalid_op 0
		.amdhsa_exception_fp_denorm_src 0
		.amdhsa_exception_fp_ieee_div_zero 0
		.amdhsa_exception_fp_ieee_overflow 0
		.amdhsa_exception_fp_ieee_underflow 0
		.amdhsa_exception_fp_ieee_inexact 0
		.amdhsa_exception_int_div_zero 0
	.end_amdhsa_kernel
	.section	.text._ZN2at6native32elementwise_kernel_manual_unrollILi128ELi4EZNS0_15gpu_kernel_implINS0_11FillFunctorIN3c107complexIdEEEEEEvRNS_18TensorIteratorBaseERKT_EUlibE_EEviT1_,"axG",@progbits,_ZN2at6native32elementwise_kernel_manual_unrollILi128ELi4EZNS0_15gpu_kernel_implINS0_11FillFunctorIN3c107complexIdEEEEEEvRNS_18TensorIteratorBaseERKT_EUlibE_EEviT1_,comdat
.Lfunc_end62:
	.size	_ZN2at6native32elementwise_kernel_manual_unrollILi128ELi4EZNS0_15gpu_kernel_implINS0_11FillFunctorIN3c107complexIdEEEEEEvRNS_18TensorIteratorBaseERKT_EUlibE_EEviT1_, .Lfunc_end62-_ZN2at6native32elementwise_kernel_manual_unrollILi128ELi4EZNS0_15gpu_kernel_implINS0_11FillFunctorIN3c107complexIdEEEEEEvRNS_18TensorIteratorBaseERKT_EUlibE_EEviT1_
                                        ; -- End function
	.section	.AMDGPU.csdata,"",@progbits
; Kernel info:
; codeLenInByte = 14800
; NumSgprs: 67
; NumVgprs: 24
; NumAgprs: 0
; TotalNumVgprs: 24
; ScratchSize: 0
; MemoryBound: 0
; FloatMode: 240
; IeeeMode: 1
; LDSByteSize: 0 bytes/workgroup (compile time only)
; SGPRBlocks: 8
; VGPRBlocks: 2
; NumSGPRsForWavesPerEU: 67
; NumVGPRsForWavesPerEU: 24
; AccumOffset: 24
; Occupancy: 8
; WaveLimiterHint : 0
; COMPUTE_PGM_RSRC2:SCRATCH_EN: 0
; COMPUTE_PGM_RSRC2:USER_SGPR: 6
; COMPUTE_PGM_RSRC2:TRAP_HANDLER: 0
; COMPUTE_PGM_RSRC2:TGID_X_EN: 1
; COMPUTE_PGM_RSRC2:TGID_Y_EN: 0
; COMPUTE_PGM_RSRC2:TGID_Z_EN: 0
; COMPUTE_PGM_RSRC2:TIDIG_COMP_CNT: 0
; COMPUTE_PGM_RSRC3_GFX90A:ACCUM_OFFSET: 5
; COMPUTE_PGM_RSRC3_GFX90A:TG_SPLIT: 0
	.section	.text._ZN2at6native32elementwise_kernel_manual_unrollILi128ELi4EZNS0_15gpu_kernel_implINS0_11FillFunctorIN3c107complexIdEEEEEEvRNS_18TensorIteratorBaseERKT_EUlibE0_EEviT1_,"axG",@progbits,_ZN2at6native32elementwise_kernel_manual_unrollILi128ELi4EZNS0_15gpu_kernel_implINS0_11FillFunctorIN3c107complexIdEEEEEEvRNS_18TensorIteratorBaseERKT_EUlibE0_EEviT1_,comdat
	.protected	_ZN2at6native32elementwise_kernel_manual_unrollILi128ELi4EZNS0_15gpu_kernel_implINS0_11FillFunctorIN3c107complexIdEEEEEEvRNS_18TensorIteratorBaseERKT_EUlibE0_EEviT1_ ; -- Begin function _ZN2at6native32elementwise_kernel_manual_unrollILi128ELi4EZNS0_15gpu_kernel_implINS0_11FillFunctorIN3c107complexIdEEEEEEvRNS_18TensorIteratorBaseERKT_EUlibE0_EEviT1_
	.globl	_ZN2at6native32elementwise_kernel_manual_unrollILi128ELi4EZNS0_15gpu_kernel_implINS0_11FillFunctorIN3c107complexIdEEEEEEvRNS_18TensorIteratorBaseERKT_EUlibE0_EEviT1_
	.p2align	8
	.type	_ZN2at6native32elementwise_kernel_manual_unrollILi128ELi4EZNS0_15gpu_kernel_implINS0_11FillFunctorIN3c107complexIdEEEEEEvRNS_18TensorIteratorBaseERKT_EUlibE0_EEviT1_,@function
_ZN2at6native32elementwise_kernel_manual_unrollILi128ELi4EZNS0_15gpu_kernel_implINS0_11FillFunctorIN3c107complexIdEEEEEEvRNS_18TensorIteratorBaseERKT_EUlibE0_EEviT1_: ; @_ZN2at6native32elementwise_kernel_manual_unrollILi128ELi4EZNS0_15gpu_kernel_implINS0_11FillFunctorIN3c107complexIdEEEEEEvRNS_18TensorIteratorBaseERKT_EUlibE0_EEviT1_
; %bb.0:
	s_load_dword s92, s[4:5], 0x0
	s_load_dword s33, s[4:5], 0x10
	s_add_u32 s34, s4, 16
	s_addc_u32 s35, s5, 0
	v_lshl_or_b32 v9, s6, 9, v0
	v_or_b32_e32 v8, 0x180, v9
	s_waitcnt lgkmcnt(0)
	s_add_i32 s82, s33, -1
	s_cmp_gt_u32 s82, 1
	v_cmp_le_i32_e32 vcc, s92, v8
	s_cselect_b64 s[38:39], -1, 0
	s_mov_b64 s[36:37], 0
	s_mov_b64 s[20:21], 0
	s_and_saveexec_b64 s[0:1], vcc
	s_xor_b64 s[6:7], exec, s[0:1]
	s_cbranch_execz .LBB63_462
; %bb.1:
	s_load_dwordx4 s[20:23], s[34:35], 0x4
	s_load_dwordx2 s[60:61], s[34:35], 0x14
	s_load_dwordx2 s[58:59], s[34:35], 0xc4
	s_load_dwordx4 s[16:19], s[34:35], 0x108
	s_movk_i32 s0, 0xffe0
	s_cmp_lg_u32 s33, 0
	s_cselect_b64 s[66:67], -1, 0
	s_add_u32 s64, s34, 0xc4
	s_waitcnt lgkmcnt(0)
	v_trunc_f64_e32 v[2:3], s[18:19]
	v_ldexp_f64 v[0:1], v[2:3], s0
	v_floor_f64_e32 v[4:5], v[0:1]
	v_fmac_f64_e32 v[2:3], 0xc1f00000, v[4:5]
	v_cvt_u32_f64_e32 v0, v[2:3]
	v_cvt_f32_f64_e32 v2, s[18:19]
	v_and_b32_e32 v8, 0x400000, v2
	v_bfe_u32 v7, v2, 23, 8
	s_movk_i32 s0, 0xff
	v_cmp_ne_u32_e32 vcc, 0, v8
	v_and_b32_e32 v8, 0x3fffff, v2
	s_addc_u32 s65, s35, 0
	s_min_u32 s93, s82, 15
	v_cmp_eq_u32_e64 s[4:5], s0, v7
	v_or_b32_e32 v7, v7, v8
	s_cmp_gt_u32 s33, 1
	v_cmp_ne_u32_e64 s[0:1], 0, v7
	v_readfirstlane_b32 s8, v2
	s_cselect_b64 s[62:63], -1, 0
	s_and_b64 s[0:1], vcc, s[0:1]
	s_and_b32 s9, s8, 0x7fffffff
	s_cmp_lt_u32 s9, 0x43800000
	s_cselect_b64 s[54:55], -1, 0
	s_cmp_gt_u32 s9, 0x3bffffff
	v_cndmask_b32_e64 v7, 0, 1, s[0:1]
	s_cselect_b64 s[2:3], -1, 0
	s_bfe_u32 s0, s8, 0x10014
	s_add_i32 s10, s8, s0
	s_add_i32 s0, s10, 0x487ffff
	s_lshr_b32 s90, s0, 20
	s_mov_b32 s0, 0x46000000
	v_add_f32_e64 v16, |v2|, s0
	v_readfirstlane_b32 s0, v16
	s_and_b32 s0, s0, 0xff
	s_cmp_lg_u32 s0, 0
	s_cselect_b64 s[56:57], -1, 0
	s_cmp_gt_u32 s9, 0x477fffff
	s_cselect_b64 s[42:43], -1, 0
	s_cmp_lt_u32 s9, 0x47800000
	s_movk_i32 s0, 0x80
	s_cselect_b64 s[50:51], -1, 0
	s_cmp_gt_u32 s9, 0x37ffffff
	v_and_b32_sdwa v13, v2, s0 dst_sel:DWORD dst_unused:UNUSED_PAD src0_sel:BYTE_3 src1_sel:DWORD
	s_cselect_b64 s[0:1], -1, 0
	s_bfe_u32 s11, s8, 0x10015
	s_add_i32 s8, s8, s11
	s_add_i32 s11, s8, 0x88fffff
	s_lshr_b32 s88, s11, 21
	s_mov_b32 s11, 0x42800000
	v_add_f32_e64 v15, |v2|, s11
	v_readfirstlane_b32 s11, v15
	s_and_b32 s11, s11, 0xff
	s_cmp_lg_u32 s11, 0
	s_cselect_b64 s[52:53], -1, 0
	s_cmp_gt_u32 s9, 0x43efffff
	s_cselect_b64 s[46:47], -1, 0
	s_cmp_lt_u32 s9, 0x3c800000
	s_cselect_b64 s[48:49], -1, 0
	s_add_i32 s10, s10, 0x407ffff
	s_lshr_b32 s11, s10, 20
	s_and_b32 s10, s10, 0xff00000
	s_cmp_lg_u32 s10, 0x7f00000
	s_cselect_b32 s86, s11, 0x7e
	s_cmp_lt_u32 s9, 0x38800000
	s_cselect_b64 s[44:45], -1, 0
	s_add_i32 s8, s8, 0x80fffff
	s_lshr_b32 s83, s8, 21
	v_lshrrev_b32_e32 v6, 23, v2
	s_mov_b32 s10, 0x46800000
	s_cmp_gt_u32 s9, 0x7f800000
	s_movk_i32 s8, 0x7f
	v_add_u32_e32 v18, v6, v7
	v_add_f32_e64 v6, |v2|, s10
	s_cselect_b32 s89, s8, 0x7e
	s_mov_b32 s8, 0x43000000
	s_load_dwordx2 s[40:41], s[34:35], 0x118
	s_load_dword s91, s[34:35], 0x120
	v_readfirstlane_b32 s87, v6
	v_add_f32_e64 v6, |v2|, s8
	v_readfirstlane_b32 s84, v6
	v_bfe_u32 v6, v2, 16, 1
	v_add_u32_e32 v6, v2, v6
	v_add_u32_e32 v6, 0x7fff, v6
	s_waitcnt lgkmcnt(0)
	v_cvt_f32_f64_e32 v3, s[40:41]
	v_lshrrev_b32_e32 v6, 16, v6
	v_mov_b32_e32 v7, 0x7fc0
	v_cmp_o_f32_e32 vcc, v2, v2
	v_cndmask_b32_e32 v14, v7, v6, vcc
	v_bfe_u32 v6, v3, 16, 1
	v_add_u32_e32 v6, v3, v6
	v_cvt_f16_f32_e32 v10, v2
	v_cvt_f16_f32_sdwa v8, v3 dst_sel:WORD_1 dst_unused:UNUSED_PAD src0_sel:DWORD
	s_movk_i32 s8, 0x7c
	v_add_u32_e32 v6, 0x7fff, v6
	s_cselect_b32 s85, 0x7f, s8
	v_cmp_neq_f64_e64 s[8:9], s[18:19], 0
	v_cmp_neq_f64_e64 s[10:11], s[40:41], 0
	v_and_b32_e32 v6, 0xffff0000, v6
	v_mov_b32_e32 v7, 0x7fc00000
	v_cmp_o_f32_e32 vcc, v3, v3
	s_or_b64 s[8:9], s[8:9], s[10:11]
	v_cndmask_b32_e32 v6, v7, v6, vcc
	v_cvt_u32_f64_e32 v1, v[4:5]
	v_cvt_u32_f64_e32 v17, s[18:19]
	s_mov_b64 s[74:75], 0
	v_cndmask_b32_e64 v12, 0, 1, s[8:9]
	v_or_b32_e32 v19, v6, v14
	v_or_b32_e32 v11, v8, v10
	v_cvt_i32_f64_e32 v5, v[4:5]
	v_mov_b32_e32 v4, v0
	v_cvt_i32_f64_e32 v8, s[18:19]
	v_cmp_gt_i32_e32 vcc, s92, v9
	s_mov_b64 s[10:11], -1
	s_mov_b64 s[68:69], 0
	s_and_saveexec_b64 s[70:71], vcc
	s_cbranch_execz .LBB63_114
; %bb.2:
	s_andn2_b64 vcc, exec, s[38:39]
	s_cbranch_vccnz .LBB63_7
; %bb.3:
	s_andn2_b64 vcc, exec, s[66:67]
	s_cbranch_vccnz .LBB63_8
; %bb.4:
	s_add_i32 s77, s93, 1
	s_mov_b32 s76, 0
	s_cmp_eq_u32 s82, 2
	v_mov_b32_e32 v6, 0
	s_cbranch_scc1 .LBB63_9
; %bb.5:
	s_and_b32 s76, s77, 28
	s_mov_b32 s78, 0
	v_mov_b32_e32 v6, 0
	s_mov_b64 s[68:69], s[34:35]
	s_mov_b64 s[72:73], s[64:65]
	v_mov_b32_e32 v20, v9
.LBB63_6:                               ; =>This Inner Loop Header: Depth=1
	s_load_dwordx8 s[8:15], s[68:69], 0x4
	s_load_dwordx4 s[24:27], s[68:69], 0x24
	s_load_dwordx4 s[28:31], s[72:73], 0x0
	s_add_u32 s68, s68, 48
	s_addc_u32 s69, s69, 0
	s_waitcnt lgkmcnt(0)
	v_mul_hi_u32 v7, s9, v20
	v_add_u32_e32 v7, v20, v7
	v_lshrrev_b32_e32 v7, s10, v7
	v_mul_lo_u32 v21, v7, s8
	v_mul_hi_u32 v22, s12, v7
	v_sub_u32_e32 v20, v20, v21
	v_add_u32_e32 v21, v7, v22
	v_lshrrev_b32_e32 v21, s13, v21
	v_mul_lo_u32 v22, v21, s11
	v_mul_hi_u32 v23, s15, v21
	v_sub_u32_e32 v7, v7, v22
	v_add_u32_e32 v22, v21, v23
	v_mul_lo_u32 v20, v20, s28
	v_mul_lo_u32 v7, v7, s29
	v_lshrrev_b32_e32 v22, s24, v22
	v_add3_u32 v6, v20, v6, v7
	v_mul_hi_u32 v20, s26, v22
	v_add_u32_e32 v20, v22, v20
	v_mul_lo_u32 v7, v22, s14
	v_lshrrev_b32_e32 v20, s27, v20
	s_add_i32 s78, s78, 4
	v_sub_u32_e32 v7, v21, v7
	v_mul_lo_u32 v21, v20, s25
	s_add_u32 s72, s72, 16
	v_sub_u32_e32 v21, v22, v21
	s_addc_u32 s73, s73, 0
	v_mul_lo_u32 v7, v7, s30
	v_mul_lo_u32 v21, v21, s31
	s_cmp_lg_u32 s76, s78
	v_add3_u32 v6, v7, v6, v21
	s_cbranch_scc1 .LBB63_6
	s_branch .LBB63_10
.LBB63_7:
                                        ; implicit-def: $vgpr6
	s_branch .LBB63_14
.LBB63_8:
	v_mov_b32_e32 v6, 0
	s_branch .LBB63_13
.LBB63_9:
	v_mov_b32_e32 v20, v9
.LBB63_10:
	s_and_b32 s12, s77, 3
	s_cmp_eq_u32 s12, 0
	s_cbranch_scc1 .LBB63_13
; %bb.11:
	s_lshl_b32 s8, s76, 2
	s_add_u32 s8, s8, s34
	s_addc_u32 s9, s35, 0
	s_add_u32 s8, s8, 0xc4
	s_addc_u32 s9, s9, 0
	s_mul_i32 s10, s76, 12
	s_add_u32 s10, s34, s10
	s_addc_u32 s11, s35, 0
.LBB63_12:                              ; =>This Inner Loop Header: Depth=1
	s_load_dwordx2 s[14:15], s[10:11], 0x4
	s_load_dword s13, s[10:11], 0xc
	s_load_dword s24, s[8:9], 0x0
	s_add_u32 s10, s10, 12
	s_addc_u32 s11, s11, 0
	s_waitcnt lgkmcnt(0)
	v_mul_hi_u32 v7, s15, v20
	v_add_u32_e32 v7, v20, v7
	v_lshrrev_b32_e32 v7, s13, v7
	s_add_u32 s8, s8, 4
	v_mul_lo_u32 v21, v7, s14
	s_addc_u32 s9, s9, 0
	s_add_i32 s12, s12, -1
	v_sub_u32_e32 v21, v20, v21
	s_cmp_lg_u32 s12, 0
	v_mov_b32_e32 v20, v7
	v_mad_u64_u32 v[6:7], s[14:15], v21, s24, v[6:7]
	s_cbranch_scc1 .LBB63_12
.LBB63_13:
	s_cbranch_execnz .LBB63_16
.LBB63_14:
	v_mul_hi_u32 v6, s21, v9
	v_add_u32_e32 v6, v9, v6
	v_lshrrev_b32_e32 v7, s22, v6
	v_mul_lo_u32 v6, v7, s20
	v_sub_u32_e32 v6, v9, v6
	s_andn2_b64 vcc, exec, s[62:63]
	v_mul_lo_u32 v6, v6, s58
	s_cbranch_vccnz .LBB63_16
; %bb.15:
	v_mul_hi_u32 v20, s60, v7
	v_add_u32_e32 v20, v7, v20
	v_lshrrev_b32_e32 v20, s61, v20
	v_mul_lo_u32 v20, v20, s23
	v_sub_u32_e32 v7, v7, v20
	v_mad_u64_u32 v[6:7], s[8:9], v7, s59, v[6:7]
.LBB63_16:
	v_mov_b32_e32 v7, s17
	v_add_co_u32_e32 v6, vcc, s16, v6
	v_mov_b32_e32 v20, 11
	v_addc_co_u32_e32 v7, vcc, 0, v7, vcc
	v_cmp_lt_i16_sdwa s[8:9], s91, v20 src0_sel:BYTE_0 src1_sel:DWORD
	s_and_b64 vcc, exec, s[8:9]
	s_cbranch_vccnz .LBB63_23
; %bb.17:
	v_mov_b32_e32 v20, 25
	v_cmp_gt_i16_sdwa s[8:9], s91, v20 src0_sel:BYTE_0 src1_sel:DWORD
	s_and_b64 vcc, exec, s[8:9]
	s_cbranch_vccz .LBB63_26
; %bb.18:
	v_mov_b32_e32 v20, 28
	v_cmp_gt_i16_sdwa s[8:9], s91, v20 src0_sel:BYTE_0 src1_sel:DWORD
	s_and_b64 vcc, exec, s[8:9]
	s_cbranch_vccz .LBB63_27
	;; [unrolled: 5-line block ×4, first 2 shown]
; %bb.21:
	v_mov_b32_e32 v20, 46
	v_cmp_eq_u16_sdwa s[10:11], s91, v20 src0_sel:BYTE_0 src1_sel:DWORD
	s_mov_b64 s[12:13], 0
	s_mov_b64 s[8:9], -1
	s_and_b64 vcc, exec, s[10:11]
	s_mov_b64 s[10:11], 0
	s_cbranch_vccz .LBB63_30
; %bb.22:
	global_store_dword v[6:7], v19, off
	s_mov_b64 s[10:11], -1
	s_mov_b64 s[8:9], 0
	s_branch .LBB63_30
.LBB63_23:
	s_mov_b64 s[8:9], 0
	s_mov_b64 s[10:11], 0
	s_cbranch_execnz .LBB63_74
.LBB63_24:
	s_andn2_b64 vcc, exec, s[10:11]
	s_cbranch_vccnz .LBB63_112
.LBB63_25:
	v_add_u32_e32 v9, 0x80, v9
	s_mov_b64 s[10:11], -1
	s_branch .LBB63_113
.LBB63_26:
	s_mov_b64 s[8:9], 0
	s_mov_b64 s[10:11], 0
	s_cbranch_execnz .LBB63_52
	s_branch .LBB63_73
.LBB63_27:
	s_mov_b64 s[12:13], -1
	s_mov_b64 s[8:9], 0
	s_mov_b64 s[10:11], 0
	s_branch .LBB63_38
.LBB63_28:
	s_mov_b64 s[12:13], -1
	s_mov_b64 s[8:9], 0
	s_mov_b64 s[10:11], 0
	s_branch .LBB63_34
.LBB63_29:
	s_mov_b64 s[12:13], -1
	s_mov_b64 s[8:9], 0
	s_mov_b64 s[10:11], 0
.LBB63_30:
	s_and_b64 vcc, exec, s[12:13]
	s_cbranch_vccz .LBB63_33
; %bb.31:
	v_mov_b32_e32 v20, 44
	v_cmp_eq_u16_sdwa s[12:13], s91, v20 src0_sel:BYTE_0 src1_sel:DWORD
	s_mov_b64 s[8:9], -1
	s_and_b64 vcc, exec, s[12:13]
	s_cbranch_vccz .LBB63_33
; %bb.32:
	v_mov_b32_e32 v20, 0xff
	v_cndmask_b32_e64 v20, v18, v20, s[4:5]
	global_store_byte v[6:7], v20, off
	s_mov_b64 s[10:11], -1
	s_mov_b64 s[8:9], 0
.LBB63_33:
	s_mov_b64 s[12:13], 0
.LBB63_34:
	s_and_b64 vcc, exec, s[12:13]
	s_cbranch_vccz .LBB63_37
; %bb.35:
	v_mov_b32_e32 v20, 29
	v_cmp_eq_u16_sdwa s[12:13], s91, v20 src0_sel:BYTE_0 src1_sel:DWORD
	s_mov_b64 s[8:9], -1
	s_and_b64 vcc, exec, s[12:13]
	s_cbranch_vccz .LBB63_37
; %bb.36:
	global_store_dwordx2 v[6:7], v[0:1], off
	s_mov_b64 s[10:11], -1
	s_mov_b64 s[8:9], 0
.LBB63_37:
	s_mov_b64 s[12:13], 0
.LBB63_38:
	s_and_b64 vcc, exec, s[12:13]
	s_cbranch_vccz .LBB63_51
; %bb.39:
	v_mov_b32_e32 v20, 27
	v_cmp_lt_i16_sdwa s[12:13], s91, v20 src0_sel:BYTE_0 src1_sel:DWORD
	s_mov_b64 s[10:11], -1
	s_and_b64 vcc, exec, s[12:13]
	s_cbranch_vccnz .LBB63_45
; %bb.40:
	v_cmp_gt_i16_sdwa s[12:13], s91, v20 src0_sel:BYTE_0 src1_sel:DWORD
	s_and_b64 vcc, exec, s[12:13]
	s_cbranch_vccz .LBB63_42
; %bb.41:
	s_mov_b64 s[10:11], 0
	global_store_dword v[6:7], v17, off
.LBB63_42:
	s_andn2_b64 vcc, exec, s[10:11]
	s_cbranch_vccnz .LBB63_44
; %bb.43:
	global_store_short v[6:7], v17, off
.LBB63_44:
	s_mov_b64 s[10:11], 0
.LBB63_45:
	s_andn2_b64 vcc, exec, s[10:11]
	s_cbranch_vccnz .LBB63_50
; %bb.46:
	s_andn2_b64 vcc, exec, s[54:55]
	v_mov_b32_e32 v20, 0x80
	s_cbranch_vccnz .LBB63_49
; %bb.47:
	s_or_b64 s[10:11], s[2:3], s[56:57]
	s_andn2_b64 vcc, exec, s[10:11]
	v_mov_b32_e32 v20, 0
	s_cbranch_vccnz .LBB63_49
; %bb.48:
	v_mov_b32_e32 v20, s90
	v_cndmask_b32_e64 v20, v16, v20, s[2:3]
	v_or_b32_e32 v20, v20, v13
.LBB63_49:
	global_store_byte v[6:7], v20, off
.LBB63_50:
	s_mov_b64 s[10:11], -1
.LBB63_51:
	s_branch .LBB63_73
.LBB63_52:
	v_mov_b32_e32 v20, 22
	v_cmp_gt_i16_sdwa s[14:15], s91, v20 src0_sel:BYTE_0 src1_sel:DWORD
	s_mov_b64 s[12:13], -1
	s_and_b64 vcc, exec, s[14:15]
	s_cbranch_vccz .LBB63_65
; %bb.53:
	v_mov_b32_e32 v20, 24
	v_cmp_lt_i16_sdwa s[12:13], s91, v20 src0_sel:BYTE_0 src1_sel:DWORD
	s_mov_b64 s[10:11], -1
	s_and_b64 vcc, exec, s[12:13]
	s_cbranch_vccnz .LBB63_62
; %bb.54:
	v_cmp_gt_i16_sdwa s[12:13], s91, v20 src0_sel:BYTE_0 src1_sel:DWORD
	s_and_b64 vcc, exec, s[12:13]
	s_cbranch_vccz .LBB63_59
; %bb.55:
	s_andn2_b64 vcc, exec, s[50:51]
	v_mov_b32_e32 v20, 0x80
	s_cbranch_vccnz .LBB63_58
; %bb.56:
	s_or_b64 s[10:11], s[0:1], s[52:53]
	s_andn2_b64 vcc, exec, s[10:11]
	v_mov_b32_e32 v20, 0
	s_cbranch_vccnz .LBB63_58
; %bb.57:
	v_mov_b32_e32 v20, s88
	v_cndmask_b32_e64 v20, v15, v20, s[0:1]
	v_or_b32_e32 v20, v20, v13
.LBB63_58:
	s_mov_b64 s[10:11], 0
	global_store_byte v[6:7], v20, off
.LBB63_59:
	s_and_b64 vcc, exec, s[10:11]
	s_cbranch_vccz .LBB63_61
; %bb.60:
	s_and_b64 s[10:11], s[48:49], exec
	s_cselect_b32 s12, s87, s86
	s_and_b64 s[10:11], s[46:47], exec
	s_cselect_b32 s10, s89, s12
	v_or_b32_e32 v20, s10, v13
	global_store_byte v[6:7], v20, off
.LBB63_61:
	s_mov_b64 s[10:11], 0
.LBB63_62:
	s_andn2_b64 vcc, exec, s[10:11]
	s_cbranch_vccnz .LBB63_64
; %bb.63:
	s_and_b64 s[10:11], s[44:45], exec
	s_cselect_b32 s12, s84, s83
	s_and_b64 s[10:11], s[42:43], exec
	s_cselect_b32 s10, s85, s12
	v_or_b32_e32 v20, s10, v13
	global_store_byte v[6:7], v20, off
.LBB63_64:
	s_mov_b64 s[12:13], 0
	s_mov_b64 s[10:11], -1
.LBB63_65:
	s_andn2_b64 vcc, exec, s[12:13]
	s_cbranch_vccnz .LBB63_73
; %bb.66:
	v_mov_b32_e32 v20, 14
	v_cmp_gt_i16_sdwa s[14:15], s91, v20 src0_sel:BYTE_0 src1_sel:DWORD
	s_mov_b64 s[12:13], -1
	s_and_b64 vcc, exec, s[14:15]
	s_cbranch_vccz .LBB63_70
; %bb.67:
	v_mov_b32_e32 v20, 15
	v_cmp_eq_u16_sdwa s[12:13], s91, v20 src0_sel:BYTE_0 src1_sel:DWORD
	s_mov_b64 s[8:9], -1
	s_and_b64 vcc, exec, s[12:13]
	s_cbranch_vccz .LBB63_69
; %bb.68:
	global_store_short v[6:7], v14, off
	s_mov_b64 s[10:11], -1
	s_mov_b64 s[8:9], 0
.LBB63_69:
	s_mov_b64 s[12:13], 0
.LBB63_70:
	s_and_b64 vcc, exec, s[12:13]
	s_cbranch_vccz .LBB63_73
; %bb.71:
	v_mov_b32_e32 v20, 11
	v_cmp_eq_u16_sdwa s[12:13], s91, v20 src0_sel:BYTE_0 src1_sel:DWORD
	s_mov_b64 s[8:9], -1
	s_and_b64 vcc, exec, s[12:13]
	s_cbranch_vccz .LBB63_73
; %bb.72:
	s_mov_b64 s[10:11], -1
	s_mov_b64 s[8:9], 0
	global_store_byte v[6:7], v12, off
.LBB63_73:
	s_branch .LBB63_24
.LBB63_74:
	v_mov_b32_e32 v20, 5
	v_cmp_lt_i16_sdwa s[12:13], s91, v20 src0_sel:BYTE_0 src1_sel:DWORD
	s_mov_b64 s[10:11], -1
	s_and_b64 vcc, exec, s[12:13]
	s_cbranch_vccnz .LBB63_95
; %bb.75:
	v_mov_b32_e32 v20, 8
	v_cmp_lt_i16_sdwa s[12:13], s91, v20 src0_sel:BYTE_0 src1_sel:DWORD
	s_and_b64 vcc, exec, s[12:13]
	s_cbranch_vccnz .LBB63_85
; %bb.76:
	v_mov_b32_e32 v20, 9
	v_cmp_lt_i16_sdwa s[12:13], s91, v20 src0_sel:BYTE_0 src1_sel:DWORD
	s_and_b64 vcc, exec, s[12:13]
	s_cbranch_vccnz .LBB63_82
; %bb.77:
	v_cmp_gt_i16_sdwa s[12:13], s91, v20 src0_sel:BYTE_0 src1_sel:DWORD
	s_and_b64 vcc, exec, s[12:13]
	s_cbranch_vccz .LBB63_79
; %bb.78:
	v_mov_b32_e32 v20, s18
	v_mov_b32_e32 v21, s19
	;; [unrolled: 1-line block ×4, first 2 shown]
	global_store_dwordx4 v[6:7], v[20:23], off
	s_mov_b64 s[10:11], 0
.LBB63_79:
	s_andn2_b64 vcc, exec, s[10:11]
	s_cbranch_vccnz .LBB63_81
; %bb.80:
	global_store_dwordx2 v[6:7], v[2:3], off
.LBB63_81:
	s_mov_b64 s[10:11], 0
.LBB63_82:
	s_andn2_b64 vcc, exec, s[10:11]
	s_cbranch_vccnz .LBB63_84
; %bb.83:
	global_store_dword v[6:7], v11, off
.LBB63_84:
	s_mov_b64 s[10:11], 0
.LBB63_85:
	s_andn2_b64 vcc, exec, s[10:11]
	s_cbranch_vccnz .LBB63_94
; %bb.86:
	v_mov_b32_e32 v20, 6
	v_cmp_lt_i16_sdwa s[12:13], s91, v20 src0_sel:BYTE_0 src1_sel:DWORD
	s_mov_b64 s[10:11], -1
	s_and_b64 vcc, exec, s[12:13]
	s_cbranch_vccnz .LBB63_92
; %bb.87:
	v_cmp_gt_i16_sdwa s[12:13], s91, v20 src0_sel:BYTE_0 src1_sel:DWORD
	s_and_b64 vcc, exec, s[12:13]
	s_cbranch_vccz .LBB63_89
; %bb.88:
	v_pk_mov_b32 v[20:21], s[18:19], s[18:19] op_sel:[0,1]
	global_store_dwordx2 v[6:7], v[20:21], off
	s_mov_b64 s[10:11], 0
.LBB63_89:
	s_andn2_b64 vcc, exec, s[10:11]
	s_cbranch_vccnz .LBB63_91
; %bb.90:
	global_store_dword v[6:7], v2, off
.LBB63_91:
	s_mov_b64 s[10:11], 0
.LBB63_92:
	s_andn2_b64 vcc, exec, s[10:11]
	s_cbranch_vccnz .LBB63_94
; %bb.93:
	global_store_short v[6:7], v10, off
.LBB63_94:
	s_mov_b64 s[10:11], 0
.LBB63_95:
	s_andn2_b64 vcc, exec, s[10:11]
	s_cbranch_vccnz .LBB63_111
; %bb.96:
	v_mov_b32_e32 v20, 2
	v_cmp_lt_i16_sdwa s[12:13], s91, v20 src0_sel:BYTE_0 src1_sel:DWORD
	s_mov_b64 s[10:11], -1
	s_and_b64 vcc, exec, s[12:13]
	s_cbranch_vccnz .LBB63_106
; %bb.97:
	v_mov_b32_e32 v20, 3
	v_cmp_lt_i16_sdwa s[12:13], s91, v20 src0_sel:BYTE_0 src1_sel:DWORD
	s_and_b64 vcc, exec, s[12:13]
	s_cbranch_vccnz .LBB63_103
; %bb.98:
	v_cmp_gt_i16_sdwa s[12:13], s91, v20 src0_sel:BYTE_0 src1_sel:DWORD
	s_and_b64 vcc, exec, s[12:13]
	s_cbranch_vccz .LBB63_100
; %bb.99:
	global_store_dwordx2 v[6:7], v[4:5], off
	s_mov_b64 s[10:11], 0
.LBB63_100:
	s_andn2_b64 vcc, exec, s[10:11]
	s_cbranch_vccnz .LBB63_102
; %bb.101:
	global_store_dword v[6:7], v8, off
.LBB63_102:
	s_mov_b64 s[10:11], 0
.LBB63_103:
	s_andn2_b64 vcc, exec, s[10:11]
	s_cbranch_vccnz .LBB63_105
; %bb.104:
	global_store_short v[6:7], v8, off
.LBB63_105:
	s_mov_b64 s[10:11], 0
.LBB63_106:
	s_andn2_b64 vcc, exec, s[10:11]
	s_cbranch_vccnz .LBB63_111
; %bb.107:
	v_mov_b32_e32 v20, 0
	v_cmp_gt_i16_sdwa s[12:13], s91, v20 src0_sel:BYTE_0 src1_sel:DWORD
	s_mov_b64 s[10:11], -1
	s_and_b64 vcc, exec, s[12:13]
	s_cbranch_vccz .LBB63_109
; %bb.108:
	global_store_byte v[6:7], v8, off
	s_mov_b64 s[10:11], 0
.LBB63_109:
	s_andn2_b64 vcc, exec, s[10:11]
	s_cbranch_vccnz .LBB63_111
; %bb.110:
	global_store_byte v[6:7], v0, off
.LBB63_111:
	s_branch .LBB63_25
.LBB63_112:
	s_mov_b64 s[10:11], 0
                                        ; implicit-def: $vgpr9
.LBB63_113:
	s_and_b64 s[68:69], s[8:9], exec
	s_orn2_b64 s[10:11], s[10:11], exec
.LBB63_114:
	s_or_b64 exec, exec, s[70:71]
	s_mov_b64 s[8:9], 0
                                        ; implicit-def: $vgpr20
                                        ; implicit-def: $vgpr6_vgpr7
	s_and_saveexec_b64 s[70:71], s[10:11]
	s_cbranch_execz .LBB63_121
; %bb.115:
	v_cmp_gt_i32_e32 vcc, s92, v9
	s_mov_b64 s[8:9], -1
	s_mov_b64 s[72:73], s[68:69]
	s_and_saveexec_b64 s[74:75], vcc
	s_cbranch_execz .LBB63_232
; %bb.116:
	s_andn2_b64 vcc, exec, s[38:39]
	s_cbranch_vccnz .LBB63_124
; %bb.117:
	s_andn2_b64 vcc, exec, s[66:67]
	s_cbranch_vccnz .LBB63_125
; %bb.118:
	s_add_i32 s79, s93, 1
	s_mov_b32 s78, 0
	s_cmp_eq_u32 s82, 2
	v_mov_b32_e32 v6, 0
	s_cbranch_scc1 .LBB63_126
; %bb.119:
	s_and_b32 s78, s79, 28
	s_mov_b32 s80, 0
	v_mov_b32_e32 v6, 0
	s_mov_b64 s[72:73], s[34:35]
	s_mov_b64 s[76:77], s[64:65]
	v_mov_b32_e32 v20, v9
.LBB63_120:                             ; =>This Inner Loop Header: Depth=1
	s_load_dwordx8 s[8:15], s[72:73], 0x4
	s_load_dwordx4 s[24:27], s[72:73], 0x24
	s_load_dwordx4 s[28:31], s[76:77], 0x0
	s_add_u32 s72, s72, 48
	s_addc_u32 s73, s73, 0
	s_waitcnt lgkmcnt(0)
	v_mul_hi_u32 v7, s9, v20
	v_add_u32_e32 v7, v20, v7
	v_lshrrev_b32_e32 v7, s10, v7
	v_mul_lo_u32 v21, v7, s8
	v_mul_hi_u32 v22, s12, v7
	v_sub_u32_e32 v20, v20, v21
	v_add_u32_e32 v21, v7, v22
	v_lshrrev_b32_e32 v21, s13, v21
	v_mul_lo_u32 v22, v21, s11
	v_mul_hi_u32 v23, s15, v21
	v_sub_u32_e32 v7, v7, v22
	v_add_u32_e32 v22, v21, v23
	v_mul_lo_u32 v20, v20, s28
	v_mul_lo_u32 v7, v7, s29
	v_lshrrev_b32_e32 v22, s24, v22
	v_add3_u32 v6, v20, v6, v7
	v_mul_hi_u32 v20, s26, v22
	v_add_u32_e32 v20, v22, v20
	v_mul_lo_u32 v7, v22, s14
	v_lshrrev_b32_e32 v20, s27, v20
	s_add_i32 s80, s80, 4
	v_sub_u32_e32 v7, v21, v7
	v_mul_lo_u32 v21, v20, s25
	s_add_u32 s76, s76, 16
	v_sub_u32_e32 v21, v22, v21
	s_addc_u32 s77, s77, 0
	v_mul_lo_u32 v7, v7, s30
	v_mul_lo_u32 v21, v21, s31
	s_cmp_eq_u32 s78, s80
	v_add3_u32 v6, v7, v6, v21
	s_cbranch_scc0 .LBB63_120
	s_branch .LBB63_127
.LBB63_121:
	s_or_b64 exec, exec, s[70:71]
	s_mov_b64 s[0:1], 0
	s_and_saveexec_b64 s[2:3], s[68:69]
	s_cbranch_execnz .LBB63_422
.LBB63_122:
	s_or_b64 exec, exec, s[2:3]
	s_and_saveexec_b64 s[2:3], s[74:75]
	s_xor_b64 s[2:3], exec, s[2:3]
	s_cbranch_execz .LBB63_423
.LBB63_123:
	global_store_byte v[6:7], v12, off
	s_or_b64 exec, exec, s[2:3]
	s_and_saveexec_b64 s[2:3], s[8:9]
	s_xor_b64 s[2:3], exec, s[2:3]
	s_cbranch_execz .LBB63_461
	s_branch .LBB63_424
.LBB63_124:
                                        ; implicit-def: $vgpr6
	s_andn2_b64 vcc, exec, s[8:9]
	s_cbranch_vccz .LBB63_131
	s_branch .LBB63_133
.LBB63_125:
	v_mov_b32_e32 v6, 0
	s_branch .LBB63_130
.LBB63_126:
	v_mov_b32_e32 v20, v9
.LBB63_127:
	s_and_b32 s12, s79, 3
	s_cmp_eq_u32 s12, 0
	s_cbranch_scc1 .LBB63_130
; %bb.128:
	s_lshl_b32 s8, s78, 2
	s_add_u32 s8, s8, s34
	s_addc_u32 s9, s35, 0
	s_add_u32 s8, s8, 0xc4
	s_addc_u32 s9, s9, 0
	s_mul_i32 s10, s78, 12
	s_add_u32 s10, s34, s10
	s_addc_u32 s11, s35, 0
.LBB63_129:                             ; =>This Inner Loop Header: Depth=1
	s_load_dwordx2 s[14:15], s[10:11], 0x4
	s_load_dword s13, s[10:11], 0xc
	s_load_dword s24, s[8:9], 0x0
	s_add_u32 s10, s10, 12
	s_addc_u32 s11, s11, 0
	s_waitcnt lgkmcnt(0)
	v_mul_hi_u32 v7, s15, v20
	v_add_u32_e32 v7, v20, v7
	v_lshrrev_b32_e32 v7, s13, v7
	s_add_u32 s8, s8, 4
	v_mul_lo_u32 v21, v7, s14
	s_addc_u32 s9, s9, 0
	s_add_i32 s12, s12, -1
	v_sub_u32_e32 v21, v20, v21
	s_cmp_lg_u32 s12, 0
	v_mov_b32_e32 v20, v7
	v_mad_u64_u32 v[6:7], s[14:15], v21, s24, v[6:7]
	s_cbranch_scc1 .LBB63_129
.LBB63_130:
	s_cbranch_execnz .LBB63_133
.LBB63_131:
	v_mul_hi_u32 v6, s21, v9
	v_add_u32_e32 v6, v9, v6
	v_lshrrev_b32_e32 v7, s22, v6
	v_mul_lo_u32 v6, v7, s20
	v_sub_u32_e32 v6, v9, v6
	s_andn2_b64 vcc, exec, s[62:63]
	v_mul_lo_u32 v6, v6, s58
	s_cbranch_vccnz .LBB63_133
; %bb.132:
	v_mul_hi_u32 v20, s60, v7
	v_add_u32_e32 v20, v7, v20
	v_lshrrev_b32_e32 v20, s61, v20
	v_mul_lo_u32 v20, v20, s23
	v_sub_u32_e32 v7, v7, v20
	v_mad_u64_u32 v[6:7], s[8:9], v7, s59, v[6:7]
.LBB63_133:
	v_mov_b32_e32 v7, s17
	v_add_co_u32_e32 v6, vcc, s16, v6
	v_mov_b32_e32 v20, 11
	v_addc_co_u32_e32 v7, vcc, 0, v7, vcc
	v_cmp_lt_i16_sdwa s[8:9], s91, v20 src0_sel:BYTE_0 src1_sel:DWORD
	s_and_b64 vcc, exec, s[8:9]
	s_cbranch_vccnz .LBB63_140
; %bb.134:
	v_mov_b32_e32 v20, 25
	v_cmp_gt_i16_sdwa s[8:9], s91, v20 src0_sel:BYTE_0 src1_sel:DWORD
	s_and_b64 vcc, exec, s[8:9]
	s_cbranch_vccz .LBB63_143
; %bb.135:
	v_mov_b32_e32 v20, 28
	v_cmp_gt_i16_sdwa s[8:9], s91, v20 src0_sel:BYTE_0 src1_sel:DWORD
	s_and_b64 vcc, exec, s[8:9]
	s_cbranch_vccz .LBB63_144
	;; [unrolled: 5-line block ×4, first 2 shown]
; %bb.138:
	v_mov_b32_e32 v20, 46
	v_cmp_eq_u16_sdwa s[10:11], s91, v20 src0_sel:BYTE_0 src1_sel:DWORD
	s_mov_b64 s[12:13], 0
	s_mov_b64 s[8:9], -1
	s_and_b64 vcc, exec, s[10:11]
	s_mov_b64 s[10:11], 0
	s_cbranch_vccz .LBB63_147
; %bb.139:
	global_store_dword v[6:7], v19, off
	s_mov_b64 s[10:11], -1
	s_mov_b64 s[8:9], 0
	s_branch .LBB63_147
.LBB63_140:
	s_mov_b64 s[10:11], 0
	s_mov_b64 s[8:9], s[68:69]
	s_cbranch_execnz .LBB63_192
.LBB63_141:
	s_andn2_b64 vcc, exec, s[10:11]
	s_cbranch_vccnz .LBB63_230
.LBB63_142:
	v_add_u32_e32 v9, 0x80, v9
	s_mov_b64 s[10:11], -1
	s_branch .LBB63_231
.LBB63_143:
	s_mov_b64 s[12:13], -1
	s_mov_b64 s[10:11], 0
	s_mov_b64 s[8:9], s[68:69]
	s_branch .LBB63_169
.LBB63_144:
	s_mov_b64 s[12:13], -1
	s_mov_b64 s[10:11], 0
	s_mov_b64 s[8:9], s[68:69]
	s_branch .LBB63_155
.LBB63_145:
	s_mov_b64 s[12:13], -1
	s_mov_b64 s[10:11], 0
	s_mov_b64 s[8:9], s[68:69]
	s_branch .LBB63_151
.LBB63_146:
	s_mov_b64 s[12:13], -1
	s_mov_b64 s[10:11], 0
	s_mov_b64 s[8:9], s[68:69]
.LBB63_147:
	s_and_b64 vcc, exec, s[12:13]
	s_cbranch_vccz .LBB63_150
; %bb.148:
	v_mov_b32_e32 v20, 44
	v_cmp_eq_u16_sdwa s[12:13], s91, v20 src0_sel:BYTE_0 src1_sel:DWORD
	s_mov_b64 s[8:9], -1
	s_and_b64 vcc, exec, s[12:13]
	s_cbranch_vccz .LBB63_150
; %bb.149:
	v_mov_b32_e32 v20, 0xff
	v_cndmask_b32_e64 v20, v18, v20, s[4:5]
	s_mov_b64 s[10:11], -1
	s_mov_b64 s[8:9], 0
	global_store_byte v[6:7], v20, off
.LBB63_150:
	s_mov_b64 s[12:13], 0
.LBB63_151:
	s_and_b64 vcc, exec, s[12:13]
	s_cbranch_vccz .LBB63_154
; %bb.152:
	v_mov_b32_e32 v20, 29
	v_cmp_eq_u16_sdwa s[12:13], s91, v20 src0_sel:BYTE_0 src1_sel:DWORD
	s_mov_b64 s[8:9], -1
	s_and_b64 vcc, exec, s[12:13]
	s_cbranch_vccz .LBB63_154
; %bb.153:
	global_store_dwordx2 v[6:7], v[0:1], off
	s_mov_b64 s[10:11], -1
	s_mov_b64 s[8:9], 0
.LBB63_154:
	s_mov_b64 s[12:13], 0
.LBB63_155:
	s_and_b64 vcc, exec, s[12:13]
	s_cbranch_vccz .LBB63_168
; %bb.156:
	v_mov_b32_e32 v20, 27
	v_cmp_lt_i16_sdwa s[12:13], s91, v20 src0_sel:BYTE_0 src1_sel:DWORD
	s_mov_b64 s[10:11], -1
	s_and_b64 vcc, exec, s[12:13]
	s_cbranch_vccnz .LBB63_162
; %bb.157:
	v_cmp_gt_i16_sdwa s[12:13], s91, v20 src0_sel:BYTE_0 src1_sel:DWORD
	s_and_b64 vcc, exec, s[12:13]
	s_cbranch_vccz .LBB63_159
; %bb.158:
	s_mov_b64 s[10:11], 0
	global_store_dword v[6:7], v17, off
.LBB63_159:
	s_andn2_b64 vcc, exec, s[10:11]
	s_cbranch_vccnz .LBB63_161
; %bb.160:
	global_store_short v[6:7], v17, off
.LBB63_161:
	s_mov_b64 s[10:11], 0
.LBB63_162:
	s_andn2_b64 vcc, exec, s[10:11]
	s_cbranch_vccnz .LBB63_167
; %bb.163:
	s_andn2_b64 vcc, exec, s[54:55]
	v_mov_b32_e32 v20, 0x80
	s_cbranch_vccnz .LBB63_166
; %bb.164:
	s_or_b64 s[10:11], s[2:3], s[56:57]
	s_andn2_b64 vcc, exec, s[10:11]
	v_mov_b32_e32 v20, 0
	s_cbranch_vccnz .LBB63_166
; %bb.165:
	v_mov_b32_e32 v20, s90
	v_cndmask_b32_e64 v20, v16, v20, s[2:3]
	v_or_b32_e32 v20, v20, v13
.LBB63_166:
	global_store_byte v[6:7], v20, off
.LBB63_167:
	s_mov_b64 s[10:11], -1
.LBB63_168:
	s_mov_b64 s[12:13], 0
.LBB63_169:
	s_and_b64 vcc, exec, s[12:13]
	s_cbranch_vccz .LBB63_191
; %bb.170:
	v_mov_b32_e32 v20, 22
	v_cmp_gt_i16_sdwa s[14:15], s91, v20 src0_sel:BYTE_0 src1_sel:DWORD
	s_mov_b64 s[12:13], -1
	s_and_b64 vcc, exec, s[14:15]
	s_cbranch_vccz .LBB63_183
; %bb.171:
	v_mov_b32_e32 v20, 24
	v_cmp_lt_i16_sdwa s[12:13], s91, v20 src0_sel:BYTE_0 src1_sel:DWORD
	s_mov_b64 s[10:11], -1
	s_and_b64 vcc, exec, s[12:13]
	s_cbranch_vccnz .LBB63_180
; %bb.172:
	v_cmp_gt_i16_sdwa s[12:13], s91, v20 src0_sel:BYTE_0 src1_sel:DWORD
	s_and_b64 vcc, exec, s[12:13]
	s_cbranch_vccz .LBB63_177
; %bb.173:
	s_andn2_b64 vcc, exec, s[50:51]
	v_mov_b32_e32 v20, 0x80
	s_cbranch_vccnz .LBB63_176
; %bb.174:
	s_or_b64 s[10:11], s[0:1], s[52:53]
	s_andn2_b64 vcc, exec, s[10:11]
	v_mov_b32_e32 v20, 0
	s_cbranch_vccnz .LBB63_176
; %bb.175:
	v_mov_b32_e32 v20, s88
	v_cndmask_b32_e64 v20, v15, v20, s[0:1]
	v_or_b32_e32 v20, v20, v13
.LBB63_176:
	s_mov_b64 s[10:11], 0
	global_store_byte v[6:7], v20, off
.LBB63_177:
	s_and_b64 vcc, exec, s[10:11]
	s_cbranch_vccz .LBB63_179
; %bb.178:
	s_and_b64 s[10:11], s[48:49], exec
	s_cselect_b32 s12, s87, s86
	s_and_b64 s[10:11], s[46:47], exec
	s_cselect_b32 s10, s89, s12
	v_or_b32_e32 v20, s10, v13
	global_store_byte v[6:7], v20, off
.LBB63_179:
	s_mov_b64 s[10:11], 0
.LBB63_180:
	s_andn2_b64 vcc, exec, s[10:11]
	s_cbranch_vccnz .LBB63_182
; %bb.181:
	s_and_b64 s[10:11], s[44:45], exec
	s_cselect_b32 s12, s84, s83
	s_and_b64 s[10:11], s[42:43], exec
	s_cselect_b32 s10, s85, s12
	v_or_b32_e32 v20, s10, v13
	global_store_byte v[6:7], v20, off
.LBB63_182:
	s_mov_b64 s[12:13], 0
	s_mov_b64 s[10:11], -1
.LBB63_183:
	s_andn2_b64 vcc, exec, s[12:13]
	s_cbranch_vccnz .LBB63_191
; %bb.184:
	v_mov_b32_e32 v20, 14
	v_cmp_gt_i16_sdwa s[14:15], s91, v20 src0_sel:BYTE_0 src1_sel:DWORD
	s_mov_b64 s[12:13], -1
	s_and_b64 vcc, exec, s[14:15]
	s_cbranch_vccz .LBB63_188
; %bb.185:
	v_mov_b32_e32 v20, 15
	v_cmp_eq_u16_sdwa s[12:13], s91, v20 src0_sel:BYTE_0 src1_sel:DWORD
	s_mov_b64 s[8:9], -1
	s_and_b64 vcc, exec, s[12:13]
	s_cbranch_vccz .LBB63_187
; %bb.186:
	global_store_short v[6:7], v14, off
	s_mov_b64 s[10:11], -1
	s_mov_b64 s[8:9], 0
.LBB63_187:
	s_mov_b64 s[12:13], 0
.LBB63_188:
	s_and_b64 vcc, exec, s[12:13]
	s_cbranch_vccz .LBB63_191
; %bb.189:
	v_mov_b32_e32 v20, 11
	v_cmp_eq_u16_sdwa s[12:13], s91, v20 src0_sel:BYTE_0 src1_sel:DWORD
	s_mov_b64 s[8:9], -1
	s_and_b64 vcc, exec, s[12:13]
	s_cbranch_vccz .LBB63_191
; %bb.190:
	s_mov_b64 s[10:11], -1
	s_mov_b64 s[8:9], 0
	global_store_byte v[6:7], v12, off
.LBB63_191:
	s_branch .LBB63_141
.LBB63_192:
	v_mov_b32_e32 v20, 5
	v_cmp_lt_i16_sdwa s[12:13], s91, v20 src0_sel:BYTE_0 src1_sel:DWORD
	s_mov_b64 s[10:11], -1
	s_and_b64 vcc, exec, s[12:13]
	s_cbranch_vccnz .LBB63_213
; %bb.193:
	v_mov_b32_e32 v20, 8
	v_cmp_lt_i16_sdwa s[12:13], s91, v20 src0_sel:BYTE_0 src1_sel:DWORD
	s_and_b64 vcc, exec, s[12:13]
	s_cbranch_vccnz .LBB63_203
; %bb.194:
	v_mov_b32_e32 v20, 9
	v_cmp_lt_i16_sdwa s[12:13], s91, v20 src0_sel:BYTE_0 src1_sel:DWORD
	s_and_b64 vcc, exec, s[12:13]
	s_cbranch_vccnz .LBB63_200
; %bb.195:
	v_cmp_gt_i16_sdwa s[12:13], s91, v20 src0_sel:BYTE_0 src1_sel:DWORD
	s_and_b64 vcc, exec, s[12:13]
	s_cbranch_vccz .LBB63_197
; %bb.196:
	v_mov_b32_e32 v20, s18
	v_mov_b32_e32 v21, s19
	;; [unrolled: 1-line block ×4, first 2 shown]
	s_mov_b64 s[10:11], 0
	global_store_dwordx4 v[6:7], v[20:23], off
.LBB63_197:
	s_andn2_b64 vcc, exec, s[10:11]
	s_cbranch_vccnz .LBB63_199
; %bb.198:
	global_store_dwordx2 v[6:7], v[2:3], off
.LBB63_199:
	s_mov_b64 s[10:11], 0
.LBB63_200:
	s_andn2_b64 vcc, exec, s[10:11]
	s_cbranch_vccnz .LBB63_202
; %bb.201:
	global_store_dword v[6:7], v11, off
.LBB63_202:
	s_mov_b64 s[10:11], 0
.LBB63_203:
	s_andn2_b64 vcc, exec, s[10:11]
	s_cbranch_vccnz .LBB63_212
; %bb.204:
	v_mov_b32_e32 v20, 6
	v_cmp_lt_i16_sdwa s[12:13], s91, v20 src0_sel:BYTE_0 src1_sel:DWORD
	s_mov_b64 s[10:11], -1
	s_and_b64 vcc, exec, s[12:13]
	s_cbranch_vccnz .LBB63_210
; %bb.205:
	v_cmp_gt_i16_sdwa s[12:13], s91, v20 src0_sel:BYTE_0 src1_sel:DWORD
	s_and_b64 vcc, exec, s[12:13]
	s_cbranch_vccz .LBB63_207
; %bb.206:
	v_pk_mov_b32 v[20:21], s[18:19], s[18:19] op_sel:[0,1]
	s_mov_b64 s[10:11], 0
	global_store_dwordx2 v[6:7], v[20:21], off
.LBB63_207:
	s_andn2_b64 vcc, exec, s[10:11]
	s_cbranch_vccnz .LBB63_209
; %bb.208:
	global_store_dword v[6:7], v2, off
.LBB63_209:
	s_mov_b64 s[10:11], 0
.LBB63_210:
	s_andn2_b64 vcc, exec, s[10:11]
	s_cbranch_vccnz .LBB63_212
; %bb.211:
	global_store_short v[6:7], v10, off
.LBB63_212:
	s_mov_b64 s[10:11], 0
.LBB63_213:
	s_andn2_b64 vcc, exec, s[10:11]
	s_cbranch_vccnz .LBB63_229
; %bb.214:
	v_mov_b32_e32 v20, 2
	v_cmp_lt_i16_sdwa s[12:13], s91, v20 src0_sel:BYTE_0 src1_sel:DWORD
	s_mov_b64 s[10:11], -1
	s_and_b64 vcc, exec, s[12:13]
	s_cbranch_vccnz .LBB63_224
; %bb.215:
	v_mov_b32_e32 v20, 3
	v_cmp_lt_i16_sdwa s[12:13], s91, v20 src0_sel:BYTE_0 src1_sel:DWORD
	s_and_b64 vcc, exec, s[12:13]
	s_cbranch_vccnz .LBB63_221
; %bb.216:
	v_cmp_gt_i16_sdwa s[12:13], s91, v20 src0_sel:BYTE_0 src1_sel:DWORD
	s_and_b64 vcc, exec, s[12:13]
	s_cbranch_vccz .LBB63_218
; %bb.217:
	s_mov_b64 s[10:11], 0
	global_store_dwordx2 v[6:7], v[4:5], off
.LBB63_218:
	s_andn2_b64 vcc, exec, s[10:11]
	s_cbranch_vccnz .LBB63_220
; %bb.219:
	global_store_dword v[6:7], v8, off
.LBB63_220:
	s_mov_b64 s[10:11], 0
.LBB63_221:
	s_andn2_b64 vcc, exec, s[10:11]
	s_cbranch_vccnz .LBB63_223
; %bb.222:
	global_store_short v[6:7], v8, off
.LBB63_223:
	s_mov_b64 s[10:11], 0
.LBB63_224:
	s_andn2_b64 vcc, exec, s[10:11]
	s_cbranch_vccnz .LBB63_229
; %bb.225:
	v_mov_b32_e32 v20, 0
	v_cmp_gt_i16_sdwa s[12:13], s91, v20 src0_sel:BYTE_0 src1_sel:DWORD
	s_mov_b64 s[10:11], -1
	s_and_b64 vcc, exec, s[12:13]
	s_cbranch_vccz .LBB63_227
; %bb.226:
	s_mov_b64 s[10:11], 0
	global_store_byte v[6:7], v8, off
.LBB63_227:
	s_andn2_b64 vcc, exec, s[10:11]
	s_cbranch_vccnz .LBB63_229
; %bb.228:
	global_store_byte v[6:7], v0, off
.LBB63_229:
	s_branch .LBB63_142
.LBB63_230:
	s_mov_b64 s[10:11], 0
                                        ; implicit-def: $vgpr9
.LBB63_231:
	s_andn2_b64 s[12:13], s[68:69], exec
	s_and_b64 s[8:9], s[8:9], exec
	s_or_b64 s[72:73], s[12:13], s[8:9]
	s_orn2_b64 s[8:9], s[10:11], exec
.LBB63_232:
	s_or_b64 exec, exec, s[74:75]
	s_mov_b64 s[10:11], 0
	s_mov_b64 s[12:13], 0
                                        ; implicit-def: $vgpr20
                                        ; implicit-def: $vgpr6_vgpr7
	s_and_saveexec_b64 s[74:75], s[8:9]
	s_cbranch_execz .LBB63_421
; %bb.233:
	v_cmp_gt_i32_e32 vcc, s92, v9
	s_mov_b64 s[10:11], -1
	s_mov_b64 s[78:79], s[72:73]
	s_and_saveexec_b64 s[76:77], vcc
	s_cbranch_execz .LBB63_349
; %bb.234:
	s_andn2_b64 vcc, exec, s[38:39]
	s_cbranch_vccnz .LBB63_239
; %bb.235:
	s_andn2_b64 vcc, exec, s[66:67]
	s_cbranch_vccnz .LBB63_240
; %bb.236:
	s_add_i32 s95, s93, 1
	s_mov_b32 s94, 0
	s_cmp_eq_u32 s82, 2
	v_mov_b32_e32 v6, 0
	s_cbranch_scc1 .LBB63_241
; %bb.237:
	s_and_b32 s94, s95, 28
	s_mov_b32 vcc_lo, 0
	v_mov_b32_e32 v6, 0
	s_mov_b64 s[78:79], s[34:35]
	s_mov_b64 s[80:81], s[64:65]
	v_mov_b32_e32 v20, v9
.LBB63_238:                             ; =>This Inner Loop Header: Depth=1
	s_load_dwordx8 s[8:15], s[78:79], 0x4
	s_load_dwordx4 s[24:27], s[78:79], 0x24
	s_load_dwordx4 s[28:31], s[80:81], 0x0
	s_add_u32 s78, s78, 48
	s_addc_u32 s79, s79, 0
	s_waitcnt lgkmcnt(0)
	v_mul_hi_u32 v7, s9, v20
	v_add_u32_e32 v7, v20, v7
	v_lshrrev_b32_e32 v7, s10, v7
	v_mul_lo_u32 v21, v7, s8
	v_mul_hi_u32 v22, s12, v7
	v_sub_u32_e32 v20, v20, v21
	v_add_u32_e32 v21, v7, v22
	v_lshrrev_b32_e32 v21, s13, v21
	v_mul_lo_u32 v22, v21, s11
	v_mul_hi_u32 v23, s15, v21
	v_sub_u32_e32 v7, v7, v22
	v_add_u32_e32 v22, v21, v23
	v_mul_lo_u32 v20, v20, s28
	v_mul_lo_u32 v7, v7, s29
	v_lshrrev_b32_e32 v22, s24, v22
	v_add3_u32 v6, v20, v6, v7
	v_mul_hi_u32 v20, s26, v22
	v_add_u32_e32 v20, v22, v20
	v_mul_lo_u32 v7, v22, s14
	v_lshrrev_b32_e32 v20, s27, v20
	s_add_i32 vcc_lo, vcc_lo, 4
	v_sub_u32_e32 v7, v21, v7
	v_mul_lo_u32 v21, v20, s25
	s_add_u32 s80, s80, 16
	v_sub_u32_e32 v21, v22, v21
	s_addc_u32 s81, s81, 0
	v_mul_lo_u32 v7, v7, s30
	v_mul_lo_u32 v21, v21, s31
	s_cmp_eq_u32 s94, vcc_lo
	v_add3_u32 v6, v7, v6, v21
	s_cbranch_scc0 .LBB63_238
	s_branch .LBB63_242
.LBB63_239:
	s_mov_b64 s[8:9], -1
                                        ; implicit-def: $vgpr6
	s_branch .LBB63_246
.LBB63_240:
	v_mov_b32_e32 v6, 0
	s_branch .LBB63_245
.LBB63_241:
	v_mov_b32_e32 v20, v9
.LBB63_242:
	s_and_b32 s12, s95, 3
	s_cmp_eq_u32 s12, 0
	s_cbranch_scc1 .LBB63_245
; %bb.243:
	s_lshl_b32 s8, s94, 2
	s_add_u32 s8, s8, s34
	s_addc_u32 s9, s35, 0
	s_add_u32 s8, s8, 0xc4
	s_addc_u32 s9, s9, 0
	s_mul_i32 s10, s94, 12
	s_add_u32 s10, s34, s10
	s_addc_u32 s11, s35, 0
.LBB63_244:                             ; =>This Inner Loop Header: Depth=1
	s_load_dwordx2 s[14:15], s[10:11], 0x4
	s_load_dword s13, s[10:11], 0xc
	s_load_dword s24, s[8:9], 0x0
	s_add_u32 s10, s10, 12
	s_addc_u32 s11, s11, 0
	s_waitcnt lgkmcnt(0)
	v_mul_hi_u32 v7, s15, v20
	v_add_u32_e32 v7, v20, v7
	v_lshrrev_b32_e32 v7, s13, v7
	s_add_u32 s8, s8, 4
	v_mul_lo_u32 v21, v7, s14
	s_addc_u32 s9, s9, 0
	s_add_i32 s12, s12, -1
	v_sub_u32_e32 v21, v20, v21
	s_cmp_lg_u32 s12, 0
	v_mov_b32_e32 v20, v7
	v_mad_u64_u32 v[6:7], s[14:15], v21, s24, v[6:7]
	s_cbranch_scc1 .LBB63_244
.LBB63_245:
	s_mov_b64 s[8:9], 0
.LBB63_246:
	s_andn2_b64 vcc, exec, s[8:9]
	s_cbranch_vccnz .LBB63_249
; %bb.247:
	v_mul_hi_u32 v6, s21, v9
	v_add_u32_e32 v6, v9, v6
	v_lshrrev_b32_e32 v7, s22, v6
	v_mul_lo_u32 v6, v7, s20
	v_sub_u32_e32 v6, v9, v6
	s_andn2_b64 vcc, exec, s[62:63]
	v_mul_lo_u32 v6, v6, s58
	s_cbranch_vccnz .LBB63_249
; %bb.248:
	v_mul_hi_u32 v20, s60, v7
	v_add_u32_e32 v20, v7, v20
	v_lshrrev_b32_e32 v20, s61, v20
	v_mul_lo_u32 v20, v20, s23
	v_sub_u32_e32 v7, v7, v20
	v_mad_u64_u32 v[6:7], s[8:9], v7, s59, v[6:7]
.LBB63_249:
	v_mov_b32_e32 v7, s17
	v_add_co_u32_e32 v6, vcc, s16, v6
	v_mov_b32_e32 v20, 11
	v_addc_co_u32_e32 v7, vcc, 0, v7, vcc
	v_cmp_lt_i16_sdwa s[8:9], s91, v20 src0_sel:BYTE_0 src1_sel:DWORD
	s_and_b64 vcc, exec, s[8:9]
	s_cbranch_vccnz .LBB63_256
; %bb.250:
	v_mov_b32_e32 v20, 25
	v_cmp_gt_i16_sdwa s[8:9], s91, v20 src0_sel:BYTE_0 src1_sel:DWORD
	s_and_b64 vcc, exec, s[8:9]
	s_cbranch_vccz .LBB63_257
; %bb.251:
	v_mov_b32_e32 v20, 28
	v_cmp_gt_i16_sdwa s[8:9], s91, v20 src0_sel:BYTE_0 src1_sel:DWORD
	s_and_b64 vcc, exec, s[8:9]
	s_cbranch_vccz .LBB63_258
	;; [unrolled: 5-line block ×4, first 2 shown]
; %bb.254:
	v_mov_b32_e32 v20, 46
	v_cmp_eq_u16_sdwa s[10:11], s91, v20 src0_sel:BYTE_0 src1_sel:DWORD
	s_mov_b64 s[12:13], 0
	s_mov_b64 s[8:9], -1
	s_and_b64 vcc, exec, s[10:11]
	s_mov_b64 s[10:11], 0
	s_cbranch_vccz .LBB63_261
; %bb.255:
	global_store_dword v[6:7], v19, off
	s_mov_b64 s[10:11], -1
	s_mov_b64 s[8:9], 0
	s_branch .LBB63_261
.LBB63_256:
	s_mov_b64 s[12:13], -1
	s_mov_b64 s[10:11], 0
	s_mov_b64 s[8:9], s[72:73]
	s_branch .LBB63_306
.LBB63_257:
	s_mov_b64 s[12:13], -1
	s_mov_b64 s[10:11], 0
	s_mov_b64 s[8:9], s[72:73]
	s_branch .LBB63_283
.LBB63_258:
	s_mov_b64 s[12:13], -1
	s_mov_b64 s[10:11], 0
	s_mov_b64 s[8:9], s[72:73]
	s_branch .LBB63_269
.LBB63_259:
	s_mov_b64 s[12:13], -1
	s_mov_b64 s[10:11], 0
	s_mov_b64 s[8:9], s[72:73]
	s_branch .LBB63_265
.LBB63_260:
	s_mov_b64 s[12:13], -1
	s_mov_b64 s[10:11], 0
	s_mov_b64 s[8:9], s[72:73]
.LBB63_261:
	s_and_b64 vcc, exec, s[12:13]
	s_cbranch_vccz .LBB63_264
; %bb.262:
	v_mov_b32_e32 v20, 44
	v_cmp_eq_u16_sdwa s[12:13], s91, v20 src0_sel:BYTE_0 src1_sel:DWORD
	s_mov_b64 s[8:9], -1
	s_and_b64 vcc, exec, s[12:13]
	s_cbranch_vccz .LBB63_264
; %bb.263:
	v_mov_b32_e32 v20, 0xff
	v_cndmask_b32_e64 v20, v18, v20, s[4:5]
	s_mov_b64 s[10:11], -1
	s_mov_b64 s[8:9], 0
	global_store_byte v[6:7], v20, off
.LBB63_264:
	s_mov_b64 s[12:13], 0
.LBB63_265:
	s_and_b64 vcc, exec, s[12:13]
	s_cbranch_vccz .LBB63_268
; %bb.266:
	v_mov_b32_e32 v20, 29
	v_cmp_eq_u16_sdwa s[12:13], s91, v20 src0_sel:BYTE_0 src1_sel:DWORD
	s_mov_b64 s[8:9], -1
	s_and_b64 vcc, exec, s[12:13]
	s_cbranch_vccz .LBB63_268
; %bb.267:
	global_store_dwordx2 v[6:7], v[0:1], off
	s_mov_b64 s[10:11], -1
	s_mov_b64 s[8:9], 0
.LBB63_268:
	s_mov_b64 s[12:13], 0
.LBB63_269:
	s_and_b64 vcc, exec, s[12:13]
	s_cbranch_vccz .LBB63_282
; %bb.270:
	v_mov_b32_e32 v20, 27
	v_cmp_lt_i16_sdwa s[12:13], s91, v20 src0_sel:BYTE_0 src1_sel:DWORD
	s_mov_b64 s[10:11], -1
	s_and_b64 vcc, exec, s[12:13]
	s_cbranch_vccnz .LBB63_276
; %bb.271:
	v_cmp_gt_i16_sdwa s[12:13], s91, v20 src0_sel:BYTE_0 src1_sel:DWORD
	s_and_b64 vcc, exec, s[12:13]
	s_cbranch_vccz .LBB63_273
; %bb.272:
	s_mov_b64 s[10:11], 0
	global_store_dword v[6:7], v17, off
.LBB63_273:
	s_andn2_b64 vcc, exec, s[10:11]
	s_cbranch_vccnz .LBB63_275
; %bb.274:
	global_store_short v[6:7], v17, off
.LBB63_275:
	s_mov_b64 s[10:11], 0
.LBB63_276:
	s_andn2_b64 vcc, exec, s[10:11]
	s_cbranch_vccnz .LBB63_281
; %bb.277:
	s_andn2_b64 vcc, exec, s[54:55]
	v_mov_b32_e32 v20, 0x80
	s_cbranch_vccnz .LBB63_280
; %bb.278:
	s_or_b64 s[10:11], s[2:3], s[56:57]
	s_andn2_b64 vcc, exec, s[10:11]
	v_mov_b32_e32 v20, 0
	s_cbranch_vccnz .LBB63_280
; %bb.279:
	v_mov_b32_e32 v20, s90
	v_cndmask_b32_e64 v20, v16, v20, s[2:3]
	v_or_b32_e32 v20, v20, v13
.LBB63_280:
	global_store_byte v[6:7], v20, off
.LBB63_281:
	s_mov_b64 s[10:11], -1
.LBB63_282:
	s_mov_b64 s[12:13], 0
.LBB63_283:
	s_and_b64 vcc, exec, s[12:13]
	s_cbranch_vccz .LBB63_305
; %bb.284:
	v_mov_b32_e32 v20, 22
	v_cmp_gt_i16_sdwa s[14:15], s91, v20 src0_sel:BYTE_0 src1_sel:DWORD
	s_mov_b64 s[12:13], -1
	s_and_b64 vcc, exec, s[14:15]
	s_cbranch_vccz .LBB63_297
; %bb.285:
	v_mov_b32_e32 v20, 24
	v_cmp_lt_i16_sdwa s[12:13], s91, v20 src0_sel:BYTE_0 src1_sel:DWORD
	s_mov_b64 s[10:11], -1
	s_and_b64 vcc, exec, s[12:13]
	s_cbranch_vccnz .LBB63_294
; %bb.286:
	v_cmp_gt_i16_sdwa s[12:13], s91, v20 src0_sel:BYTE_0 src1_sel:DWORD
	s_and_b64 vcc, exec, s[12:13]
	s_cbranch_vccz .LBB63_291
; %bb.287:
	s_andn2_b64 vcc, exec, s[50:51]
	v_mov_b32_e32 v20, 0x80
	s_cbranch_vccnz .LBB63_290
; %bb.288:
	s_or_b64 s[10:11], s[0:1], s[52:53]
	s_andn2_b64 vcc, exec, s[10:11]
	v_mov_b32_e32 v20, 0
	s_cbranch_vccnz .LBB63_290
; %bb.289:
	v_mov_b32_e32 v20, s88
	v_cndmask_b32_e64 v20, v15, v20, s[0:1]
	v_or_b32_e32 v20, v20, v13
.LBB63_290:
	s_mov_b64 s[10:11], 0
	global_store_byte v[6:7], v20, off
.LBB63_291:
	s_and_b64 vcc, exec, s[10:11]
	s_cbranch_vccz .LBB63_293
; %bb.292:
	s_and_b64 s[10:11], s[48:49], exec
	s_cselect_b32 s12, s87, s86
	s_and_b64 s[10:11], s[46:47], exec
	s_cselect_b32 s10, s89, s12
	v_or_b32_e32 v20, s10, v13
	global_store_byte v[6:7], v20, off
.LBB63_293:
	s_mov_b64 s[10:11], 0
.LBB63_294:
	s_andn2_b64 vcc, exec, s[10:11]
	s_cbranch_vccnz .LBB63_296
; %bb.295:
	s_and_b64 s[10:11], s[44:45], exec
	s_cselect_b32 s12, s84, s83
	s_and_b64 s[10:11], s[42:43], exec
	s_cselect_b32 s10, s85, s12
	v_or_b32_e32 v20, s10, v13
	global_store_byte v[6:7], v20, off
.LBB63_296:
	s_mov_b64 s[12:13], 0
	s_mov_b64 s[10:11], -1
.LBB63_297:
	s_andn2_b64 vcc, exec, s[12:13]
	s_cbranch_vccnz .LBB63_305
; %bb.298:
	v_mov_b32_e32 v20, 14
	v_cmp_gt_i16_sdwa s[14:15], s91, v20 src0_sel:BYTE_0 src1_sel:DWORD
	s_mov_b64 s[12:13], -1
	s_and_b64 vcc, exec, s[14:15]
	s_cbranch_vccz .LBB63_302
; %bb.299:
	v_mov_b32_e32 v20, 15
	v_cmp_eq_u16_sdwa s[12:13], s91, v20 src0_sel:BYTE_0 src1_sel:DWORD
	s_mov_b64 s[8:9], -1
	s_and_b64 vcc, exec, s[12:13]
	s_cbranch_vccz .LBB63_301
; %bb.300:
	global_store_short v[6:7], v14, off
	s_mov_b64 s[10:11], -1
	s_mov_b64 s[8:9], 0
.LBB63_301:
	s_mov_b64 s[12:13], 0
.LBB63_302:
	s_and_b64 vcc, exec, s[12:13]
	s_cbranch_vccz .LBB63_305
; %bb.303:
	v_mov_b32_e32 v20, 11
	v_cmp_eq_u16_sdwa s[12:13], s91, v20 src0_sel:BYTE_0 src1_sel:DWORD
	s_mov_b64 s[8:9], -1
	s_and_b64 vcc, exec, s[12:13]
	s_cbranch_vccz .LBB63_305
; %bb.304:
	s_mov_b64 s[10:11], -1
	s_mov_b64 s[8:9], 0
	global_store_byte v[6:7], v12, off
.LBB63_305:
	s_mov_b64 s[12:13], 0
.LBB63_306:
	s_and_b64 vcc, exec, s[12:13]
	s_cbranch_vccz .LBB63_345
; %bb.307:
	v_mov_b32_e32 v20, 5
	v_cmp_lt_i16_sdwa s[12:13], s91, v20 src0_sel:BYTE_0 src1_sel:DWORD
	s_mov_b64 s[10:11], -1
	s_and_b64 vcc, exec, s[12:13]
	s_cbranch_vccnz .LBB63_328
; %bb.308:
	v_mov_b32_e32 v20, 8
	v_cmp_lt_i16_sdwa s[12:13], s91, v20 src0_sel:BYTE_0 src1_sel:DWORD
	s_and_b64 vcc, exec, s[12:13]
	s_cbranch_vccnz .LBB63_318
; %bb.309:
	v_mov_b32_e32 v20, 9
	v_cmp_lt_i16_sdwa s[12:13], s91, v20 src0_sel:BYTE_0 src1_sel:DWORD
	s_and_b64 vcc, exec, s[12:13]
	s_cbranch_vccnz .LBB63_315
; %bb.310:
	v_cmp_gt_i16_sdwa s[12:13], s91, v20 src0_sel:BYTE_0 src1_sel:DWORD
	s_and_b64 vcc, exec, s[12:13]
	s_cbranch_vccz .LBB63_312
; %bb.311:
	v_mov_b32_e32 v20, s18
	v_mov_b32_e32 v21, s19
	;; [unrolled: 1-line block ×4, first 2 shown]
	s_mov_b64 s[10:11], 0
	global_store_dwordx4 v[6:7], v[20:23], off
.LBB63_312:
	s_andn2_b64 vcc, exec, s[10:11]
	s_cbranch_vccnz .LBB63_314
; %bb.313:
	global_store_dwordx2 v[6:7], v[2:3], off
.LBB63_314:
	s_mov_b64 s[10:11], 0
.LBB63_315:
	s_andn2_b64 vcc, exec, s[10:11]
	s_cbranch_vccnz .LBB63_317
; %bb.316:
	global_store_dword v[6:7], v11, off
.LBB63_317:
	s_mov_b64 s[10:11], 0
.LBB63_318:
	s_andn2_b64 vcc, exec, s[10:11]
	s_cbranch_vccnz .LBB63_327
; %bb.319:
	v_mov_b32_e32 v20, 6
	v_cmp_lt_i16_sdwa s[12:13], s91, v20 src0_sel:BYTE_0 src1_sel:DWORD
	s_mov_b64 s[10:11], -1
	s_and_b64 vcc, exec, s[12:13]
	s_cbranch_vccnz .LBB63_325
; %bb.320:
	v_cmp_gt_i16_sdwa s[12:13], s91, v20 src0_sel:BYTE_0 src1_sel:DWORD
	s_and_b64 vcc, exec, s[12:13]
	s_cbranch_vccz .LBB63_322
; %bb.321:
	v_pk_mov_b32 v[20:21], s[18:19], s[18:19] op_sel:[0,1]
	s_mov_b64 s[10:11], 0
	global_store_dwordx2 v[6:7], v[20:21], off
.LBB63_322:
	s_andn2_b64 vcc, exec, s[10:11]
	s_cbranch_vccnz .LBB63_324
; %bb.323:
	global_store_dword v[6:7], v2, off
.LBB63_324:
	s_mov_b64 s[10:11], 0
.LBB63_325:
	s_andn2_b64 vcc, exec, s[10:11]
	s_cbranch_vccnz .LBB63_327
; %bb.326:
	global_store_short v[6:7], v10, off
.LBB63_327:
	s_mov_b64 s[10:11], 0
.LBB63_328:
	s_andn2_b64 vcc, exec, s[10:11]
	s_cbranch_vccnz .LBB63_344
; %bb.329:
	v_mov_b32_e32 v20, 2
	v_cmp_lt_i16_sdwa s[12:13], s91, v20 src0_sel:BYTE_0 src1_sel:DWORD
	s_mov_b64 s[10:11], -1
	s_and_b64 vcc, exec, s[12:13]
	s_cbranch_vccnz .LBB63_339
; %bb.330:
	v_mov_b32_e32 v20, 3
	v_cmp_lt_i16_sdwa s[12:13], s91, v20 src0_sel:BYTE_0 src1_sel:DWORD
	s_and_b64 vcc, exec, s[12:13]
	s_cbranch_vccnz .LBB63_336
; %bb.331:
	v_cmp_gt_i16_sdwa s[12:13], s91, v20 src0_sel:BYTE_0 src1_sel:DWORD
	s_and_b64 vcc, exec, s[12:13]
	s_cbranch_vccz .LBB63_333
; %bb.332:
	s_mov_b64 s[10:11], 0
	global_store_dwordx2 v[6:7], v[4:5], off
.LBB63_333:
	s_andn2_b64 vcc, exec, s[10:11]
	s_cbranch_vccnz .LBB63_335
; %bb.334:
	global_store_dword v[6:7], v8, off
.LBB63_335:
	s_mov_b64 s[10:11], 0
.LBB63_336:
	s_andn2_b64 vcc, exec, s[10:11]
	s_cbranch_vccnz .LBB63_338
; %bb.337:
	global_store_short v[6:7], v8, off
.LBB63_338:
	s_mov_b64 s[10:11], 0
.LBB63_339:
	s_andn2_b64 vcc, exec, s[10:11]
	s_cbranch_vccnz .LBB63_344
; %bb.340:
	v_mov_b32_e32 v20, 0
	v_cmp_gt_i16_sdwa s[12:13], s91, v20 src0_sel:BYTE_0 src1_sel:DWORD
	s_mov_b64 s[10:11], -1
	s_and_b64 vcc, exec, s[12:13]
	s_cbranch_vccz .LBB63_342
; %bb.341:
	s_mov_b64 s[10:11], 0
	global_store_byte v[6:7], v8, off
.LBB63_342:
	s_andn2_b64 vcc, exec, s[10:11]
	s_cbranch_vccnz .LBB63_344
; %bb.343:
	global_store_byte v[6:7], v0, off
.LBB63_344:
	s_mov_b64 s[10:11], -1
.LBB63_345:
	s_andn2_b64 vcc, exec, s[10:11]
	s_cbranch_vccnz .LBB63_347
; %bb.346:
	v_add_u32_e32 v9, 0x80, v9
	s_mov_b64 s[10:11], -1
	s_branch .LBB63_348
.LBB63_347:
	s_mov_b64 s[10:11], 0
                                        ; implicit-def: $vgpr9
.LBB63_348:
	s_andn2_b64 s[12:13], s[72:73], exec
	s_and_b64 s[8:9], s[8:9], exec
	s_or_b64 s[78:79], s[12:13], s[8:9]
	s_orn2_b64 s[10:11], s[10:11], exec
.LBB63_349:
	s_or_b64 exec, exec, s[76:77]
	s_mov_b64 s[8:9], 0
	s_mov_b64 s[14:15], 0
                                        ; implicit-def: $vgpr20
                                        ; implicit-def: $vgpr6_vgpr7
	s_and_saveexec_b64 s[76:77], s[10:11]
	s_cbranch_execz .LBB63_420
; %bb.350:
	v_cmp_gt_i32_e32 vcc, s92, v9
	s_mov_b64 s[10:11], 0
	s_mov_b64 s[12:13], s[78:79]
                                        ; implicit-def: $vgpr20
                                        ; implicit-def: $vgpr6_vgpr7
	s_and_saveexec_b64 s[80:81], vcc
	s_cbranch_execz .LBB63_419
; %bb.351:
	s_andn2_b64 vcc, exec, s[38:39]
	s_cbranch_vccnz .LBB63_356
; %bb.352:
	s_andn2_b64 vcc, exec, s[66:67]
	s_cbranch_vccnz .LBB63_357
; %bb.353:
	s_add_i32 s93, s93, 1
	s_mov_b32 s92, 0
	s_cmp_eq_u32 s82, 2
	v_mov_b32_e32 v6, 0
	s_cbranch_scc1 .LBB63_358
; %bb.354:
	s_and_b32 s92, s93, 28
	s_mov_b32 s94, 0
	v_mov_b32_e32 v6, 0
	s_mov_b64 s[66:67], s[34:35]
	v_mov_b32_e32 v20, v9
.LBB63_355:                             ; =>This Inner Loop Header: Depth=1
	s_load_dwordx8 s[8:15], s[66:67], 0x4
	s_load_dwordx4 s[24:27], s[66:67], 0x24
	s_load_dwordx4 s[28:31], s[64:65], 0x0
	s_add_u32 s66, s66, 48
	s_addc_u32 s67, s67, 0
	s_waitcnt lgkmcnt(0)
	v_mul_hi_u32 v7, s9, v20
	v_add_u32_e32 v7, v20, v7
	v_lshrrev_b32_e32 v7, s10, v7
	v_mul_lo_u32 v21, v7, s8
	v_mul_hi_u32 v22, s12, v7
	v_sub_u32_e32 v20, v20, v21
	v_add_u32_e32 v21, v7, v22
	v_lshrrev_b32_e32 v21, s13, v21
	v_mul_lo_u32 v22, v21, s11
	v_mul_hi_u32 v23, s15, v21
	v_sub_u32_e32 v7, v7, v22
	v_add_u32_e32 v22, v21, v23
	v_mul_lo_u32 v20, v20, s28
	v_mul_lo_u32 v7, v7, s29
	v_lshrrev_b32_e32 v22, s24, v22
	v_add3_u32 v6, v20, v6, v7
	v_mul_hi_u32 v20, s26, v22
	v_add_u32_e32 v20, v22, v20
	v_mul_lo_u32 v7, v22, s14
	v_lshrrev_b32_e32 v20, s27, v20
	s_add_i32 s94, s94, 4
	v_sub_u32_e32 v7, v21, v7
	v_mul_lo_u32 v21, v20, s25
	s_add_u32 s64, s64, 16
	v_sub_u32_e32 v21, v22, v21
	s_addc_u32 s65, s65, 0
	v_mul_lo_u32 v7, v7, s30
	v_mul_lo_u32 v21, v21, s31
	s_cmp_eq_u32 s92, s94
	v_add3_u32 v6, v7, v6, v21
	s_cbranch_scc0 .LBB63_355
	s_branch .LBB63_359
.LBB63_356:
	s_mov_b64 s[8:9], -1
                                        ; implicit-def: $vgpr6
	s_branch .LBB63_363
.LBB63_357:
	v_mov_b32_e32 v6, 0
	s_branch .LBB63_362
.LBB63_358:
	v_mov_b32_e32 v20, v9
.LBB63_359:
	s_and_b32 s12, s93, 3
	s_cmp_eq_u32 s12, 0
	s_cbranch_scc1 .LBB63_362
; %bb.360:
	s_lshl_b32 s8, s92, 2
	s_add_u32 s8, s8, s34
	s_addc_u32 s9, s35, 0
	s_add_u32 s8, s8, 0xc4
	s_addc_u32 s9, s9, 0
	s_mul_i32 s10, s92, 12
	s_add_u32 s10, s34, s10
	s_addc_u32 s11, s35, 0
.LBB63_361:                             ; =>This Inner Loop Header: Depth=1
	s_load_dwordx2 s[14:15], s[10:11], 0x4
	s_load_dword s13, s[10:11], 0xc
	s_load_dword s24, s[8:9], 0x0
	s_add_u32 s10, s10, 12
	s_addc_u32 s11, s11, 0
	s_waitcnt lgkmcnt(0)
	v_mul_hi_u32 v7, s15, v20
	v_add_u32_e32 v7, v20, v7
	v_lshrrev_b32_e32 v7, s13, v7
	s_add_u32 s8, s8, 4
	v_mul_lo_u32 v21, v7, s14
	s_addc_u32 s9, s9, 0
	s_add_i32 s12, s12, -1
	v_sub_u32_e32 v21, v20, v21
	s_cmp_lg_u32 s12, 0
	v_mov_b32_e32 v20, v7
	v_mad_u64_u32 v[6:7], s[14:15], v21, s24, v[6:7]
	s_cbranch_scc1 .LBB63_361
.LBB63_362:
	s_mov_b64 s[8:9], 0
.LBB63_363:
	s_andn2_b64 vcc, exec, s[8:9]
	s_cbranch_vccnz .LBB63_366
; %bb.364:
	v_mul_hi_u32 v6, s21, v9
	v_add_u32_e32 v6, v9, v6
	v_lshrrev_b32_e32 v7, s22, v6
	v_mul_lo_u32 v6, v7, s20
	v_sub_u32_e32 v6, v9, v6
	s_andn2_b64 vcc, exec, s[62:63]
	v_mul_lo_u32 v6, v6, s58
	s_cbranch_vccnz .LBB63_366
; %bb.365:
	v_mul_hi_u32 v9, s60, v7
	v_add_u32_e32 v9, v7, v9
	v_lshrrev_b32_e32 v9, s61, v9
	v_mul_lo_u32 v9, v9, s23
	v_sub_u32_e32 v7, v7, v9
	v_mad_u64_u32 v[6:7], s[8:9], v7, s59, v[6:7]
.LBB63_366:
	v_mov_b32_e32 v7, s17
	v_add_co_u32_e32 v6, vcc, s16, v6
	v_mov_b32_e32 v9, 0xff
	v_addc_co_u32_e32 v7, vcc, 0, v7, vcc
	v_and_b32_e32 v20, s91, v9
	v_cmp_gt_i16_e32 vcc, 11, v20
	s_cbranch_vccnz .LBB63_416
; %bb.367:
	v_cmp_lt_i16_e32 vcc, 25, v20
	s_mov_b64 s[10:11], -1
	s_mov_b64 s[8:9], s[78:79]
	s_cbranch_vccz .LBB63_395
; %bb.368:
	v_cmp_lt_i16_e32 vcc, 28, v20
	s_mov_b64 s[8:9], s[78:79]
	s_cbranch_vccz .LBB63_382
; %bb.369:
	v_cmp_lt_i16_e32 vcc, 43, v20
	;; [unrolled: 4-line block ×3, first 2 shown]
	s_mov_b64 s[8:9], s[78:79]
	s_cbranch_vccz .LBB63_374
; %bb.371:
	v_cmp_eq_u16_e32 vcc, 46, v20
	s_mov_b64 s[8:9], -1
	s_cbranch_vccz .LBB63_373
; %bb.372:
	global_store_dword v[6:7], v19, off
	s_mov_b64 s[8:9], 0
.LBB63_373:
	s_mov_b64 s[10:11], 0
.LBB63_374:
	s_and_b64 vcc, exec, s[10:11]
	s_cbranch_vccz .LBB63_377
; %bb.375:
	v_cmp_eq_u16_e32 vcc, 44, v20
	s_mov_b64 s[8:9], -1
	s_cbranch_vccz .LBB63_377
; %bb.376:
	v_mov_b32_e32 v9, 0xff
	v_cndmask_b32_e64 v9, v18, v9, s[4:5]
	global_store_byte v[6:7], v9, off
	s_mov_b64 s[8:9], 0
.LBB63_377:
	s_mov_b64 s[10:11], 0
.LBB63_378:
	s_and_b64 vcc, exec, s[10:11]
	s_cbranch_vccz .LBB63_381
; %bb.379:
	v_cmp_eq_u16_e32 vcc, 29, v20
	s_mov_b64 s[8:9], -1
	s_cbranch_vccz .LBB63_381
; %bb.380:
	global_store_dwordx2 v[6:7], v[0:1], off
	s_mov_b64 s[8:9], 0
.LBB63_381:
	s_mov_b64 s[10:11], 0
.LBB63_382:
	s_and_b64 vcc, exec, s[10:11]
	s_cbranch_vccz .LBB63_394
; %bb.383:
	v_cmp_gt_i16_e32 vcc, 27, v20
	s_mov_b64 s[4:5], -1
	s_cbranch_vccnz .LBB63_389
; %bb.384:
	v_cmp_lt_i16_e32 vcc, 27, v20
	s_cbranch_vccz .LBB63_386
; %bb.385:
	s_mov_b64 s[4:5], 0
	global_store_dword v[6:7], v17, off
.LBB63_386:
	s_andn2_b64 vcc, exec, s[4:5]
	s_cbranch_vccnz .LBB63_388
; %bb.387:
	global_store_short v[6:7], v17, off
.LBB63_388:
	s_mov_b64 s[4:5], 0
.LBB63_389:
	s_andn2_b64 vcc, exec, s[4:5]
	s_cbranch_vccnz .LBB63_394
; %bb.390:
	s_andn2_b64 vcc, exec, s[54:55]
	v_mov_b32_e32 v1, 0x80
	s_cbranch_vccnz .LBB63_393
; %bb.391:
	s_or_b64 s[4:5], s[2:3], s[56:57]
	s_andn2_b64 vcc, exec, s[4:5]
	v_mov_b32_e32 v1, 0
	s_cbranch_vccnz .LBB63_393
; %bb.392:
	v_mov_b32_e32 v1, s90
	v_cndmask_b32_e64 v1, v16, v1, s[2:3]
	v_or_b32_e32 v1, v1, v13
.LBB63_393:
	global_store_byte v[6:7], v1, off
.LBB63_394:
	s_mov_b64 s[10:11], 0
.LBB63_395:
	s_mov_b64 s[2:3], 0
	s_and_b64 vcc, exec, s[10:11]
	s_cbranch_vccz .LBB63_417
; %bb.396:
	v_cmp_lt_i16_e32 vcc, 22, v20
	s_mov_b64 s[4:5], -1
	s_cbranch_vccz .LBB63_409
; %bb.397:
	v_cmp_gt_i16_e32 vcc, 24, v20
	s_cbranch_vccnz .LBB63_406
; %bb.398:
	v_cmp_lt_i16_e32 vcc, 24, v20
	s_cbranch_vccz .LBB63_403
; %bb.399:
	s_andn2_b64 vcc, exec, s[50:51]
	v_mov_b32_e32 v1, 0x80
	s_cbranch_vccnz .LBB63_402
; %bb.400:
	s_or_b64 s[4:5], s[0:1], s[52:53]
	s_andn2_b64 vcc, exec, s[4:5]
	v_mov_b32_e32 v1, 0
	s_cbranch_vccnz .LBB63_402
; %bb.401:
	v_mov_b32_e32 v1, s88
	v_cndmask_b32_e64 v1, v15, v1, s[0:1]
	v_or_b32_e32 v1, v1, v13
.LBB63_402:
	s_mov_b64 s[4:5], 0
	global_store_byte v[6:7], v1, off
.LBB63_403:
	s_and_b64 vcc, exec, s[4:5]
	s_cbranch_vccz .LBB63_405
; %bb.404:
	s_and_b64 s[0:1], s[48:49], exec
	s_cselect_b32 s4, s87, s86
	s_and_b64 s[0:1], s[46:47], exec
	s_cselect_b32 s0, s89, s4
	v_or_b32_e32 v1, s0, v13
	global_store_byte v[6:7], v1, off
.LBB63_405:
	s_mov_b64 s[4:5], 0
.LBB63_406:
	s_andn2_b64 vcc, exec, s[4:5]
	s_cbranch_vccnz .LBB63_408
; %bb.407:
	s_and_b64 s[0:1], s[44:45], exec
	s_cselect_b32 s4, s84, s83
	s_and_b64 s[0:1], s[42:43], exec
	s_cselect_b32 s0, s85, s4
	v_or_b32_e32 v1, s0, v13
	global_store_byte v[6:7], v1, off
.LBB63_408:
	s_mov_b64 s[4:5], 0
.LBB63_409:
	s_andn2_b64 vcc, exec, s[4:5]
	s_mov_b64 s[0:1], 0
	s_cbranch_vccnz .LBB63_418
; %bb.410:
	v_cmp_lt_i16_e32 vcc, 14, v20
	s_mov_b64 s[4:5], -1
	s_cbranch_vccz .LBB63_414
; %bb.411:
	v_cmp_eq_u16_e32 vcc, 15, v20
	s_mov_b64 s[8:9], -1
	s_cbranch_vccz .LBB63_413
; %bb.412:
	global_store_short v[6:7], v14, off
	s_mov_b64 s[8:9], 0
.LBB63_413:
	s_mov_b64 s[4:5], 0
.LBB63_414:
	s_and_b64 vcc, exec, s[4:5]
	s_cbranch_vccz .LBB63_418
; %bb.415:
	v_cmp_ne_u16_e32 vcc, 11, v20
	s_andn2_b64 s[4:5], s[8:9], exec
	s_and_b64 s[8:9], vcc, exec
	s_mov_b64 s[0:1], -1
	s_or_b64 s[8:9], s[4:5], s[8:9]
	s_branch .LBB63_418
.LBB63_416:
	s_mov_b64 s[0:1], 0
	s_mov_b64 s[2:3], -1
	s_mov_b64 s[8:9], s[78:79]
	s_branch .LBB63_418
.LBB63_417:
	s_mov_b64 s[0:1], 0
.LBB63_418:
	s_and_b64 s[14:15], s[2:3], exec
	s_and_b64 s[10:11], s[0:1], exec
	s_andn2_b64 s[0:1], s[78:79], exec
	s_and_b64 s[2:3], s[8:9], exec
	s_or_b64 s[12:13], s[0:1], s[2:3]
.LBB63_419:
	s_or_b64 exec, exec, s[80:81]
	s_andn2_b64 s[0:1], s[78:79], exec
	s_and_b64 s[2:3], s[12:13], exec
	s_and_b64 s[14:15], s[14:15], exec
	;; [unrolled: 1-line block ×3, first 2 shown]
	s_or_b64 s[78:79], s[0:1], s[2:3]
.LBB63_420:
	s_or_b64 exec, exec, s[76:77]
	s_andn2_b64 s[0:1], s[72:73], exec
	s_and_b64 s[2:3], s[78:79], exec
	s_and_b64 s[12:13], s[14:15], exec
	;; [unrolled: 1-line block ×3, first 2 shown]
	s_or_b64 s[72:73], s[0:1], s[2:3]
.LBB63_421:
	s_or_b64 exec, exec, s[74:75]
	s_andn2_b64 s[0:1], s[68:69], exec
	s_and_b64 s[2:3], s[72:73], exec
	s_and_b64 s[8:9], s[12:13], exec
	s_and_b64 s[74:75], s[10:11], exec
	s_or_b64 s[68:69], s[0:1], s[2:3]
	s_or_b64 exec, exec, s[70:71]
	s_mov_b64 s[0:1], 0
	s_and_saveexec_b64 s[2:3], s[68:69]
	s_cbranch_execz .LBB63_122
.LBB63_422:
	s_mov_b64 s[0:1], exec
	s_andn2_b64 s[74:75], s[74:75], exec
	s_trap 2
	s_or_b64 exec, exec, s[2:3]
	s_and_saveexec_b64 s[2:3], s[74:75]
	s_xor_b64 s[2:3], exec, s[2:3]
	s_cbranch_execnz .LBB63_123
.LBB63_423:
	s_or_b64 exec, exec, s[2:3]
	s_and_saveexec_b64 s[2:3], s[8:9]
	s_xor_b64 s[2:3], exec, s[2:3]
	s_cbranch_execz .LBB63_461
.LBB63_424:
	v_cmp_gt_i16_e32 vcc, 5, v20
	s_mov_b64 s[4:5], -1
	s_cbranch_vccnz .LBB63_445
; %bb.425:
	v_cmp_gt_i16_e32 vcc, 8, v20
	s_cbranch_vccnz .LBB63_435
; %bb.426:
	v_cmp_gt_i16_e32 vcc, 9, v20
	s_cbranch_vccnz .LBB63_432
; %bb.427:
	v_cmp_lt_i16_e32 vcc, 9, v20
	s_cbranch_vccz .LBB63_429
; %bb.428:
	v_mov_b32_e32 v12, s18
	v_mov_b32_e32 v13, s19
	;; [unrolled: 1-line block ×4, first 2 shown]
	s_mov_b64 s[4:5], 0
	global_store_dwordx4 v[6:7], v[12:15], off
.LBB63_429:
	s_andn2_b64 vcc, exec, s[4:5]
	s_cbranch_vccnz .LBB63_431
; %bb.430:
	global_store_dwordx2 v[6:7], v[2:3], off
.LBB63_431:
	s_mov_b64 s[4:5], 0
.LBB63_432:
	s_andn2_b64 vcc, exec, s[4:5]
	s_cbranch_vccnz .LBB63_434
; %bb.433:
	global_store_dword v[6:7], v11, off
.LBB63_434:
	s_mov_b64 s[4:5], 0
.LBB63_435:
	s_andn2_b64 vcc, exec, s[4:5]
	s_cbranch_vccnz .LBB63_444
; %bb.436:
	v_cmp_gt_i16_e32 vcc, 6, v20
	s_mov_b64 s[4:5], -1
	s_cbranch_vccnz .LBB63_442
; %bb.437:
	v_cmp_lt_i16_e32 vcc, 6, v20
	s_cbranch_vccz .LBB63_439
; %bb.438:
	v_pk_mov_b32 v[12:13], s[18:19], s[18:19] op_sel:[0,1]
	s_mov_b64 s[4:5], 0
	global_store_dwordx2 v[6:7], v[12:13], off
.LBB63_439:
	s_andn2_b64 vcc, exec, s[4:5]
	s_cbranch_vccnz .LBB63_441
; %bb.440:
	global_store_dword v[6:7], v2, off
.LBB63_441:
	s_mov_b64 s[4:5], 0
.LBB63_442:
	s_andn2_b64 vcc, exec, s[4:5]
	s_cbranch_vccnz .LBB63_444
; %bb.443:
	global_store_short v[6:7], v10, off
.LBB63_444:
	s_mov_b64 s[4:5], 0
.LBB63_445:
	s_andn2_b64 vcc, exec, s[4:5]
	s_cbranch_vccnz .LBB63_461
; %bb.446:
	v_cmp_gt_i16_e32 vcc, 2, v20
	s_mov_b64 s[4:5], -1
	s_cbranch_vccnz .LBB63_456
; %bb.447:
	v_cmp_gt_i16_e32 vcc, 3, v20
	s_cbranch_vccnz .LBB63_453
; %bb.448:
	v_cmp_lt_i16_e32 vcc, 3, v20
	s_cbranch_vccz .LBB63_450
; %bb.449:
	s_mov_b64 s[4:5], 0
	global_store_dwordx2 v[6:7], v[4:5], off
.LBB63_450:
	s_andn2_b64 vcc, exec, s[4:5]
	s_cbranch_vccnz .LBB63_452
; %bb.451:
	global_store_dword v[6:7], v8, off
.LBB63_452:
	s_mov_b64 s[4:5], 0
.LBB63_453:
	s_andn2_b64 vcc, exec, s[4:5]
	s_cbranch_vccnz .LBB63_455
; %bb.454:
	global_store_short v[6:7], v8, off
.LBB63_455:
	s_mov_b64 s[4:5], 0
.LBB63_456:
	s_andn2_b64 vcc, exec, s[4:5]
	s_cbranch_vccnz .LBB63_461
; %bb.457:
	v_cmp_lt_i16_e32 vcc, 0, v20
	s_mov_b64 s[4:5], -1
	s_cbranch_vccz .LBB63_459
; %bb.458:
	s_mov_b64 s[4:5], 0
	global_store_byte v[6:7], v8, off
.LBB63_459:
	s_andn2_b64 vcc, exec, s[4:5]
	s_cbranch_vccnz .LBB63_461
; %bb.460:
	global_store_byte v[6:7], v0, off
.LBB63_461:
	s_or_b64 exec, exec, s[2:3]
	s_and_b64 s[20:21], s[0:1], exec
                                        ; implicit-def: $vgpr8
                                        ; implicit-def: $vgpr9
.LBB63_462:
	s_or_saveexec_b64 s[22:23], s[6:7]
	s_mov_b64 s[0:1], 0
                                        ; implicit-def: $sgpr24
                                        ; implicit-def: $vgpr0_vgpr1
                                        ; implicit-def: $sgpr2_sgpr3
                                        ; implicit-def: $sgpr4_sgpr5_sgpr6_sgpr7
	s_xor_b64 exec, exec, s[22:23]
	s_cbranch_execz .LBB63_951
; %bb.463:
	v_cndmask_b32_e64 v0, 0, 1, s[38:39]
	v_cmp_ne_u32_e64 s[0:1], 1, v0
	s_andn2_b64 vcc, exec, s[38:39]
	s_cbranch_vccnz .LBB63_469
; %bb.464:
	s_mov_b32 s26, 0
	s_cmp_eq_u32 s33, 0
	v_mov_b32_e32 v6, 0
	s_cbranch_scc1 .LBB63_473
; %bb.465:
	s_min_u32 s27, s82, 15
	s_add_i32 s27, s27, 1
	s_cmp_eq_u32 s82, 2
	v_mov_b32_e32 v6, 0
	s_cbranch_scc1 .LBB63_470
; %bb.466:
	s_add_u32 s2, s34, 0xc4
	s_addc_u32 s3, s35, 0
	s_and_b32 s26, s27, 28
	s_mov_b32 s28, 0
	v_mov_b32_e32 v6, 0
	s_mov_b64 s[24:25], s[34:35]
	v_mov_b32_e32 v0, v9
.LBB63_467:                             ; =>This Inner Loop Header: Depth=1
	s_load_dwordx8 s[4:11], s[24:25], 0x4
	s_load_dwordx4 s[12:15], s[24:25], 0x24
	s_load_dwordx4 s[16:19], s[2:3], 0x0
	s_add_u32 s24, s24, 48
	s_addc_u32 s25, s25, 0
	s_waitcnt lgkmcnt(0)
	v_mul_hi_u32 v1, s5, v0
	v_add_u32_e32 v1, v0, v1
	v_lshrrev_b32_e32 v1, s6, v1
	v_mul_lo_u32 v2, v1, s4
	v_mul_hi_u32 v3, s8, v1
	v_sub_u32_e32 v0, v0, v2
	v_add_u32_e32 v2, v1, v3
	v_lshrrev_b32_e32 v2, s9, v2
	v_mul_lo_u32 v3, v2, s7
	v_mul_hi_u32 v4, s11, v2
	v_sub_u32_e32 v1, v1, v3
	v_add_u32_e32 v3, v2, v4
	v_mul_lo_u32 v0, v0, s16
	v_mul_lo_u32 v1, v1, s17
	v_lshrrev_b32_e32 v3, s12, v3
	v_add3_u32 v1, v0, v6, v1
	v_mul_lo_u32 v0, v3, s10
	v_mul_hi_u32 v4, s14, v3
	v_sub_u32_e32 v0, v2, v0
	v_add_u32_e32 v2, v3, v4
	v_mul_lo_u32 v4, v0, s18
	v_lshrrev_b32_e32 v0, s15, v2
	s_add_i32 s28, s28, 4
	v_mul_lo_u32 v2, v0, s13
	s_add_u32 s2, s2, 16
	v_sub_u32_e32 v2, v3, v2
	s_addc_u32 s3, s3, 0
	v_mul_lo_u32 v2, v2, s19
	s_cmp_lg_u32 s26, s28
	v_add3_u32 v6, v4, v1, v2
	s_cbranch_scc1 .LBB63_467
; %bb.468:
	s_and_b32 s6, s27, 3
	s_cmp_eq_u32 s6, 0
	s_cbranch_scc0 .LBB63_471
	s_branch .LBB63_473
.LBB63_469:
                                        ; implicit-def: $vgpr6
	s_branch .LBB63_474
.LBB63_470:
	v_mov_b32_e32 v0, v9
	s_and_b32 s6, s27, 3
	s_cmp_eq_u32 s6, 0
	s_cbranch_scc1 .LBB63_473
.LBB63_471:
	s_lshl_b32 s2, s26, 2
	s_add_u32 s2, s2, s34
	s_addc_u32 s3, 0, s35
	s_add_u32 s2, s2, 0xc4
	s_addc_u32 s3, s3, 0
	s_mul_i32 s4, s26, 12
	s_add_u32 s4, s34, s4
	s_addc_u32 s5, 0, s35
.LBB63_472:                             ; =>This Inner Loop Header: Depth=1
	s_load_dwordx2 s[8:9], s[4:5], 0x4
	s_load_dword s7, s[4:5], 0xc
	s_load_dword s10, s[2:3], 0x0
	s_add_u32 s4, s4, 12
	s_addc_u32 s5, s5, 0
	s_waitcnt lgkmcnt(0)
	v_mul_hi_u32 v1, s9, v0
	v_add_u32_e32 v1, v0, v1
	v_lshrrev_b32_e32 v1, s7, v1
	s_add_u32 s2, s2, 4
	v_mul_lo_u32 v2, v1, s8
	s_addc_u32 s3, s3, 0
	s_add_i32 s6, s6, -1
	v_sub_u32_e32 v2, v0, v2
	s_cmp_lg_u32 s6, 0
	v_mov_b32_e32 v0, v1
	v_mad_u64_u32 v[6:7], s[8:9], v2, s10, v[6:7]
	s_cbranch_scc1 .LBB63_472
.LBB63_473:
	s_cbranch_execnz .LBB63_476
.LBB63_474:
	s_load_dwordx4 s[4:7], s[34:35], 0x4
	s_load_dword s2, s[34:35], 0xc4
	s_cmp_lt_u32 s33, 2
	s_waitcnt lgkmcnt(0)
	v_mul_hi_u32 v0, s5, v9
	v_add_u32_e32 v0, v9, v0
	v_lshrrev_b32_e32 v0, s6, v0
	v_mul_lo_u32 v1, v0, s4
	v_sub_u32_e32 v1, v9, v1
	v_mul_lo_u32 v6, v1, s2
	s_cbranch_scc1 .LBB63_476
; %bb.475:
	s_load_dwordx4 s[4:7], s[34:35], 0x10
	s_load_dword s2, s[34:35], 0xc8
	s_waitcnt lgkmcnt(0)
	v_mul_hi_u32 v1, s5, v0
	v_add_u32_e32 v1, v0, v1
	v_lshrrev_b32_e32 v1, s6, v1
	v_mul_lo_u32 v1, v1, s4
	v_sub_u32_e32 v0, v0, v1
	v_mad_u64_u32 v[6:7], s[2:3], v0, s2, v[6:7]
.LBB63_476:
	s_and_b64 vcc, exec, s[0:1]
	v_add_u32_e32 v0, 0x80, v9
	s_cbranch_vccnz .LBB63_482
; %bb.477:
	s_mov_b32 s26, 0
	s_cmp_eq_u32 s33, 0
	v_mov_b32_e32 v4, 0
	s_cbranch_scc1 .LBB63_486
; %bb.478:
	s_min_u32 s27, s82, 15
	s_add_i32 s27, s27, 1
	s_cmp_eq_u32 s82, 2
	v_mov_b32_e32 v4, 0
	s_cbranch_scc1 .LBB63_483
; %bb.479:
	s_add_u32 s2, s34, 0xc4
	s_addc_u32 s3, s35, 0
	s_and_b32 s26, s27, 28
	s_mov_b32 s28, 0
	v_mov_b32_e32 v4, 0
	s_mov_b64 s[24:25], s[34:35]
	v_mov_b32_e32 v1, v0
.LBB63_480:                             ; =>This Inner Loop Header: Depth=1
	s_load_dwordx8 s[4:11], s[24:25], 0x4
	s_load_dwordx4 s[12:15], s[24:25], 0x24
	s_load_dwordx4 s[16:19], s[2:3], 0x0
	s_add_u32 s24, s24, 48
	s_addc_u32 s25, s25, 0
	s_waitcnt lgkmcnt(0)
	v_mul_hi_u32 v2, s5, v1
	v_add_u32_e32 v2, v1, v2
	v_lshrrev_b32_e32 v2, s6, v2
	v_mul_lo_u32 v3, v2, s4
	v_mul_hi_u32 v5, s8, v2
	v_sub_u32_e32 v1, v1, v3
	v_add_u32_e32 v3, v2, v5
	v_lshrrev_b32_e32 v3, s9, v3
	v_mul_lo_u32 v5, v3, s7
	v_mul_hi_u32 v7, s11, v3
	v_sub_u32_e32 v2, v2, v5
	v_add_u32_e32 v5, v3, v7
	v_mul_lo_u32 v1, v1, s16
	v_mul_lo_u32 v2, v2, s17
	v_lshrrev_b32_e32 v5, s12, v5
	v_add3_u32 v2, v1, v4, v2
	v_mul_lo_u32 v1, v5, s10
	v_mul_hi_u32 v4, s14, v5
	v_sub_u32_e32 v1, v3, v1
	v_add_u32_e32 v3, v5, v4
	v_mul_lo_u32 v4, v1, s18
	v_lshrrev_b32_e32 v1, s15, v3
	s_add_i32 s28, s28, 4
	v_mul_lo_u32 v3, v1, s13
	s_add_u32 s2, s2, 16
	v_sub_u32_e32 v3, v5, v3
	s_addc_u32 s3, s3, 0
	v_mul_lo_u32 v3, v3, s19
	s_cmp_lg_u32 s26, s28
	v_add3_u32 v4, v4, v2, v3
	s_cbranch_scc1 .LBB63_480
; %bb.481:
	s_and_b32 s6, s27, 3
	s_cmp_eq_u32 s6, 0
	s_cbranch_scc0 .LBB63_484
	s_branch .LBB63_486
.LBB63_482:
                                        ; implicit-def: $vgpr4
	s_branch .LBB63_487
.LBB63_483:
	v_mov_b32_e32 v1, v0
	s_and_b32 s6, s27, 3
	s_cmp_eq_u32 s6, 0
	s_cbranch_scc1 .LBB63_486
.LBB63_484:
	s_lshl_b32 s2, s26, 2
	s_add_u32 s2, s2, s34
	s_addc_u32 s3, 0, s35
	s_add_u32 s2, s2, 0xc4
	s_addc_u32 s3, s3, 0
	s_mul_i32 s4, s26, 12
	s_add_u32 s4, s34, s4
	s_addc_u32 s5, 0, s35
.LBB63_485:                             ; =>This Inner Loop Header: Depth=1
	s_load_dwordx2 s[8:9], s[4:5], 0x4
	s_load_dword s7, s[4:5], 0xc
	s_load_dword s10, s[2:3], 0x0
	s_add_u32 s4, s4, 12
	s_addc_u32 s5, s5, 0
	s_waitcnt lgkmcnt(0)
	v_mul_hi_u32 v2, s9, v1
	v_add_u32_e32 v2, v1, v2
	v_lshrrev_b32_e32 v2, s7, v2
	s_add_u32 s2, s2, 4
	v_mul_lo_u32 v3, v2, s8
	s_addc_u32 s3, s3, 0
	s_add_i32 s6, s6, -1
	v_sub_u32_e32 v3, v1, v3
	s_cmp_lg_u32 s6, 0
	v_mov_b32_e32 v1, v2
	v_mad_u64_u32 v[4:5], s[8:9], v3, s10, v[4:5]
	s_cbranch_scc1 .LBB63_485
.LBB63_486:
	s_cbranch_execnz .LBB63_489
.LBB63_487:
	s_load_dwordx4 s[4:7], s[34:35], 0x4
	s_load_dword s2, s[34:35], 0xc4
	s_cmp_lt_u32 s33, 2
	s_waitcnt lgkmcnt(0)
	v_mul_hi_u32 v1, s5, v0
	v_add_u32_e32 v1, v0, v1
	v_lshrrev_b32_e32 v1, s6, v1
	v_mul_lo_u32 v2, v1, s4
	v_sub_u32_e32 v0, v0, v2
	v_mul_lo_u32 v4, v0, s2
	s_cbranch_scc1 .LBB63_489
; %bb.488:
	s_load_dwordx4 s[4:7], s[34:35], 0x10
	s_load_dword s2, s[34:35], 0xc8
	s_waitcnt lgkmcnt(0)
	v_mul_hi_u32 v0, s5, v1
	v_add_u32_e32 v0, v1, v0
	v_lshrrev_b32_e32 v0, s6, v0
	v_mul_lo_u32 v0, v0, s4
	v_sub_u32_e32 v0, v1, v0
	v_mad_u64_u32 v[4:5], s[2:3], v0, s2, v[4:5]
.LBB63_489:
	s_and_b64 vcc, exec, s[0:1]
	v_add_u32_e32 v0, 0x100, v9
	s_cbranch_vccnz .LBB63_495
; %bb.490:
	s_mov_b32 s26, 0
	s_cmp_eq_u32 s33, 0
	v_mov_b32_e32 v2, 0
	s_cbranch_scc1 .LBB63_499
; %bb.491:
	s_min_u32 s27, s82, 15
	s_add_i32 s27, s27, 1
	s_cmp_eq_u32 s82, 2
	v_mov_b32_e32 v2, 0
	s_cbranch_scc1 .LBB63_496
; %bb.492:
	s_add_u32 s2, s34, 0xc4
	s_addc_u32 s3, s35, 0
	s_and_b32 s26, s27, 28
	s_mov_b32 s28, 0
	v_mov_b32_e32 v2, 0
	s_mov_b64 s[24:25], s[34:35]
	v_mov_b32_e32 v1, v0
.LBB63_493:                             ; =>This Inner Loop Header: Depth=1
	s_load_dwordx8 s[4:11], s[24:25], 0x4
	s_load_dwordx4 s[12:15], s[24:25], 0x24
	s_load_dwordx4 s[16:19], s[2:3], 0x0
	s_add_u32 s24, s24, 48
	s_addc_u32 s25, s25, 0
	s_waitcnt lgkmcnt(0)
	v_mul_hi_u32 v3, s5, v1
	v_add_u32_e32 v3, v1, v3
	v_lshrrev_b32_e32 v3, s6, v3
	v_mul_lo_u32 v5, v3, s4
	v_mul_hi_u32 v7, s8, v3
	v_sub_u32_e32 v1, v1, v5
	v_add_u32_e32 v5, v3, v7
	v_lshrrev_b32_e32 v5, s9, v5
	v_mul_lo_u32 v7, v5, s7
	v_mul_hi_u32 v9, s11, v5
	v_sub_u32_e32 v3, v3, v7
	v_add_u32_e32 v7, v5, v9
	v_mul_lo_u32 v1, v1, s16
	v_mul_lo_u32 v3, v3, s17
	v_lshrrev_b32_e32 v7, s12, v7
	v_add3_u32 v2, v1, v2, v3
	v_mul_lo_u32 v1, v7, s10
	v_mul_hi_u32 v3, s14, v7
	v_sub_u32_e32 v1, v5, v1
	v_add_u32_e32 v3, v7, v3
	v_mul_lo_u32 v5, v1, s18
	v_lshrrev_b32_e32 v1, s15, v3
	s_add_i32 s28, s28, 4
	v_mul_lo_u32 v3, v1, s13
	s_add_u32 s2, s2, 16
	v_sub_u32_e32 v3, v7, v3
	s_addc_u32 s3, s3, 0
	v_mul_lo_u32 v3, v3, s19
	s_cmp_lg_u32 s26, s28
	v_add3_u32 v2, v5, v2, v3
	s_cbranch_scc1 .LBB63_493
; %bb.494:
	s_and_b32 s6, s27, 3
	s_cmp_eq_u32 s6, 0
	s_cbranch_scc0 .LBB63_497
	s_branch .LBB63_499
.LBB63_495:
                                        ; implicit-def: $vgpr2
	s_branch .LBB63_500
.LBB63_496:
	v_mov_b32_e32 v1, v0
	s_and_b32 s6, s27, 3
	s_cmp_eq_u32 s6, 0
	s_cbranch_scc1 .LBB63_499
.LBB63_497:
	s_lshl_b32 s2, s26, 2
	s_add_u32 s2, s2, s34
	s_addc_u32 s3, 0, s35
	s_add_u32 s2, s2, 0xc4
	s_addc_u32 s3, s3, 0
	s_mul_i32 s4, s26, 12
	s_add_u32 s4, s34, s4
	s_addc_u32 s5, 0, s35
.LBB63_498:                             ; =>This Inner Loop Header: Depth=1
	s_load_dwordx2 s[8:9], s[4:5], 0x4
	s_load_dword s7, s[4:5], 0xc
	s_load_dword s10, s[2:3], 0x0
	s_add_u32 s4, s4, 12
	s_addc_u32 s5, s5, 0
	s_waitcnt lgkmcnt(0)
	v_mul_hi_u32 v3, s9, v1
	v_add_u32_e32 v3, v1, v3
	v_lshrrev_b32_e32 v3, s7, v3
	s_add_u32 s2, s2, 4
	v_mul_lo_u32 v5, v3, s8
	s_addc_u32 s3, s3, 0
	s_add_i32 s6, s6, -1
	v_sub_u32_e32 v5, v1, v5
	s_cmp_lg_u32 s6, 0
	v_mov_b32_e32 v1, v3
	v_mad_u64_u32 v[2:3], s[8:9], v5, s10, v[2:3]
	s_cbranch_scc1 .LBB63_498
.LBB63_499:
	s_cbranch_execnz .LBB63_502
.LBB63_500:
	s_load_dwordx4 s[4:7], s[34:35], 0x4
	s_load_dword s2, s[34:35], 0xc4
	s_cmp_lt_u32 s33, 2
	s_waitcnt lgkmcnt(0)
	v_mul_hi_u32 v1, s5, v0
	v_add_u32_e32 v1, v0, v1
	v_lshrrev_b32_e32 v1, s6, v1
	v_mul_lo_u32 v2, v1, s4
	v_sub_u32_e32 v0, v0, v2
	v_mul_lo_u32 v2, v0, s2
	s_cbranch_scc1 .LBB63_502
; %bb.501:
	s_load_dwordx4 s[4:7], s[34:35], 0x10
	s_load_dword s2, s[34:35], 0xc8
	s_waitcnt lgkmcnt(0)
	v_mul_hi_u32 v0, s5, v1
	v_add_u32_e32 v0, v1, v0
	v_lshrrev_b32_e32 v0, s6, v0
	v_mul_lo_u32 v0, v0, s4
	v_sub_u32_e32 v0, v1, v0
	v_mad_u64_u32 v[2:3], s[2:3], v0, s2, v[2:3]
.LBB63_502:
	s_and_b64 vcc, exec, s[0:1]
	s_cbranch_vccnz .LBB63_508
; %bb.503:
	s_mov_b32 s24, 0
	s_cmp_eq_u32 s33, 0
	v_mov_b32_e32 v0, 0
	s_cbranch_scc1 .LBB63_512
; %bb.504:
	s_min_u32 s25, s82, 15
	s_add_i32 s25, s25, 1
	s_cmp_eq_u32 s82, 2
	v_mov_b32_e32 v0, 0
	s_cbranch_scc1 .LBB63_509
; %bb.505:
	s_add_u32 s16, s34, 0xc4
	s_addc_u32 s17, s35, 0
	s_and_b32 s24, s25, 28
	s_mov_b32 s26, 0
	v_mov_b32_e32 v0, 0
	s_mov_b64 s[18:19], s[34:35]
	v_mov_b32_e32 v3, v8
.LBB63_506:                             ; =>This Inner Loop Header: Depth=1
	s_load_dwordx8 s[0:7], s[18:19], 0x4
	s_load_dwordx4 s[8:11], s[18:19], 0x24
	s_load_dwordx4 s[12:15], s[16:17], 0x0
	s_add_u32 s18, s18, 48
	s_addc_u32 s19, s19, 0
	s_waitcnt lgkmcnt(0)
	v_mul_hi_u32 v1, s1, v3
	v_add_u32_e32 v1, v3, v1
	v_lshrrev_b32_e32 v1, s2, v1
	v_mul_lo_u32 v5, v1, s0
	v_mul_hi_u32 v7, s4, v1
	v_sub_u32_e32 v3, v3, v5
	v_add_u32_e32 v5, v1, v7
	v_lshrrev_b32_e32 v5, s5, v5
	v_mul_lo_u32 v7, v5, s3
	v_mul_hi_u32 v9, s7, v5
	v_sub_u32_e32 v1, v1, v7
	v_add_u32_e32 v7, v5, v9
	v_mul_lo_u32 v3, v3, s12
	v_mul_lo_u32 v1, v1, s13
	v_lshrrev_b32_e32 v7, s8, v7
	v_add3_u32 v0, v3, v0, v1
	v_mul_hi_u32 v3, s10, v7
	v_add_u32_e32 v3, v7, v3
	v_mul_lo_u32 v1, v7, s6
	v_lshrrev_b32_e32 v3, s11, v3
	s_add_i32 s26, s26, 4
	v_sub_u32_e32 v1, v5, v1
	v_mul_lo_u32 v5, v3, s9
	s_add_u32 s16, s16, 16
	v_sub_u32_e32 v5, v7, v5
	s_addc_u32 s17, s17, 0
	v_mul_lo_u32 v1, v1, s14
	v_mul_lo_u32 v5, v5, s15
	s_cmp_lg_u32 s24, s26
	v_add3_u32 v0, v1, v0, v5
	s_cbranch_scc1 .LBB63_506
; %bb.507:
	s_and_b32 s4, s25, 3
	s_cmp_eq_u32 s4, 0
	s_cbranch_scc0 .LBB63_510
	s_branch .LBB63_512
.LBB63_508:
                                        ; implicit-def: $vgpr0
	s_branch .LBB63_513
.LBB63_509:
	v_mov_b32_e32 v3, v8
	s_and_b32 s4, s25, 3
	s_cmp_eq_u32 s4, 0
	s_cbranch_scc1 .LBB63_512
.LBB63_510:
	s_lshl_b32 s0, s24, 2
	s_add_u32 s0, s0, s34
	s_addc_u32 s1, 0, s35
	s_add_u32 s0, s0, 0xc4
	s_addc_u32 s1, s1, 0
	s_mul_i32 s2, s24, 12
	s_add_u32 s2, s34, s2
	s_addc_u32 s3, 0, s35
.LBB63_511:                             ; =>This Inner Loop Header: Depth=1
	s_load_dwordx2 s[6:7], s[2:3], 0x4
	s_load_dword s5, s[2:3], 0xc
	s_load_dword s8, s[0:1], 0x0
	s_add_u32 s2, s2, 12
	s_addc_u32 s3, s3, 0
	s_waitcnt lgkmcnt(0)
	v_mul_hi_u32 v1, s7, v3
	v_add_u32_e32 v1, v3, v1
	v_lshrrev_b32_e32 v1, s5, v1
	s_add_u32 s0, s0, 4
	v_mul_lo_u32 v5, v1, s6
	s_addc_u32 s1, s1, 0
	s_add_i32 s4, s4, -1
	v_sub_u32_e32 v5, v3, v5
	s_cmp_lg_u32 s4, 0
	v_mov_b32_e32 v3, v1
	v_mad_u64_u32 v[0:1], s[6:7], v5, s8, v[0:1]
	s_cbranch_scc1 .LBB63_511
.LBB63_512:
	s_cbranch_execnz .LBB63_515
.LBB63_513:
	s_load_dwordx4 s[0:3], s[34:35], 0x4
	s_waitcnt lgkmcnt(0)
	s_load_dword s3, s[34:35], 0xc4
	s_cmp_lt_u32 s33, 2
	v_mul_hi_u32 v0, s1, v8
	v_add_u32_e32 v0, v8, v0
	v_lshrrev_b32_e32 v1, s2, v0
	v_mul_lo_u32 v0, v1, s0
	v_sub_u32_e32 v0, v8, v0
	s_waitcnt lgkmcnt(0)
	v_mul_lo_u32 v0, v0, s3
	s_cbranch_scc1 .LBB63_515
; %bb.514:
	s_load_dwordx4 s[0:3], s[34:35], 0x10
	s_waitcnt lgkmcnt(0)
	s_load_dword s3, s[34:35], 0xc8
	v_mul_hi_u32 v3, s1, v1
	v_add_u32_e32 v3, v1, v3
	v_lshrrev_b32_e32 v3, s2, v3
	v_mul_lo_u32 v3, v3, s0
	v_sub_u32_e32 v1, v1, v3
	s_waitcnt lgkmcnt(0)
	v_mad_u64_u32 v[0:1], s[0:1], v1, s3, v[0:1]
.LBB63_515:
	s_load_dwordx4 s[0:3], s[34:35], 0x108
	s_load_dwordx2 s[6:7], s[34:35], 0x118
	s_load_dword s8, s[34:35], 0x120
	s_waitcnt lgkmcnt(0)
	v_mov_b32_e32 v1, s1
	v_add_co_u32_e32 v6, vcc, s0, v6
	s_and_b32 s24, s8, 0xff
	v_addc_co_u32_e32 v7, vcc, 0, v1, vcc
	v_cmp_lt_i16_e64 s[10:11], s24, 11
	s_mov_b32 s4, s2
	s_mov_b32 s5, s3
	s_and_b64 vcc, exec, s[10:11]
	s_cbranch_vccnz .LBB63_522
; %bb.516:
	v_cmp_gt_i16_e64 s[8:9], s24, 25
	s_mov_b64 s[16:17], -1
	s_mov_b64 s[12:13], 0
	s_and_b64 vcc, exec, s[8:9]
	s_mov_b64 s[14:15], 0
	s_mov_b64 s[8:9], 0
	s_cbranch_vccz .LBB63_554
; %bb.517:
	v_cmp_gt_i16_e64 s[8:9], s24, 28
	s_and_b64 vcc, exec, s[8:9]
	s_cbranch_vccz .LBB63_524
; %bb.518:
	v_cmp_gt_i16_e64 s[8:9], s24, 43
	s_and_b64 vcc, exec, s[8:9]
	;; [unrolled: 4-line block ×3, first 2 shown]
	s_cbranch_vccz .LBB63_526
; %bb.520:
	v_cmp_eq_u16_e64 s[14:15], s24, 46
	s_mov_b64 s[8:9], -1
	s_mov_b64 s[16:17], 0
	s_and_b64 vcc, exec, s[14:15]
	s_mov_b64 s[14:15], 0
	s_cbranch_vccz .LBB63_527
; %bb.521:
	v_cvt_f32_f64_e32 v3, s[6:7]
	v_cvt_f32_f64_e32 v1, s[2:3]
	v_bfe_u32 v8, v3, 16, 1
	v_bfe_u32 v5, v1, 16, 1
	v_add_u32_e32 v8, v3, v8
	v_add_u32_e32 v5, v1, v5
	;; [unrolled: 1-line block ×4, first 2 shown]
	v_and_b32_e32 v8, 0xffff0000, v8
	v_mov_b32_e32 v9, 0x7fc00000
	v_cmp_o_f32_e32 vcc, v3, v3
	v_lshrrev_b32_e32 v5, 16, v5
	v_cndmask_b32_e32 v3, v9, v8, vcc
	v_mov_b32_e32 v8, 0x7fc0
	v_cmp_o_f32_e32 vcc, v1, v1
	v_cndmask_b32_e32 v1, v8, v5, vcc
	v_or_b32_e32 v1, v3, v1
	global_store_dword v[6:7], v1, off
	s_mov_b64 s[8:9], 0
	s_mov_b64 s[14:15], -1
	s_branch .LBB63_527
.LBB63_522:
	s_mov_b64 s[14:15], 0
	s_mov_b64 s[8:9], s[20:21]
	s_cbranch_execnz .LBB63_604
.LBB63_523:
	s_andn2_b64 vcc, exec, s[14:15]
	s_cbranch_vccz .LBB63_642
	s_branch .LBB63_949
.LBB63_524:
	s_mov_b64 s[8:9], 0
	s_and_b64 vcc, exec, s[16:17]
	s_cbranch_vccz .LBB63_553
	s_branch .LBB63_536
.LBB63_525:
	s_mov_b64 s[8:9], 0
	s_and_b64 vcc, exec, s[16:17]
	s_cbranch_vccnz .LBB63_533
	s_branch .LBB63_535
.LBB63_526:
	s_mov_b64 s[8:9], 0
.LBB63_527:
	s_and_b64 vcc, exec, s[16:17]
	s_cbranch_vccz .LBB63_532
; %bb.528:
	v_cmp_eq_u16_e64 s[16:17], s24, 44
	s_mov_b64 s[8:9], -1
	s_and_b64 vcc, exec, s[16:17]
	s_cbranch_vccz .LBB63_532
; %bb.529:
	v_cvt_f32_f64_e32 v1, s[2:3]
	v_readfirstlane_b32 s8, v1
	s_bfe_u32 s9, s8, 0x80017
	s_cmpk_eq_i32 s9, 0xff
	v_mov_b32_e32 v3, 0xff
	s_cbranch_scc1 .LBB63_531
; %bb.530:
	s_bitcmp1_b32 s8, 22
	s_cselect_b64 s[14:15], -1, 0
	s_and_b32 s8, s8, 0x3fffff
	s_or_b32 s8, s9, s8
	s_cmp_lg_u32 s8, 0
	s_cselect_b64 s[8:9], -1, 0
	s_and_b64 s[8:9], s[14:15], s[8:9]
	v_lshrrev_b32_e32 v1, 23, v1
	v_cndmask_b32_e64 v3, 0, 1, s[8:9]
	v_add_u32_e32 v3, v1, v3
.LBB63_531:
	s_mov_b64 s[8:9], 0
	s_mov_b64 s[14:15], -1
	global_store_byte v[6:7], v3, off
.LBB63_532:
	s_branch .LBB63_535
.LBB63_533:
	v_cmp_eq_u16_e64 s[16:17], s24, 29
	s_mov_b64 s[8:9], -1
	s_and_b64 vcc, exec, s[16:17]
	s_cbranch_vccz .LBB63_535
; %bb.534:
	v_trunc_f64_e32 v[8:9], s[2:3]
	s_movk_i32 s8, 0xffe0
	v_ldexp_f64 v[10:11], v[8:9], s8
	v_floor_f64_e32 v[10:11], v[10:11]
	v_fmac_f64_e32 v[8:9], 0xc1f00000, v[10:11]
	v_cvt_u32_f64_e32 v13, v[10:11]
	v_cvt_u32_f64_e32 v12, v[8:9]
	global_store_dwordx2 v[6:7], v[12:13], off
	s_mov_b64 s[8:9], 0
	s_mov_b64 s[14:15], -1
.LBB63_535:
	s_branch .LBB63_553
.LBB63_536:
	v_cmp_lt_i16_e64 s[16:17], s24, 27
	s_mov_b64 s[14:15], -1
	s_and_b64 vcc, exec, s[16:17]
	s_cbranch_vccnz .LBB63_542
; %bb.537:
	v_cmp_gt_i16_e64 s[16:17], s24, 27
	s_and_b64 vcc, exec, s[16:17]
	s_cbranch_vccz .LBB63_539
; %bb.538:
	v_cvt_u32_f64_e32 v1, s[2:3]
	s_mov_b64 s[14:15], 0
	global_store_dword v[6:7], v1, off
.LBB63_539:
	s_andn2_b64 vcc, exec, s[14:15]
	s_cbranch_vccnz .LBB63_541
; %bb.540:
	v_cvt_u32_f64_e32 v1, s[2:3]
	global_store_short v[6:7], v1, off
.LBB63_541:
	s_mov_b64 s[14:15], 0
.LBB63_542:
	s_andn2_b64 vcc, exec, s[14:15]
	s_cbranch_vccnz .LBB63_552
; %bb.543:
	v_cvt_f32_f64_e32 v1, s[2:3]
	v_readfirstlane_b32 s18, v1
	s_and_b32 s14, s18, 0x7fffffff
	s_cmp_gt_u32 s14, 0x437fffff
	v_mov_b32_e32 v3, 0x80
	s_cbranch_scc1 .LBB63_551
; %bb.544:
	s_cmp_gt_u32 s14, 0x3bffffff
	s_cbranch_scc0 .LBB63_546
; %bb.545:
	s_bfe_u32 s14, s18, 0x10014
	s_add_i32 s14, s18, s14
	s_add_i32 s14, s14, 0x487ffff
	s_lshr_b32 s19, s14, 20
	s_mov_b64 s[16:17], 0
	s_mov_b64 s[14:15], -1
	s_branch .LBB63_547
.LBB63_546:
	s_mov_b64 s[16:17], -1
	s_mov_b64 s[14:15], 0
                                        ; implicit-def: $sgpr19
.LBB63_547:
	s_andn2_b64 vcc, exec, s[16:17]
	v_mov_b32_e32 v1, s19
                                        ; implicit-def: $sgpr16
	s_cbranch_vccnz .LBB63_549
; %bb.548:
	v_mov_b32_e32 v1, 0x46000000
	v_add_f32_e64 v1, |s18|, v1
	v_and_b32_e32 v1, 0xff, v1
	s_mov_b32 s16, 0
	v_cmp_ne_u32_e64 s[14:15], 0, v1
.LBB63_549:
	s_andn2_b64 vcc, exec, s[14:15]
	v_mov_b32_e32 v3, s16
	s_cbranch_vccnz .LBB63_551
; %bb.550:
	s_lshr_b32 s14, s18, 24
	s_and_b32 s14, s14, 0x80
	v_or_b32_e32 v3, s14, v1
.LBB63_551:
	global_store_byte v[6:7], v3, off
.LBB63_552:
	s_mov_b64 s[14:15], -1
.LBB63_553:
	s_mov_b64 s[16:17], 0
.LBB63_554:
	s_and_b64 vcc, exec, s[16:17]
	s_cbranch_vccz .LBB63_600
; %bb.555:
	v_cmp_gt_i16_e64 s[16:17], s24, 22
	s_mov_b64 s[12:13], -1
	s_and_b64 vcc, exec, s[16:17]
	s_cbranch_vccz .LBB63_593
; %bb.556:
	v_cmp_lt_i16_e64 s[14:15], s24, 24
	s_and_b64 vcc, exec, s[14:15]
	s_cbranch_vccnz .LBB63_580
; %bb.557:
	v_cmp_gt_i16_e64 s[14:15], s24, 24
	s_and_b64 vcc, exec, s[14:15]
	s_cbranch_vccz .LBB63_567
; %bb.558:
	v_cvt_f32_f64_e32 v1, s[2:3]
	v_readfirstlane_b32 s16, v1
	s_and_b32 s12, s16, 0x7fffffff
	s_cmp_gt_u32 s12, 0x477fffff
	v_mov_b32_e32 v3, 0x80
	s_cbranch_scc1 .LBB63_566
; %bb.559:
	s_cmp_gt_u32 s12, 0x37ffffff
	s_cbranch_scc0 .LBB63_561
; %bb.560:
	s_bfe_u32 s12, s16, 0x10015
	s_add_i32 s12, s16, s12
	s_add_i32 s12, s12, 0x88fffff
	s_lshr_b32 s17, s12, 21
	s_mov_b64 s[14:15], 0
	s_mov_b64 s[12:13], -1
	s_branch .LBB63_562
.LBB63_561:
	s_mov_b64 s[14:15], -1
	s_mov_b64 s[12:13], 0
                                        ; implicit-def: $sgpr17
.LBB63_562:
	s_andn2_b64 vcc, exec, s[14:15]
	v_mov_b32_e32 v1, s17
                                        ; implicit-def: $sgpr14
	s_cbranch_vccnz .LBB63_564
; %bb.563:
	v_mov_b32_e32 v1, 0x42800000
	v_add_f32_e64 v1, |s16|, v1
	v_and_b32_e32 v1, 0xff, v1
	s_mov_b32 s14, 0
	v_cmp_ne_u32_e64 s[12:13], 0, v1
.LBB63_564:
	s_andn2_b64 vcc, exec, s[12:13]
	v_mov_b32_e32 v3, s14
	s_cbranch_vccnz .LBB63_566
; %bb.565:
	s_lshr_b32 s12, s16, 24
	s_and_b32 s12, s12, 0x80
	v_or_b32_e32 v3, s12, v1
.LBB63_566:
	s_mov_b64 s[12:13], 0
	global_store_byte v[6:7], v3, off
.LBB63_567:
	s_and_b64 vcc, exec, s[12:13]
	s_cbranch_vccz .LBB63_579
; %bb.568:
	v_cvt_f32_f64_e32 v1, s[2:3]
	v_readfirstlane_b32 s14, v1
	s_and_b32 s15, s14, 0x7fffffff
	s_cmp_lt_u32 s15, 0x43f00000
	s_cbranch_scc0 .LBB63_571
; %bb.569:
	s_cmp_gt_u32 s15, 0x3c7fffff
	s_cbranch_scc0 .LBB63_572
; %bb.570:
	s_bfe_u32 s12, s14, 0x10014
	s_add_i32 s12, s14, s12
	s_add_i32 s12, s12, 0x407ffff
	s_lshr_b32 s13, s12, 20
	s_and_b32 s12, s12, 0xff00000
	s_cmp_lg_u32 s12, 0x7f00000
	s_cselect_b32 s16, s13, 0x7e
	s_mov_b64 s[12:13], 0
	s_branch .LBB63_573
.LBB63_571:
	s_mov_b64 s[12:13], -1
                                        ; implicit-def: $vgpr3
	s_branch .LBB63_576
.LBB63_572:
	s_mov_b64 s[12:13], -1
                                        ; implicit-def: $sgpr16
.LBB63_573:
	s_andn2_b64 vcc, exec, s[12:13]
	v_mov_b32_e32 v3, s16
	s_cbranch_vccnz .LBB63_575
; %bb.574:
	s_mov_b32 s12, 0x46800000
	v_add_f32_e64 v3, |v1|, s12
.LBB63_575:
	s_mov_b64 s[12:13], 0
.LBB63_576:
	s_andn2_b64 vcc, exec, s[12:13]
	s_cbranch_vccnz .LBB63_578
; %bb.577:
	s_cmp_gt_u32 s15, 0x7f800000
	s_movk_i32 s12, 0x7f
	s_cselect_b32 s12, s12, 0x7e
	v_mov_b32_e32 v3, s12
.LBB63_578:
	s_lshr_b32 s12, s14, 24
	s_and_b32 s12, s12, 0x80
	v_or_b32_e32 v1, s12, v3
	global_store_byte v[6:7], v1, off
.LBB63_579:
	s_mov_b64 s[12:13], 0
.LBB63_580:
	s_andn2_b64 vcc, exec, s[12:13]
	s_cbranch_vccnz .LBB63_592
; %bb.581:
	v_cvt_f32_f64_e32 v1, s[2:3]
	v_readfirstlane_b32 s14, v1
	s_and_b32 s15, s14, 0x7fffffff
	s_cmp_lt_u32 s15, 0x47800000
	s_cbranch_scc0 .LBB63_584
; %bb.582:
	s_cmp_gt_u32 s15, 0x387fffff
	s_cbranch_scc0 .LBB63_585
; %bb.583:
	s_bfe_u32 s12, s14, 0x10015
	s_add_i32 s12, s14, s12
	s_add_i32 s12, s12, 0x80fffff
	s_lshr_b32 s16, s12, 21
	s_mov_b64 s[12:13], 0
	s_branch .LBB63_586
.LBB63_584:
	s_mov_b64 s[12:13], -1
                                        ; implicit-def: $vgpr3
	s_branch .LBB63_589
.LBB63_585:
	s_mov_b64 s[12:13], -1
                                        ; implicit-def: $sgpr16
.LBB63_586:
	s_andn2_b64 vcc, exec, s[12:13]
	v_mov_b32_e32 v3, s16
	s_cbranch_vccnz .LBB63_588
; %bb.587:
	s_mov_b32 s12, 0x43000000
	v_add_f32_e64 v3, |v1|, s12
.LBB63_588:
	s_mov_b64 s[12:13], 0
.LBB63_589:
	s_andn2_b64 vcc, exec, s[12:13]
	s_cbranch_vccnz .LBB63_591
; %bb.590:
	s_cmp_gt_u32 s15, 0x7f800000
	s_movk_i32 s12, 0x7f
	s_cselect_b32 s12, s12, 0x7c
	v_mov_b32_e32 v3, s12
.LBB63_591:
	s_lshr_b32 s12, s14, 24
	s_and_b32 s12, s12, 0x80
	v_or_b32_e32 v1, s12, v3
	global_store_byte v[6:7], v1, off
.LBB63_592:
	s_mov_b64 s[12:13], 0
	s_mov_b64 s[14:15], -1
.LBB63_593:
	s_andn2_b64 vcc, exec, s[12:13]
	s_mov_b64 s[12:13], 0
	s_cbranch_vccnz .LBB63_600
; %bb.594:
	v_cmp_gt_i16_e64 s[12:13], s24, 14
	s_mov_b64 s[16:17], -1
	s_and_b64 vcc, exec, s[12:13]
	s_cbranch_vccz .LBB63_598
; %bb.595:
	v_cmp_eq_u16_e64 s[12:13], s24, 15
	s_mov_b64 s[8:9], -1
	s_and_b64 vcc, exec, s[12:13]
	s_cbranch_vccz .LBB63_597
; %bb.596:
	v_cvt_f32_f64_e32 v1, s[2:3]
	v_bfe_u32 v3, v1, 16, 1
	v_add_u32_e32 v3, v1, v3
	v_add_u32_e32 v3, 0x7fff, v3
	v_lshrrev_b32_e32 v3, 16, v3
	v_mov_b32_e32 v5, 0x7fc0
	v_cmp_o_f32_e32 vcc, v1, v1
	v_cndmask_b32_e32 v1, v5, v3, vcc
	global_store_short v[6:7], v1, off
	s_mov_b64 s[8:9], 0
	s_mov_b64 s[14:15], -1
.LBB63_597:
	s_mov_b64 s[16:17], 0
.LBB63_598:
	s_mov_b64 s[12:13], 0
	s_and_b64 vcc, exec, s[16:17]
	s_cbranch_vccz .LBB63_600
; %bb.599:
	v_cmp_ne_u16_e64 s[8:9], s24, 11
	s_mov_b64 s[12:13], -1
.LBB63_600:
	s_and_b64 vcc, exec, s[8:9]
	s_mov_b64 s[8:9], s[20:21]
	s_cbranch_vccnz .LBB63_653
; %bb.601:
	s_andn2_b64 vcc, exec, s[12:13]
	s_cbranch_vccnz .LBB63_603
.LBB63_602:
	v_cmp_neq_f64_e64 s[12:13], s[2:3], 0
	v_cmp_neq_f64_e64 s[14:15], s[6:7], 0
	s_or_b64 s[12:13], s[12:13], s[14:15]
	v_cndmask_b32_e64 v1, 0, 1, s[12:13]
	global_store_byte v[6:7], v1, off
	s_mov_b64 s[14:15], -1
.LBB63_603:
	s_branch .LBB63_523
.LBB63_604:
	v_cmp_lt_i16_e64 s[14:15], s24, 5
	s_mov_b64 s[12:13], -1
	s_and_b64 vcc, exec, s[14:15]
	s_cbranch_vccnz .LBB63_625
; %bb.605:
	v_cmp_lt_i16_e64 s[14:15], s24, 8
	s_and_b64 vcc, exec, s[14:15]
	s_cbranch_vccnz .LBB63_615
; %bb.606:
	v_cmp_lt_i16_e64 s[14:15], s24, 9
	s_and_b64 vcc, exec, s[14:15]
	s_cbranch_vccnz .LBB63_612
; %bb.607:
	v_cmp_gt_i16_e64 s[14:15], s24, 9
	s_and_b64 vcc, exec, s[14:15]
	s_cbranch_vccz .LBB63_609
; %bb.608:
	v_mov_b32_e32 v8, s2
	v_mov_b32_e32 v9, s3
	;; [unrolled: 1-line block ×4, first 2 shown]
	global_store_dwordx4 v[6:7], v[8:11], off
	s_mov_b64 s[12:13], 0
.LBB63_609:
	s_andn2_b64 vcc, exec, s[12:13]
	s_cbranch_vccnz .LBB63_611
; %bb.610:
	v_cvt_f32_f64_e32 v9, s[6:7]
	v_cvt_f32_f64_e32 v8, s[4:5]
	global_store_dwordx2 v[6:7], v[8:9], off
.LBB63_611:
	s_mov_b64 s[12:13], 0
.LBB63_612:
	s_andn2_b64 vcc, exec, s[12:13]
	s_cbranch_vccnz .LBB63_614
; %bb.613:
	v_cvt_f32_f64_e32 v1, s[2:3]
	v_cvt_f32_f64_e32 v3, s[6:7]
	v_cvt_f16_f32_e32 v1, v1
	v_cvt_f16_f32_sdwa v3, v3 dst_sel:WORD_1 dst_unused:UNUSED_PAD src0_sel:DWORD
	v_or_b32_e32 v1, v3, v1
	global_store_dword v[6:7], v1, off
.LBB63_614:
	s_mov_b64 s[12:13], 0
.LBB63_615:
	s_andn2_b64 vcc, exec, s[12:13]
	s_cbranch_vccnz .LBB63_624
; %bb.616:
	v_cmp_lt_i16_e64 s[14:15], s24, 6
	s_mov_b64 s[12:13], -1
	s_and_b64 vcc, exec, s[14:15]
	s_cbranch_vccnz .LBB63_622
; %bb.617:
	v_cmp_gt_i16_e64 s[14:15], s24, 6
	s_and_b64 vcc, exec, s[14:15]
	s_cbranch_vccz .LBB63_619
; %bb.618:
	v_pk_mov_b32 v[8:9], s[2:3], s[2:3] op_sel:[0,1]
	global_store_dwordx2 v[6:7], v[8:9], off
	s_mov_b64 s[12:13], 0
.LBB63_619:
	s_andn2_b64 vcc, exec, s[12:13]
	s_cbranch_vccnz .LBB63_621
; %bb.620:
	v_cvt_f32_f64_e32 v1, s[2:3]
	global_store_dword v[6:7], v1, off
.LBB63_621:
	s_mov_b64 s[12:13], 0
.LBB63_622:
	s_andn2_b64 vcc, exec, s[12:13]
	s_cbranch_vccnz .LBB63_624
; %bb.623:
	v_cvt_f32_f64_e32 v1, s[2:3]
	v_cvt_f16_f32_e32 v1, v1
	global_store_short v[6:7], v1, off
.LBB63_624:
	s_mov_b64 s[12:13], 0
.LBB63_625:
	s_andn2_b64 vcc, exec, s[12:13]
	s_cbranch_vccnz .LBB63_641
; %bb.626:
	v_cmp_lt_i16_e64 s[14:15], s24, 2
	s_mov_b64 s[12:13], -1
	s_and_b64 vcc, exec, s[14:15]
	s_cbranch_vccnz .LBB63_636
; %bb.627:
	v_cmp_lt_i16_e64 s[14:15], s24, 3
	s_and_b64 vcc, exec, s[14:15]
	s_cbranch_vccnz .LBB63_633
; %bb.628:
	v_cmp_gt_i16_e64 s[14:15], s24, 3
	s_and_b64 vcc, exec, s[14:15]
	s_cbranch_vccz .LBB63_630
; %bb.629:
	v_trunc_f64_e32 v[8:9], s[2:3]
	s_movk_i32 s12, 0xffe0
	v_ldexp_f64 v[10:11], v[8:9], s12
	v_floor_f64_e32 v[10:11], v[10:11]
	v_fmac_f64_e32 v[8:9], 0xc1f00000, v[10:11]
	v_cvt_i32_f64_e32 v13, v[10:11]
	v_cvt_u32_f64_e32 v12, v[8:9]
	global_store_dwordx2 v[6:7], v[12:13], off
	s_mov_b64 s[12:13], 0
.LBB63_630:
	s_andn2_b64 vcc, exec, s[12:13]
	s_cbranch_vccnz .LBB63_632
; %bb.631:
	v_cvt_i32_f64_e32 v1, s[2:3]
	global_store_dword v[6:7], v1, off
.LBB63_632:
	s_mov_b64 s[12:13], 0
.LBB63_633:
	s_andn2_b64 vcc, exec, s[12:13]
	s_cbranch_vccnz .LBB63_635
; %bb.634:
	v_cvt_i32_f64_e32 v1, s[2:3]
	global_store_short v[6:7], v1, off
.LBB63_635:
	s_mov_b64 s[12:13], 0
.LBB63_636:
	s_andn2_b64 vcc, exec, s[12:13]
	s_cbranch_vccnz .LBB63_641
; %bb.637:
	v_cmp_gt_i16_e64 s[14:15], s24, 0
	s_mov_b64 s[12:13], -1
	s_and_b64 vcc, exec, s[14:15]
	s_cbranch_vccz .LBB63_639
; %bb.638:
	v_cvt_i32_f64_e32 v1, s[2:3]
	global_store_byte v[6:7], v1, off
	s_mov_b64 s[12:13], 0
.LBB63_639:
	s_andn2_b64 vcc, exec, s[12:13]
	s_cbranch_vccnz .LBB63_641
; %bb.640:
	v_trunc_f64_e32 v[8:9], s[2:3]
	s_movk_i32 s12, 0xffe0
	v_ldexp_f64 v[10:11], v[8:9], s12
	v_floor_f64_e32 v[10:11], v[10:11]
	v_fmac_f64_e32 v[8:9], 0xc1f00000, v[10:11]
	v_cvt_u32_f64_e32 v1, v[8:9]
	global_store_byte v[6:7], v1, off
.LBB63_641:
.LBB63_642:
	v_mov_b32_e32 v1, s1
	v_add_co_u32_e32 v4, vcc, s0, v4
	v_addc_co_u32_e32 v5, vcc, 0, v1, vcc
	s_and_b64 vcc, exec, s[10:11]
	s_cbranch_vccnz .LBB63_649
; %bb.643:
	v_cmp_gt_i16_e64 s[12:13], s24, 25
	s_mov_b64 s[18:19], -1
	s_mov_b64 s[14:15], 0
	s_and_b64 vcc, exec, s[12:13]
	s_mov_b64 s[16:17], 0
	s_mov_b64 s[12:13], 0
	s_cbranch_vccz .LBB63_684
; %bb.644:
	v_cmp_gt_i16_e64 s[12:13], s24, 28
	s_and_b64 vcc, exec, s[12:13]
	s_cbranch_vccz .LBB63_651
; %bb.645:
	v_cmp_gt_i16_e64 s[12:13], s24, 43
	s_and_b64 vcc, exec, s[12:13]
	;; [unrolled: 4-line block ×3, first 2 shown]
	s_cbranch_vccz .LBB63_654
; %bb.647:
	v_cmp_eq_u16_e64 s[16:17], s24, 46
	s_mov_b64 s[12:13], -1
	s_mov_b64 s[18:19], 0
	s_and_b64 vcc, exec, s[16:17]
	s_mov_b64 s[16:17], 0
	s_cbranch_vccz .LBB63_655
; %bb.648:
	v_cvt_f32_f64_e32 v3, s[6:7]
	v_cvt_f32_f64_e32 v1, s[2:3]
	v_bfe_u32 v7, v3, 16, 1
	v_bfe_u32 v6, v1, 16, 1
	v_add_u32_e32 v7, v3, v7
	v_add_u32_e32 v6, v1, v6
	;; [unrolled: 1-line block ×4, first 2 shown]
	v_and_b32_e32 v7, 0xffff0000, v7
	v_mov_b32_e32 v8, 0x7fc00000
	v_cmp_o_f32_e32 vcc, v3, v3
	v_lshrrev_b32_e32 v6, 16, v6
	v_cndmask_b32_e32 v3, v8, v7, vcc
	v_mov_b32_e32 v7, 0x7fc0
	v_cmp_o_f32_e32 vcc, v1, v1
	v_cndmask_b32_e32 v1, v7, v6, vcc
	v_or_b32_e32 v1, v3, v1
	global_store_dword v[4:5], v1, off
	s_mov_b64 s[12:13], 0
	s_mov_b64 s[16:17], -1
	s_branch .LBB63_655
.LBB63_649:
	s_mov_b64 s[16:17], 0
	s_cbranch_execnz .LBB63_734
.LBB63_650:
	s_andn2_b64 vcc, exec, s[16:17]
	s_cbranch_vccz .LBB63_772
	s_branch .LBB63_949
.LBB63_651:
	s_mov_b64 s[12:13], 0
	s_branch .LBB63_665
.LBB63_652:
	s_mov_b64 s[12:13], 0
	s_branch .LBB63_661
.LBB63_653:
	s_or_b64 s[8:9], s[20:21], exec
	s_trap 2
	s_cbranch_execz .LBB63_602
	s_branch .LBB63_603
.LBB63_654:
	s_mov_b64 s[12:13], 0
.LBB63_655:
	s_and_b64 vcc, exec, s[18:19]
	s_cbranch_vccz .LBB63_660
; %bb.656:
	v_cmp_eq_u16_e64 s[18:19], s24, 44
	s_mov_b64 s[12:13], -1
	s_and_b64 vcc, exec, s[18:19]
	s_cbranch_vccz .LBB63_660
; %bb.657:
	v_cvt_f32_f64_e32 v1, s[2:3]
	v_readfirstlane_b32 s12, v1
	s_bfe_u32 s13, s12, 0x80017
	s_cmpk_eq_i32 s13, 0xff
	v_mov_b32_e32 v3, 0xff
	s_cbranch_scc1 .LBB63_659
; %bb.658:
	s_bitcmp1_b32 s12, 22
	s_cselect_b64 s[16:17], -1, 0
	s_and_b32 s12, s12, 0x3fffff
	s_or_b32 s12, s13, s12
	s_cmp_lg_u32 s12, 0
	s_cselect_b64 s[12:13], -1, 0
	s_and_b64 s[12:13], s[16:17], s[12:13]
	v_lshrrev_b32_e32 v1, 23, v1
	v_cndmask_b32_e64 v3, 0, 1, s[12:13]
	v_add_u32_e32 v3, v1, v3
.LBB63_659:
	s_mov_b64 s[12:13], 0
	s_mov_b64 s[16:17], -1
	global_store_byte v[4:5], v3, off
.LBB63_660:
	s_mov_b64 s[18:19], 0
.LBB63_661:
	s_and_b64 vcc, exec, s[18:19]
	s_cbranch_vccz .LBB63_664
; %bb.662:
	v_cmp_eq_u16_e64 s[18:19], s24, 29
	s_mov_b64 s[12:13], -1
	s_and_b64 vcc, exec, s[18:19]
	s_cbranch_vccz .LBB63_664
; %bb.663:
	v_trunc_f64_e32 v[6:7], s[2:3]
	s_movk_i32 s12, 0xffe0
	v_ldexp_f64 v[8:9], v[6:7], s12
	v_floor_f64_e32 v[8:9], v[8:9]
	v_fmac_f64_e32 v[6:7], 0xc1f00000, v[8:9]
	v_cvt_u32_f64_e32 v11, v[8:9]
	v_cvt_u32_f64_e32 v10, v[6:7]
	global_store_dwordx2 v[4:5], v[10:11], off
	s_mov_b64 s[12:13], 0
	s_mov_b64 s[16:17], -1
.LBB63_664:
	s_mov_b64 s[18:19], 0
.LBB63_665:
	s_and_b64 vcc, exec, s[18:19]
	s_cbranch_vccz .LBB63_683
; %bb.666:
	v_cmp_lt_i16_e64 s[18:19], s24, 27
	s_mov_b64 s[16:17], -1
	s_and_b64 vcc, exec, s[18:19]
	s_cbranch_vccnz .LBB63_672
; %bb.667:
	v_cmp_gt_i16_e64 s[18:19], s24, 27
	s_and_b64 vcc, exec, s[18:19]
	s_cbranch_vccz .LBB63_669
; %bb.668:
	v_cvt_u32_f64_e32 v1, s[2:3]
	s_mov_b64 s[16:17], 0
	global_store_dword v[4:5], v1, off
.LBB63_669:
	s_andn2_b64 vcc, exec, s[16:17]
	s_cbranch_vccnz .LBB63_671
; %bb.670:
	v_cvt_u32_f64_e32 v1, s[2:3]
	global_store_short v[4:5], v1, off
.LBB63_671:
	s_mov_b64 s[16:17], 0
.LBB63_672:
	s_andn2_b64 vcc, exec, s[16:17]
	s_cbranch_vccnz .LBB63_682
; %bb.673:
	v_cvt_f32_f64_e32 v1, s[2:3]
	v_readfirstlane_b32 s25, v1
	s_and_b32 s16, s25, 0x7fffffff
	s_cmp_gt_u32 s16, 0x437fffff
	v_mov_b32_e32 v3, 0x80
	s_cbranch_scc1 .LBB63_681
; %bb.674:
	s_cmp_gt_u32 s16, 0x3bffffff
	s_cbranch_scc0 .LBB63_676
; %bb.675:
	s_bfe_u32 s16, s25, 0x10014
	s_add_i32 s16, s25, s16
	s_add_i32 s16, s16, 0x487ffff
	s_lshr_b32 s26, s16, 20
	s_mov_b64 s[18:19], 0
	s_mov_b64 s[16:17], -1
	s_branch .LBB63_677
.LBB63_676:
	s_mov_b64 s[18:19], -1
	s_mov_b64 s[16:17], 0
                                        ; implicit-def: $sgpr26
.LBB63_677:
	s_andn2_b64 vcc, exec, s[18:19]
	v_mov_b32_e32 v1, s26
                                        ; implicit-def: $sgpr18
	s_cbranch_vccnz .LBB63_679
; %bb.678:
	v_mov_b32_e32 v1, 0x46000000
	v_add_f32_e64 v1, |s25|, v1
	v_and_b32_e32 v1, 0xff, v1
	s_mov_b32 s18, 0
	v_cmp_ne_u32_e64 s[16:17], 0, v1
.LBB63_679:
	s_andn2_b64 vcc, exec, s[16:17]
	v_mov_b32_e32 v3, s18
	s_cbranch_vccnz .LBB63_681
; %bb.680:
	s_lshr_b32 s16, s25, 24
	s_and_b32 s16, s16, 0x80
	v_or_b32_e32 v3, s16, v1
.LBB63_681:
	global_store_byte v[4:5], v3, off
.LBB63_682:
	s_mov_b64 s[16:17], -1
.LBB63_683:
	s_mov_b64 s[18:19], 0
.LBB63_684:
	s_and_b64 vcc, exec, s[18:19]
	s_cbranch_vccz .LBB63_730
; %bb.685:
	v_cmp_gt_i16_e64 s[18:19], s24, 22
	s_mov_b64 s[14:15], -1
	s_and_b64 vcc, exec, s[18:19]
	s_cbranch_vccz .LBB63_723
; %bb.686:
	v_cmp_lt_i16_e64 s[16:17], s24, 24
	s_and_b64 vcc, exec, s[16:17]
	s_cbranch_vccnz .LBB63_710
; %bb.687:
	v_cmp_gt_i16_e64 s[16:17], s24, 24
	s_and_b64 vcc, exec, s[16:17]
	s_cbranch_vccz .LBB63_697
; %bb.688:
	v_cvt_f32_f64_e32 v1, s[2:3]
	v_readfirstlane_b32 s18, v1
	s_and_b32 s14, s18, 0x7fffffff
	s_cmp_gt_u32 s14, 0x477fffff
	v_mov_b32_e32 v3, 0x80
	s_cbranch_scc1 .LBB63_696
; %bb.689:
	s_cmp_gt_u32 s14, 0x37ffffff
	s_cbranch_scc0 .LBB63_691
; %bb.690:
	s_bfe_u32 s14, s18, 0x10015
	s_add_i32 s14, s18, s14
	s_add_i32 s14, s14, 0x88fffff
	s_lshr_b32 s19, s14, 21
	s_mov_b64 s[16:17], 0
	s_mov_b64 s[14:15], -1
	s_branch .LBB63_692
.LBB63_691:
	s_mov_b64 s[16:17], -1
	s_mov_b64 s[14:15], 0
                                        ; implicit-def: $sgpr19
.LBB63_692:
	s_andn2_b64 vcc, exec, s[16:17]
	v_mov_b32_e32 v1, s19
                                        ; implicit-def: $sgpr16
	s_cbranch_vccnz .LBB63_694
; %bb.693:
	v_mov_b32_e32 v1, 0x42800000
	v_add_f32_e64 v1, |s18|, v1
	v_and_b32_e32 v1, 0xff, v1
	s_mov_b32 s16, 0
	v_cmp_ne_u32_e64 s[14:15], 0, v1
.LBB63_694:
	s_andn2_b64 vcc, exec, s[14:15]
	v_mov_b32_e32 v3, s16
	s_cbranch_vccnz .LBB63_696
; %bb.695:
	s_lshr_b32 s14, s18, 24
	s_and_b32 s14, s14, 0x80
	v_or_b32_e32 v3, s14, v1
.LBB63_696:
	s_mov_b64 s[14:15], 0
	global_store_byte v[4:5], v3, off
.LBB63_697:
	s_and_b64 vcc, exec, s[14:15]
	s_cbranch_vccz .LBB63_709
; %bb.698:
	v_cvt_f32_f64_e32 v1, s[2:3]
	v_readfirstlane_b32 s16, v1
	s_and_b32 s17, s16, 0x7fffffff
	s_cmp_lt_u32 s17, 0x43f00000
	s_cbranch_scc0 .LBB63_701
; %bb.699:
	s_cmp_gt_u32 s17, 0x3c7fffff
	s_cbranch_scc0 .LBB63_702
; %bb.700:
	s_bfe_u32 s14, s16, 0x10014
	s_add_i32 s14, s16, s14
	s_add_i32 s14, s14, 0x407ffff
	s_lshr_b32 s15, s14, 20
	s_and_b32 s14, s14, 0xff00000
	s_cmp_lg_u32 s14, 0x7f00000
	s_cselect_b32 s18, s15, 0x7e
	s_mov_b64 s[14:15], 0
	s_branch .LBB63_703
.LBB63_701:
	s_mov_b64 s[14:15], -1
                                        ; implicit-def: $vgpr3
	s_branch .LBB63_706
.LBB63_702:
	s_mov_b64 s[14:15], -1
                                        ; implicit-def: $sgpr18
.LBB63_703:
	s_andn2_b64 vcc, exec, s[14:15]
	v_mov_b32_e32 v3, s18
	s_cbranch_vccnz .LBB63_705
; %bb.704:
	s_mov_b32 s14, 0x46800000
	v_add_f32_e64 v3, |v1|, s14
.LBB63_705:
	s_mov_b64 s[14:15], 0
.LBB63_706:
	s_andn2_b64 vcc, exec, s[14:15]
	s_cbranch_vccnz .LBB63_708
; %bb.707:
	s_cmp_gt_u32 s17, 0x7f800000
	s_movk_i32 s14, 0x7f
	s_cselect_b32 s14, s14, 0x7e
	v_mov_b32_e32 v3, s14
.LBB63_708:
	s_lshr_b32 s14, s16, 24
	s_and_b32 s14, s14, 0x80
	v_or_b32_e32 v1, s14, v3
	global_store_byte v[4:5], v1, off
.LBB63_709:
	s_mov_b64 s[14:15], 0
.LBB63_710:
	s_andn2_b64 vcc, exec, s[14:15]
	s_cbranch_vccnz .LBB63_722
; %bb.711:
	v_cvt_f32_f64_e32 v1, s[2:3]
	v_readfirstlane_b32 s16, v1
	s_and_b32 s17, s16, 0x7fffffff
	s_cmp_lt_u32 s17, 0x47800000
	s_cbranch_scc0 .LBB63_714
; %bb.712:
	s_cmp_gt_u32 s17, 0x387fffff
	s_cbranch_scc0 .LBB63_715
; %bb.713:
	s_bfe_u32 s14, s16, 0x10015
	s_add_i32 s14, s16, s14
	s_add_i32 s14, s14, 0x80fffff
	s_lshr_b32 s18, s14, 21
	s_mov_b64 s[14:15], 0
	s_branch .LBB63_716
.LBB63_714:
	s_mov_b64 s[14:15], -1
                                        ; implicit-def: $vgpr3
	s_branch .LBB63_719
.LBB63_715:
	s_mov_b64 s[14:15], -1
                                        ; implicit-def: $sgpr18
.LBB63_716:
	s_andn2_b64 vcc, exec, s[14:15]
	v_mov_b32_e32 v3, s18
	s_cbranch_vccnz .LBB63_718
; %bb.717:
	s_mov_b32 s14, 0x43000000
	v_add_f32_e64 v3, |v1|, s14
.LBB63_718:
	s_mov_b64 s[14:15], 0
.LBB63_719:
	s_andn2_b64 vcc, exec, s[14:15]
	s_cbranch_vccnz .LBB63_721
; %bb.720:
	s_cmp_gt_u32 s17, 0x7f800000
	s_movk_i32 s14, 0x7f
	s_cselect_b32 s14, s14, 0x7c
	v_mov_b32_e32 v3, s14
.LBB63_721:
	s_lshr_b32 s14, s16, 24
	s_and_b32 s14, s14, 0x80
	v_or_b32_e32 v1, s14, v3
	global_store_byte v[4:5], v1, off
.LBB63_722:
	s_mov_b64 s[14:15], 0
	s_mov_b64 s[16:17], -1
.LBB63_723:
	s_andn2_b64 vcc, exec, s[14:15]
	s_mov_b64 s[14:15], 0
	s_cbranch_vccnz .LBB63_730
; %bb.724:
	v_cmp_gt_i16_e64 s[14:15], s24, 14
	s_mov_b64 s[18:19], -1
	s_and_b64 vcc, exec, s[14:15]
	s_cbranch_vccz .LBB63_728
; %bb.725:
	v_cmp_eq_u16_e64 s[14:15], s24, 15
	s_mov_b64 s[12:13], -1
	s_and_b64 vcc, exec, s[14:15]
	s_cbranch_vccz .LBB63_727
; %bb.726:
	v_cvt_f32_f64_e32 v1, s[2:3]
	v_bfe_u32 v3, v1, 16, 1
	v_add_u32_e32 v3, v1, v3
	v_add_u32_e32 v3, 0x7fff, v3
	v_lshrrev_b32_e32 v3, 16, v3
	v_mov_b32_e32 v6, 0x7fc0
	v_cmp_o_f32_e32 vcc, v1, v1
	v_cndmask_b32_e32 v1, v6, v3, vcc
	global_store_short v[4:5], v1, off
	s_mov_b64 s[12:13], 0
	s_mov_b64 s[16:17], -1
.LBB63_727:
	s_mov_b64 s[18:19], 0
.LBB63_728:
	s_mov_b64 s[14:15], 0
	s_and_b64 vcc, exec, s[18:19]
	s_cbranch_vccz .LBB63_730
; %bb.729:
	v_cmp_ne_u16_e64 s[12:13], s24, 11
	s_mov_b64 s[14:15], -1
.LBB63_730:
	s_and_b64 vcc, exec, s[12:13]
	s_cbranch_vccnz .LBB63_793
; %bb.731:
	s_andn2_b64 vcc, exec, s[14:15]
	s_cbranch_vccnz .LBB63_733
.LBB63_732:
	v_cmp_neq_f64_e64 s[12:13], s[2:3], 0
	v_cmp_neq_f64_e64 s[14:15], s[6:7], 0
	s_or_b64 s[12:13], s[12:13], s[14:15]
	v_cndmask_b32_e64 v1, 0, 1, s[12:13]
	s_mov_b64 s[16:17], -1
	global_store_byte v[4:5], v1, off
.LBB63_733:
	s_branch .LBB63_650
.LBB63_734:
	v_cmp_lt_i16_e64 s[14:15], s24, 5
	s_mov_b64 s[12:13], -1
	s_and_b64 vcc, exec, s[14:15]
	s_cbranch_vccnz .LBB63_755
; %bb.735:
	v_cmp_lt_i16_e64 s[14:15], s24, 8
	s_and_b64 vcc, exec, s[14:15]
	s_cbranch_vccnz .LBB63_745
; %bb.736:
	v_cmp_lt_i16_e64 s[14:15], s24, 9
	s_and_b64 vcc, exec, s[14:15]
	s_cbranch_vccnz .LBB63_742
; %bb.737:
	v_cmp_gt_i16_e64 s[14:15], s24, 9
	s_and_b64 vcc, exec, s[14:15]
	s_cbranch_vccz .LBB63_739
; %bb.738:
	v_mov_b32_e32 v6, s2
	v_mov_b32_e32 v7, s3
	;; [unrolled: 1-line block ×4, first 2 shown]
	global_store_dwordx4 v[4:5], v[6:9], off
	s_mov_b64 s[12:13], 0
.LBB63_739:
	s_andn2_b64 vcc, exec, s[12:13]
	s_cbranch_vccnz .LBB63_741
; %bb.740:
	v_cvt_f32_f64_e32 v7, s[6:7]
	v_cvt_f32_f64_e32 v6, s[4:5]
	global_store_dwordx2 v[4:5], v[6:7], off
.LBB63_741:
	s_mov_b64 s[12:13], 0
.LBB63_742:
	s_andn2_b64 vcc, exec, s[12:13]
	s_cbranch_vccnz .LBB63_744
; %bb.743:
	v_cvt_f32_f64_e32 v1, s[2:3]
	v_cvt_f32_f64_e32 v3, s[6:7]
	v_cvt_f16_f32_e32 v1, v1
	v_cvt_f16_f32_sdwa v3, v3 dst_sel:WORD_1 dst_unused:UNUSED_PAD src0_sel:DWORD
	v_or_b32_e32 v1, v3, v1
	global_store_dword v[4:5], v1, off
.LBB63_744:
	s_mov_b64 s[12:13], 0
.LBB63_745:
	s_andn2_b64 vcc, exec, s[12:13]
	s_cbranch_vccnz .LBB63_754
; %bb.746:
	v_cmp_lt_i16_e64 s[14:15], s24, 6
	s_mov_b64 s[12:13], -1
	s_and_b64 vcc, exec, s[14:15]
	s_cbranch_vccnz .LBB63_752
; %bb.747:
	v_cmp_gt_i16_e64 s[14:15], s24, 6
	s_and_b64 vcc, exec, s[14:15]
	s_cbranch_vccz .LBB63_749
; %bb.748:
	v_pk_mov_b32 v[6:7], s[2:3], s[2:3] op_sel:[0,1]
	global_store_dwordx2 v[4:5], v[6:7], off
	s_mov_b64 s[12:13], 0
.LBB63_749:
	s_andn2_b64 vcc, exec, s[12:13]
	s_cbranch_vccnz .LBB63_751
; %bb.750:
	v_cvt_f32_f64_e32 v1, s[2:3]
	global_store_dword v[4:5], v1, off
.LBB63_751:
	s_mov_b64 s[12:13], 0
.LBB63_752:
	s_andn2_b64 vcc, exec, s[12:13]
	s_cbranch_vccnz .LBB63_754
; %bb.753:
	v_cvt_f32_f64_e32 v1, s[2:3]
	v_cvt_f16_f32_e32 v1, v1
	global_store_short v[4:5], v1, off
.LBB63_754:
	s_mov_b64 s[12:13], 0
.LBB63_755:
	s_andn2_b64 vcc, exec, s[12:13]
	s_cbranch_vccnz .LBB63_771
; %bb.756:
	v_cmp_lt_i16_e64 s[14:15], s24, 2
	s_mov_b64 s[12:13], -1
	s_and_b64 vcc, exec, s[14:15]
	s_cbranch_vccnz .LBB63_766
; %bb.757:
	v_cmp_lt_i16_e64 s[14:15], s24, 3
	s_and_b64 vcc, exec, s[14:15]
	s_cbranch_vccnz .LBB63_763
; %bb.758:
	v_cmp_gt_i16_e64 s[14:15], s24, 3
	s_and_b64 vcc, exec, s[14:15]
	s_cbranch_vccz .LBB63_760
; %bb.759:
	v_trunc_f64_e32 v[6:7], s[2:3]
	s_movk_i32 s12, 0xffe0
	v_ldexp_f64 v[8:9], v[6:7], s12
	v_floor_f64_e32 v[8:9], v[8:9]
	v_fmac_f64_e32 v[6:7], 0xc1f00000, v[8:9]
	v_cvt_i32_f64_e32 v11, v[8:9]
	v_cvt_u32_f64_e32 v10, v[6:7]
	global_store_dwordx2 v[4:5], v[10:11], off
	s_mov_b64 s[12:13], 0
.LBB63_760:
	s_andn2_b64 vcc, exec, s[12:13]
	s_cbranch_vccnz .LBB63_762
; %bb.761:
	v_cvt_i32_f64_e32 v1, s[2:3]
	global_store_dword v[4:5], v1, off
.LBB63_762:
	s_mov_b64 s[12:13], 0
.LBB63_763:
	s_andn2_b64 vcc, exec, s[12:13]
	s_cbranch_vccnz .LBB63_765
; %bb.764:
	v_cvt_i32_f64_e32 v1, s[2:3]
	global_store_short v[4:5], v1, off
.LBB63_765:
	s_mov_b64 s[12:13], 0
.LBB63_766:
	s_andn2_b64 vcc, exec, s[12:13]
	s_cbranch_vccnz .LBB63_771
; %bb.767:
	v_cmp_gt_i16_e64 s[14:15], s24, 0
	s_mov_b64 s[12:13], -1
	s_and_b64 vcc, exec, s[14:15]
	s_cbranch_vccz .LBB63_769
; %bb.768:
	v_cvt_i32_f64_e32 v1, s[2:3]
	global_store_byte v[4:5], v1, off
	s_mov_b64 s[12:13], 0
.LBB63_769:
	s_andn2_b64 vcc, exec, s[12:13]
	s_cbranch_vccnz .LBB63_771
; %bb.770:
	v_trunc_f64_e32 v[6:7], s[2:3]
	s_movk_i32 s12, 0xffe0
	v_ldexp_f64 v[8:9], v[6:7], s12
	v_floor_f64_e32 v[8:9], v[8:9]
	v_fmac_f64_e32 v[6:7], 0xc1f00000, v[8:9]
	v_cvt_u32_f64_e32 v1, v[6:7]
	global_store_byte v[4:5], v1, off
.LBB63_771:
.LBB63_772:
	v_mov_b32_e32 v1, s1
	v_add_co_u32_e32 v2, vcc, s0, v2
	v_addc_co_u32_e32 v3, vcc, 0, v1, vcc
	s_and_b64 vcc, exec, s[10:11]
	s_cbranch_vccnz .LBB63_779
; %bb.773:
	v_cmp_gt_i16_e64 s[12:13], s24, 25
	s_mov_b64 s[18:19], -1
	s_mov_b64 s[14:15], 0
	s_and_b64 vcc, exec, s[12:13]
	s_mov_b64 s[16:17], 0
	s_mov_b64 s[12:13], 0
	s_cbranch_vccz .LBB63_847
; %bb.774:
	v_cmp_gt_i16_e64 s[12:13], s24, 28
	s_and_b64 vcc, exec, s[12:13]
	s_cbranch_vccz .LBB63_790
; %bb.775:
	v_cmp_gt_i16_e64 s[12:13], s24, 43
	s_and_b64 vcc, exec, s[12:13]
	s_cbranch_vccz .LBB63_791
; %bb.776:
	v_cmp_gt_i16_e64 s[12:13], s24, 45
	s_and_b64 vcc, exec, s[12:13]
	s_cbranch_vccz .LBB63_794
; %bb.777:
	v_cmp_eq_u16_e64 s[16:17], s24, 46
	s_mov_b64 s[12:13], -1
	s_mov_b64 s[18:19], 0
	s_and_b64 vcc, exec, s[16:17]
	s_mov_b64 s[16:17], 0
	s_cbranch_vccz .LBB63_795
; %bb.778:
	v_cvt_f32_f64_e32 v4, s[6:7]
	v_cvt_f32_f64_e32 v1, s[2:3]
	v_bfe_u32 v6, v4, 16, 1
	v_bfe_u32 v5, v1, 16, 1
	v_add_u32_e32 v6, v4, v6
	v_add_u32_e32 v5, v1, v5
	;; [unrolled: 1-line block ×4, first 2 shown]
	v_and_b32_e32 v6, 0xffff0000, v6
	v_mov_b32_e32 v7, 0x7fc00000
	v_cmp_o_f32_e32 vcc, v4, v4
	v_lshrrev_b32_e32 v5, 16, v5
	v_cndmask_b32_e32 v4, v7, v6, vcc
	v_mov_b32_e32 v6, 0x7fc0
	v_cmp_o_f32_e32 vcc, v1, v1
	v_cndmask_b32_e32 v1, v6, v5, vcc
	v_or_b32_e32 v1, v4, v1
	global_store_dword v[2:3], v1, off
	s_mov_b64 s[12:13], 0
	s_mov_b64 s[16:17], -1
	s_branch .LBB63_795
.LBB63_779:
	s_mov_b64 s[16:17], 0
	s_cbranch_execnz .LBB63_911
.LBB63_780:
	s_andn2_b64 vcc, exec, s[16:17]
	s_cbranch_vccnz .LBB63_949
.LBB63_781:
	v_mov_b32_e32 v1, s1
	v_add_co_u32_e32 v0, vcc, s0, v0
	v_addc_co_u32_e32 v1, vcc, 0, v1, vcc
	s_and_b64 vcc, exec, s[10:11]
	s_cbranch_vccnz .LBB63_789
; %bb.782:
	v_cmp_gt_i16_e64 s[0:1], s24, 25
	s_mov_b64 s[12:13], -1
	s_mov_b64 s[10:11], 0
	s_and_b64 vcc, exec, s[0:1]
	s_mov_b64 s[0:1], 0
	s_cbranch_vccz .LBB63_861
; %bb.783:
	v_cmp_gt_i16_e64 s[0:1], s24, 28
	s_and_b64 vcc, exec, s[0:1]
	s_cbranch_vccz .LBB63_792
; %bb.784:
	v_cmp_gt_i16_e64 s[0:1], s24, 43
	s_and_b64 vcc, exec, s[0:1]
	s_cbranch_vccz .LBB63_816
; %bb.785:
	v_cmp_gt_i16_e64 s[0:1], s24, 45
	s_and_b64 vcc, exec, s[0:1]
	s_cbranch_vccz .LBB63_817
; %bb.786:
	v_cmp_eq_u16_e64 s[12:13], s24, 46
	s_mov_b64 s[0:1], -1
	s_and_b64 vcc, exec, s[12:13]
	s_cbranch_vccz .LBB63_788
; %bb.787:
	v_cvt_f32_f64_e32 v3, s[4:5]
	v_cvt_f32_f64_e32 v2, s[6:7]
	v_bfe_u32 v4, v3, 16, 1
	v_bfe_u32 v5, v2, 16, 1
	v_add_u32_e32 v4, v3, v4
	v_add_u32_e32 v5, v2, v5
	;; [unrolled: 1-line block ×4, first 2 shown]
	v_lshrrev_b32_e32 v4, 16, v4
	v_mov_b32_e32 v6, 0x7fc0
	v_cmp_o_f32_e32 vcc, v3, v3
	v_and_b32_e32 v5, 0xffff0000, v5
	v_cndmask_b32_e32 v3, v6, v4, vcc
	v_mov_b32_e32 v4, 0x7fc00000
	v_cmp_o_f32_e32 vcc, v2, v2
	v_cndmask_b32_e32 v2, v4, v5, vcc
	v_or_b32_e32 v2, v2, v3
	global_store_dword v[0:1], v2, off
	s_mov_b64 s[0:1], 0
.LBB63_788:
	s_mov_b64 s[12:13], 0
	s_branch .LBB63_818
.LBB63_789:
	s_mov_b64 s[10:11], 0
	s_mov_b64 s[0:1], -1
	s_branch .LBB63_950
.LBB63_790:
	s_mov_b64 s[12:13], 0
	s_branch .LBB63_805
.LBB63_791:
	s_mov_b64 s[12:13], 0
	s_branch .LBB63_801
.LBB63_792:
	s_mov_b64 s[0:1], 0
	s_branch .LBB63_828
.LBB63_793:
	s_trap 2
	s_or_b64 s[8:9], s[8:9], exec
	s_cbranch_execz .LBB63_732
	s_branch .LBB63_733
.LBB63_794:
	s_mov_b64 s[12:13], 0
.LBB63_795:
	s_and_b64 vcc, exec, s[18:19]
	s_cbranch_vccz .LBB63_800
; %bb.796:
	v_cmp_eq_u16_e64 s[18:19], s24, 44
	s_mov_b64 s[12:13], -1
	s_and_b64 vcc, exec, s[18:19]
	s_cbranch_vccz .LBB63_800
; %bb.797:
	v_cvt_f32_f64_e32 v1, s[2:3]
	v_readfirstlane_b32 s12, v1
	s_bfe_u32 s13, s12, 0x80017
	s_cmpk_eq_i32 s13, 0xff
	v_mov_b32_e32 v4, 0xff
	s_cbranch_scc1 .LBB63_799
; %bb.798:
	s_bitcmp1_b32 s12, 22
	s_cselect_b64 s[16:17], -1, 0
	s_and_b32 s12, s12, 0x3fffff
	s_or_b32 s12, s13, s12
	s_cmp_lg_u32 s12, 0
	s_cselect_b64 s[12:13], -1, 0
	s_and_b64 s[12:13], s[16:17], s[12:13]
	v_lshrrev_b32_e32 v1, 23, v1
	v_cndmask_b32_e64 v4, 0, 1, s[12:13]
	v_add_u32_e32 v4, v1, v4
.LBB63_799:
	s_mov_b64 s[12:13], 0
	s_mov_b64 s[16:17], -1
	global_store_byte v[2:3], v4, off
.LBB63_800:
	s_mov_b64 s[18:19], 0
.LBB63_801:
	s_and_b64 vcc, exec, s[18:19]
	s_cbranch_vccz .LBB63_804
; %bb.802:
	v_cmp_eq_u16_e64 s[18:19], s24, 29
	s_mov_b64 s[12:13], -1
	s_and_b64 vcc, exec, s[18:19]
	s_cbranch_vccz .LBB63_804
; %bb.803:
	v_trunc_f64_e32 v[4:5], s[2:3]
	s_movk_i32 s12, 0xffe0
	v_ldexp_f64 v[6:7], v[4:5], s12
	v_floor_f64_e32 v[6:7], v[6:7]
	v_fmac_f64_e32 v[4:5], 0xc1f00000, v[6:7]
	v_cvt_u32_f64_e32 v9, v[6:7]
	v_cvt_u32_f64_e32 v8, v[4:5]
	global_store_dwordx2 v[2:3], v[8:9], off
	s_mov_b64 s[12:13], 0
	s_mov_b64 s[16:17], -1
.LBB63_804:
	s_mov_b64 s[18:19], 0
.LBB63_805:
	s_and_b64 vcc, exec, s[18:19]
	s_cbranch_vccz .LBB63_846
; %bb.806:
	v_cmp_lt_i16_e64 s[18:19], s24, 27
	s_mov_b64 s[16:17], -1
	s_and_b64 vcc, exec, s[18:19]
	s_cbranch_vccnz .LBB63_812
; %bb.807:
	v_cmp_gt_i16_e64 s[18:19], s24, 27
	s_and_b64 vcc, exec, s[18:19]
	s_cbranch_vccz .LBB63_809
; %bb.808:
	v_cvt_u32_f64_e32 v1, s[2:3]
	s_mov_b64 s[16:17], 0
	global_store_dword v[2:3], v1, off
.LBB63_809:
	s_andn2_b64 vcc, exec, s[16:17]
	s_cbranch_vccnz .LBB63_811
; %bb.810:
	v_cvt_u32_f64_e32 v1, s[2:3]
	global_store_short v[2:3], v1, off
.LBB63_811:
	s_mov_b64 s[16:17], 0
.LBB63_812:
	s_andn2_b64 vcc, exec, s[16:17]
	s_cbranch_vccnz .LBB63_845
; %bb.813:
	v_cvt_f32_f64_e32 v1, s[2:3]
	v_readfirstlane_b32 s25, v1
	s_and_b32 s16, s25, 0x7fffffff
	s_cmp_gt_u32 s16, 0x437fffff
	v_mov_b32_e32 v4, 0x80
	s_cbranch_scc1 .LBB63_844
; %bb.814:
	s_cmp_gt_u32 s16, 0x3bffffff
	s_cbranch_scc0 .LBB63_839
; %bb.815:
	s_bfe_u32 s16, s25, 0x10014
	s_add_i32 s16, s25, s16
	s_add_i32 s16, s16, 0x487ffff
	s_lshr_b32 s26, s16, 20
	s_mov_b64 s[18:19], 0
	s_mov_b64 s[16:17], -1
	s_branch .LBB63_840
.LBB63_816:
	s_mov_b64 s[0:1], 0
	s_branch .LBB63_824
.LBB63_817:
	s_mov_b64 s[0:1], 0
.LBB63_818:
	s_and_b64 vcc, exec, s[12:13]
	s_cbranch_vccz .LBB63_823
; %bb.819:
	v_cmp_eq_u16_e64 s[12:13], s24, 44
	s_mov_b64 s[0:1], -1
	s_and_b64 vcc, exec, s[12:13]
	s_cbranch_vccz .LBB63_823
; %bb.820:
	v_cvt_f32_f64_e32 v2, s[2:3]
	v_readfirstlane_b32 s0, v2
	s_bfe_u32 s1, s0, 0x80017
	s_cmpk_eq_i32 s1, 0xff
	v_mov_b32_e32 v3, 0xff
	s_cbranch_scc1 .LBB63_822
; %bb.821:
	s_bitcmp1_b32 s0, 22
	s_cselect_b64 s[12:13], -1, 0
	s_and_b32 s0, s0, 0x3fffff
	s_or_b32 s0, s1, s0
	s_cmp_lg_u32 s0, 0
	s_cselect_b64 s[0:1], -1, 0
	s_and_b64 s[0:1], s[12:13], s[0:1]
	v_lshrrev_b32_e32 v2, 23, v2
	v_cndmask_b32_e64 v3, 0, 1, s[0:1]
	v_add_u32_e32 v3, v2, v3
.LBB63_822:
	s_mov_b64 s[0:1], 0
	global_store_byte v[0:1], v3, off
.LBB63_823:
	s_mov_b64 s[12:13], 0
.LBB63_824:
	s_and_b64 vcc, exec, s[12:13]
	s_cbranch_vccz .LBB63_827
; %bb.825:
	v_cmp_eq_u16_e64 s[12:13], s24, 29
	s_mov_b64 s[0:1], -1
	s_and_b64 vcc, exec, s[12:13]
	s_cbranch_vccz .LBB63_827
; %bb.826:
	v_trunc_f64_e32 v[2:3], s[2:3]
	s_movk_i32 s0, 0xffe0
	v_ldexp_f64 v[4:5], v[2:3], s0
	v_floor_f64_e32 v[4:5], v[4:5]
	v_fmac_f64_e32 v[2:3], 0xc1f00000, v[4:5]
	v_cvt_u32_f64_e32 v7, v[4:5]
	v_cvt_u32_f64_e32 v6, v[2:3]
	global_store_dwordx2 v[0:1], v[6:7], off
	s_mov_b64 s[0:1], 0
.LBB63_827:
	s_mov_b64 s[12:13], 0
.LBB63_828:
	s_and_b64 vcc, exec, s[12:13]
	s_cbranch_vccz .LBB63_860
; %bb.829:
	v_cmp_lt_i16_e64 s[14:15], s24, 27
	s_mov_b64 s[12:13], -1
	s_and_b64 vcc, exec, s[14:15]
	s_cbranch_vccnz .LBB63_835
; %bb.830:
	v_cmp_gt_i16_e64 s[14:15], s24, 27
	s_and_b64 vcc, exec, s[14:15]
	v_cvt_u32_f64_e32 v2, s[2:3]
	s_cbranch_vccz .LBB63_832
; %bb.831:
	global_store_dword v[0:1], v2, off
	s_mov_b64 s[12:13], 0
.LBB63_832:
	s_andn2_b64 vcc, exec, s[12:13]
	s_cbranch_vccnz .LBB63_834
; %bb.833:
	global_store_short v[0:1], v2, off
.LBB63_834:
	s_mov_b64 s[12:13], 0
.LBB63_835:
	s_andn2_b64 vcc, exec, s[12:13]
	s_cbranch_vccnz .LBB63_860
; %bb.836:
	v_cvt_f32_f64_e32 v2, s[2:3]
	v_readfirstlane_b32 s16, v2
	s_and_b32 s12, s16, 0x7fffffff
	s_cmp_gt_u32 s12, 0x437fffff
	v_mov_b32_e32 v3, 0x80
	s_cbranch_scc1 .LBB63_859
; %bb.837:
	s_cmp_gt_u32 s12, 0x3bffffff
	s_cbranch_scc0 .LBB63_854
; %bb.838:
	s_bfe_u32 s12, s16, 0x10014
	s_add_i32 s12, s16, s12
	s_add_i32 s12, s12, 0x487ffff
	s_lshr_b32 s17, s12, 20
	s_mov_b64 s[14:15], 0
	s_mov_b64 s[12:13], -1
	s_branch .LBB63_855
.LBB63_839:
	s_mov_b64 s[18:19], -1
	s_mov_b64 s[16:17], 0
                                        ; implicit-def: $sgpr26
.LBB63_840:
	s_andn2_b64 vcc, exec, s[18:19]
	v_mov_b32_e32 v1, s26
                                        ; implicit-def: $sgpr18
	s_cbranch_vccnz .LBB63_842
; %bb.841:
	v_mov_b32_e32 v1, 0x46000000
	v_add_f32_e64 v1, |s25|, v1
	v_and_b32_e32 v1, 0xff, v1
	s_mov_b32 s18, 0
	v_cmp_ne_u32_e64 s[16:17], 0, v1
.LBB63_842:
	s_andn2_b64 vcc, exec, s[16:17]
	v_mov_b32_e32 v4, s18
	s_cbranch_vccnz .LBB63_844
; %bb.843:
	s_lshr_b32 s16, s25, 24
	s_and_b32 s16, s16, 0x80
	v_or_b32_e32 v4, s16, v1
.LBB63_844:
	global_store_byte v[2:3], v4, off
.LBB63_845:
	s_mov_b64 s[16:17], -1
.LBB63_846:
	s_mov_b64 s[18:19], 0
.LBB63_847:
	s_and_b64 vcc, exec, s[18:19]
	s_cbranch_vccz .LBB63_907
; %bb.848:
	v_cmp_gt_i16_e64 s[18:19], s24, 22
	s_mov_b64 s[14:15], -1
	s_and_b64 vcc, exec, s[18:19]
	s_cbranch_vccz .LBB63_900
; %bb.849:
	v_cmp_lt_i16_e64 s[16:17], s24, 24
	s_and_b64 vcc, exec, s[16:17]
	s_cbranch_vccnz .LBB63_887
; %bb.850:
	v_cmp_gt_i16_e64 s[16:17], s24, 24
	s_and_b64 vcc, exec, s[16:17]
	s_cbranch_vccz .LBB63_874
; %bb.851:
	v_cvt_f32_f64_e32 v1, s[2:3]
	v_readfirstlane_b32 s18, v1
	s_and_b32 s14, s18, 0x7fffffff
	s_cmp_gt_u32 s14, 0x477fffff
	v_mov_b32_e32 v4, 0x80
	s_cbranch_scc1 .LBB63_873
; %bb.852:
	s_cmp_gt_u32 s14, 0x37ffffff
	s_cbranch_scc0 .LBB63_868
; %bb.853:
	s_bfe_u32 s14, s18, 0x10015
	s_add_i32 s14, s18, s14
	s_add_i32 s14, s14, 0x88fffff
	s_lshr_b32 s19, s14, 21
	s_mov_b64 s[16:17], 0
	s_mov_b64 s[14:15], -1
	s_branch .LBB63_869
.LBB63_854:
	s_mov_b64 s[14:15], -1
	s_mov_b64 s[12:13], 0
                                        ; implicit-def: $sgpr17
.LBB63_855:
	s_andn2_b64 vcc, exec, s[14:15]
	v_mov_b32_e32 v2, s17
                                        ; implicit-def: $sgpr14
	s_cbranch_vccnz .LBB63_857
; %bb.856:
	v_mov_b32_e32 v2, 0x46000000
	v_add_f32_e64 v2, |s16|, v2
	v_and_b32_e32 v2, 0xff, v2
	s_mov_b32 s14, 0
	v_cmp_ne_u32_e64 s[12:13], 0, v2
.LBB63_857:
	s_andn2_b64 vcc, exec, s[12:13]
	v_mov_b32_e32 v3, s14
	s_cbranch_vccnz .LBB63_859
; %bb.858:
	s_lshr_b32 s12, s16, 24
	s_and_b32 s12, s12, 0x80
	v_or_b32_e32 v3, s12, v2
.LBB63_859:
	global_store_byte v[0:1], v3, off
.LBB63_860:
	s_mov_b64 s[12:13], 0
.LBB63_861:
	s_and_b64 vcc, exec, s[12:13]
	s_cbranch_vccz .LBB63_1034
; %bb.862:
	v_cmp_gt_i16_e64 s[12:13], s24, 22
	s_mov_b64 s[10:11], -1
	s_and_b64 vcc, exec, s[12:13]
	s_cbranch_vccz .LBB63_1027
; %bb.863:
	v_cmp_lt_i16_e64 s[12:13], s24, 24
	s_and_b64 vcc, exec, s[12:13]
	s_cbranch_vccnz .LBB63_1014
; %bb.864:
	v_cmp_gt_i16_e64 s[12:13], s24, 24
	s_and_b64 vcc, exec, s[12:13]
	s_cbranch_vccz .LBB63_1001
; %bb.865:
	v_cvt_f32_f64_e32 v2, s[2:3]
	v_readfirstlane_b32 s14, v2
	s_and_b32 s10, s14, 0x7fffffff
	s_cmp_gt_u32 s10, 0x477fffff
	v_mov_b32_e32 v3, 0x80
	s_cbranch_scc1 .LBB63_1000
; %bb.866:
	s_cmp_gt_u32 s10, 0x37ffffff
	s_cbranch_scc0 .LBB63_995
; %bb.867:
	s_bfe_u32 s10, s14, 0x10015
	s_add_i32 s10, s14, s10
	s_add_i32 s10, s10, 0x88fffff
	s_lshr_b32 s15, s10, 21
	s_mov_b64 s[12:13], 0
	s_mov_b64 s[10:11], -1
	s_branch .LBB63_996
.LBB63_868:
	s_mov_b64 s[16:17], -1
	s_mov_b64 s[14:15], 0
                                        ; implicit-def: $sgpr19
.LBB63_869:
	s_andn2_b64 vcc, exec, s[16:17]
	v_mov_b32_e32 v1, s19
                                        ; implicit-def: $sgpr16
	s_cbranch_vccnz .LBB63_871
; %bb.870:
	v_mov_b32_e32 v1, 0x42800000
	v_add_f32_e64 v1, |s18|, v1
	v_and_b32_e32 v1, 0xff, v1
	s_mov_b32 s16, 0
	v_cmp_ne_u32_e64 s[14:15], 0, v1
.LBB63_871:
	s_andn2_b64 vcc, exec, s[14:15]
	v_mov_b32_e32 v4, s16
	s_cbranch_vccnz .LBB63_873
; %bb.872:
	s_lshr_b32 s14, s18, 24
	s_and_b32 s14, s14, 0x80
	v_or_b32_e32 v4, s14, v1
.LBB63_873:
	s_mov_b64 s[14:15], 0
	global_store_byte v[2:3], v4, off
.LBB63_874:
	s_and_b64 vcc, exec, s[14:15]
	s_cbranch_vccz .LBB63_886
; %bb.875:
	v_cvt_f32_f64_e32 v1, s[2:3]
	v_readfirstlane_b32 s16, v1
	s_and_b32 s17, s16, 0x7fffffff
	s_cmp_lt_u32 s17, 0x43f00000
	s_cbranch_scc0 .LBB63_878
; %bb.876:
	s_cmp_gt_u32 s17, 0x3c7fffff
	s_cbranch_scc0 .LBB63_879
; %bb.877:
	s_bfe_u32 s14, s16, 0x10014
	s_add_i32 s14, s16, s14
	s_add_i32 s14, s14, 0x407ffff
	s_lshr_b32 s15, s14, 20
	s_and_b32 s14, s14, 0xff00000
	s_cmp_lg_u32 s14, 0x7f00000
	s_cselect_b32 s18, s15, 0x7e
	s_mov_b64 s[14:15], 0
	s_branch .LBB63_880
.LBB63_878:
	s_mov_b64 s[14:15], -1
                                        ; implicit-def: $vgpr4
	s_branch .LBB63_883
.LBB63_879:
	s_mov_b64 s[14:15], -1
                                        ; implicit-def: $sgpr18
.LBB63_880:
	s_andn2_b64 vcc, exec, s[14:15]
	v_mov_b32_e32 v4, s18
	s_cbranch_vccnz .LBB63_882
; %bb.881:
	s_mov_b32 s14, 0x46800000
	v_add_f32_e64 v4, |v1|, s14
.LBB63_882:
	s_mov_b64 s[14:15], 0
.LBB63_883:
	s_andn2_b64 vcc, exec, s[14:15]
	s_cbranch_vccnz .LBB63_885
; %bb.884:
	s_cmp_gt_u32 s17, 0x7f800000
	s_movk_i32 s14, 0x7f
	s_cselect_b32 s14, s14, 0x7e
	v_mov_b32_e32 v4, s14
.LBB63_885:
	s_lshr_b32 s14, s16, 24
	s_and_b32 s14, s14, 0x80
	v_or_b32_e32 v1, s14, v4
	global_store_byte v[2:3], v1, off
.LBB63_886:
	s_mov_b64 s[14:15], 0
.LBB63_887:
	s_andn2_b64 vcc, exec, s[14:15]
	s_cbranch_vccnz .LBB63_899
; %bb.888:
	v_cvt_f32_f64_e32 v1, s[2:3]
	v_readfirstlane_b32 s16, v1
	s_and_b32 s17, s16, 0x7fffffff
	s_cmp_lt_u32 s17, 0x47800000
	s_cbranch_scc0 .LBB63_891
; %bb.889:
	s_cmp_gt_u32 s17, 0x387fffff
	s_cbranch_scc0 .LBB63_892
; %bb.890:
	s_bfe_u32 s14, s16, 0x10015
	s_add_i32 s14, s16, s14
	s_add_i32 s14, s14, 0x80fffff
	s_lshr_b32 s18, s14, 21
	s_mov_b64 s[14:15], 0
	s_branch .LBB63_893
.LBB63_891:
	s_mov_b64 s[14:15], -1
                                        ; implicit-def: $vgpr4
	s_branch .LBB63_896
.LBB63_892:
	s_mov_b64 s[14:15], -1
                                        ; implicit-def: $sgpr18
.LBB63_893:
	s_andn2_b64 vcc, exec, s[14:15]
	v_mov_b32_e32 v4, s18
	s_cbranch_vccnz .LBB63_895
; %bb.894:
	s_mov_b32 s14, 0x43000000
	v_add_f32_e64 v4, |v1|, s14
.LBB63_895:
	s_mov_b64 s[14:15], 0
.LBB63_896:
	s_andn2_b64 vcc, exec, s[14:15]
	s_cbranch_vccnz .LBB63_898
; %bb.897:
	s_cmp_gt_u32 s17, 0x7f800000
	s_movk_i32 s14, 0x7f
	s_cselect_b32 s14, s14, 0x7c
	v_mov_b32_e32 v4, s14
.LBB63_898:
	s_lshr_b32 s14, s16, 24
	s_and_b32 s14, s14, 0x80
	v_or_b32_e32 v1, s14, v4
	global_store_byte v[2:3], v1, off
.LBB63_899:
	s_mov_b64 s[14:15], 0
	s_mov_b64 s[16:17], -1
.LBB63_900:
	s_andn2_b64 vcc, exec, s[14:15]
	s_mov_b64 s[14:15], 0
	s_cbranch_vccnz .LBB63_907
; %bb.901:
	v_cmp_gt_i16_e64 s[14:15], s24, 14
	s_mov_b64 s[18:19], -1
	s_and_b64 vcc, exec, s[14:15]
	s_cbranch_vccz .LBB63_905
; %bb.902:
	v_cmp_eq_u16_e64 s[14:15], s24, 15
	s_mov_b64 s[12:13], -1
	s_and_b64 vcc, exec, s[14:15]
	s_cbranch_vccz .LBB63_904
; %bb.903:
	v_cvt_f32_f64_e32 v1, s[2:3]
	v_bfe_u32 v4, v1, 16, 1
	v_add_u32_e32 v4, v1, v4
	v_add_u32_e32 v4, 0x7fff, v4
	v_lshrrev_b32_e32 v4, 16, v4
	v_mov_b32_e32 v5, 0x7fc0
	v_cmp_o_f32_e32 vcc, v1, v1
	v_cndmask_b32_e32 v1, v5, v4, vcc
	global_store_short v[2:3], v1, off
	s_mov_b64 s[12:13], 0
	s_mov_b64 s[16:17], -1
.LBB63_904:
	s_mov_b64 s[18:19], 0
.LBB63_905:
	s_mov_b64 s[14:15], 0
	s_and_b64 vcc, exec, s[18:19]
	s_cbranch_vccz .LBB63_907
; %bb.906:
	v_cmp_ne_u16_e64 s[12:13], s24, 11
	s_mov_b64 s[14:15], -1
.LBB63_907:
	s_and_b64 vcc, exec, s[12:13]
	s_cbranch_vccnz .LBB63_994
; %bb.908:
	s_andn2_b64 vcc, exec, s[14:15]
	s_cbranch_vccnz .LBB63_910
.LBB63_909:
	v_cmp_neq_f64_e64 s[12:13], s[2:3], 0
	v_cmp_neq_f64_e64 s[14:15], s[6:7], 0
	s_or_b64 s[12:13], s[12:13], s[14:15]
	v_cndmask_b32_e64 v1, 0, 1, s[12:13]
	s_mov_b64 s[16:17], -1
	global_store_byte v[2:3], v1, off
.LBB63_910:
	s_branch .LBB63_780
.LBB63_911:
	v_cmp_lt_i16_e64 s[14:15], s24, 5
	s_mov_b64 s[12:13], -1
	s_and_b64 vcc, exec, s[14:15]
	s_cbranch_vccnz .LBB63_932
; %bb.912:
	v_cmp_lt_i16_e64 s[14:15], s24, 8
	s_and_b64 vcc, exec, s[14:15]
	s_cbranch_vccnz .LBB63_922
; %bb.913:
	v_cmp_lt_i16_e64 s[14:15], s24, 9
	s_and_b64 vcc, exec, s[14:15]
	s_cbranch_vccnz .LBB63_919
; %bb.914:
	v_cmp_gt_i16_e64 s[14:15], s24, 9
	s_and_b64 vcc, exec, s[14:15]
	s_cbranch_vccz .LBB63_916
; %bb.915:
	v_mov_b32_e32 v4, s2
	v_mov_b32_e32 v5, s3
	v_mov_b32_e32 v6, s6
	v_mov_b32_e32 v7, s7
	global_store_dwordx4 v[2:3], v[4:7], off
	s_mov_b64 s[12:13], 0
.LBB63_916:
	s_andn2_b64 vcc, exec, s[12:13]
	s_cbranch_vccnz .LBB63_918
; %bb.917:
	v_cvt_f32_f64_e32 v5, s[6:7]
	v_cvt_f32_f64_e32 v4, s[4:5]
	global_store_dwordx2 v[2:3], v[4:5], off
.LBB63_918:
	s_mov_b64 s[12:13], 0
.LBB63_919:
	s_andn2_b64 vcc, exec, s[12:13]
	s_cbranch_vccnz .LBB63_921
; %bb.920:
	v_cvt_f32_f64_e32 v1, s[2:3]
	v_cvt_f32_f64_e32 v4, s[6:7]
	v_cvt_f16_f32_e32 v1, v1
	v_cvt_f16_f32_sdwa v4, v4 dst_sel:WORD_1 dst_unused:UNUSED_PAD src0_sel:DWORD
	v_or_b32_e32 v1, v4, v1
	global_store_dword v[2:3], v1, off
.LBB63_921:
	s_mov_b64 s[12:13], 0
.LBB63_922:
	s_andn2_b64 vcc, exec, s[12:13]
	s_cbranch_vccnz .LBB63_931
; %bb.923:
	v_cmp_lt_i16_e64 s[14:15], s24, 6
	s_mov_b64 s[12:13], -1
	s_and_b64 vcc, exec, s[14:15]
	s_cbranch_vccnz .LBB63_929
; %bb.924:
	v_cmp_gt_i16_e64 s[14:15], s24, 6
	s_and_b64 vcc, exec, s[14:15]
	s_cbranch_vccz .LBB63_926
; %bb.925:
	v_pk_mov_b32 v[4:5], s[2:3], s[2:3] op_sel:[0,1]
	global_store_dwordx2 v[2:3], v[4:5], off
	s_mov_b64 s[12:13], 0
.LBB63_926:
	s_andn2_b64 vcc, exec, s[12:13]
	s_cbranch_vccnz .LBB63_928
; %bb.927:
	v_cvt_f32_f64_e32 v1, s[2:3]
	global_store_dword v[2:3], v1, off
.LBB63_928:
	s_mov_b64 s[12:13], 0
.LBB63_929:
	s_andn2_b64 vcc, exec, s[12:13]
	s_cbranch_vccnz .LBB63_931
; %bb.930:
	v_cvt_f32_f64_e32 v1, s[2:3]
	v_cvt_f16_f32_e32 v1, v1
	global_store_short v[2:3], v1, off
.LBB63_931:
	s_mov_b64 s[12:13], 0
.LBB63_932:
	s_andn2_b64 vcc, exec, s[12:13]
	s_cbranch_vccnz .LBB63_948
; %bb.933:
	v_cmp_lt_i16_e64 s[14:15], s24, 2
	s_mov_b64 s[12:13], -1
	s_and_b64 vcc, exec, s[14:15]
	s_cbranch_vccnz .LBB63_943
; %bb.934:
	v_cmp_lt_i16_e64 s[14:15], s24, 3
	s_and_b64 vcc, exec, s[14:15]
	s_cbranch_vccnz .LBB63_940
; %bb.935:
	v_cmp_gt_i16_e64 s[14:15], s24, 3
	s_and_b64 vcc, exec, s[14:15]
	s_cbranch_vccz .LBB63_937
; %bb.936:
	v_trunc_f64_e32 v[4:5], s[2:3]
	s_movk_i32 s12, 0xffe0
	v_ldexp_f64 v[6:7], v[4:5], s12
	v_floor_f64_e32 v[6:7], v[6:7]
	v_fmac_f64_e32 v[4:5], 0xc1f00000, v[6:7]
	v_cvt_i32_f64_e32 v9, v[6:7]
	v_cvt_u32_f64_e32 v8, v[4:5]
	global_store_dwordx2 v[2:3], v[8:9], off
	s_mov_b64 s[12:13], 0
.LBB63_937:
	s_andn2_b64 vcc, exec, s[12:13]
	s_cbranch_vccnz .LBB63_939
; %bb.938:
	v_cvt_i32_f64_e32 v1, s[2:3]
	global_store_dword v[2:3], v1, off
.LBB63_939:
	s_mov_b64 s[12:13], 0
.LBB63_940:
	s_andn2_b64 vcc, exec, s[12:13]
	s_cbranch_vccnz .LBB63_942
; %bb.941:
	v_cvt_i32_f64_e32 v1, s[2:3]
	global_store_short v[2:3], v1, off
.LBB63_942:
	s_mov_b64 s[12:13], 0
.LBB63_943:
	s_andn2_b64 vcc, exec, s[12:13]
	s_cbranch_vccnz .LBB63_948
; %bb.944:
	v_cmp_gt_i16_e64 s[14:15], s24, 0
	s_mov_b64 s[12:13], -1
	s_and_b64 vcc, exec, s[14:15]
	s_cbranch_vccz .LBB63_946
; %bb.945:
	v_cvt_i32_f64_e32 v1, s[2:3]
	global_store_byte v[2:3], v1, off
	s_mov_b64 s[12:13], 0
.LBB63_946:
	s_andn2_b64 vcc, exec, s[12:13]
	s_cbranch_vccnz .LBB63_948
; %bb.947:
	v_trunc_f64_e32 v[4:5], s[2:3]
	s_movk_i32 s12, 0xffe0
	v_ldexp_f64 v[6:7], v[4:5], s12
	v_floor_f64_e32 v[6:7], v[6:7]
	v_fmac_f64_e32 v[4:5], 0xc1f00000, v[6:7]
	v_cvt_u32_f64_e32 v1, v[4:5]
	global_store_byte v[2:3], v1, off
.LBB63_948:
	s_branch .LBB63_781
.LBB63_949:
	s_mov_b64 s[0:1], 0
	s_mov_b64 s[10:11], 0
                                        ; implicit-def: $sgpr24
                                        ; implicit-def: $vgpr0_vgpr1
.LBB63_950:
	s_and_b64 s[36:37], s[10:11], exec
	s_andn2_b64 s[10:11], s[20:21], exec
	s_and_b64 s[8:9], s[8:9], exec
	s_and_b64 s[0:1], s[0:1], exec
	s_or_b64 s[20:21], s[10:11], s[8:9]
.LBB63_951:
	s_or_b64 exec, exec, s[22:23]
	s_and_saveexec_b64 s[8:9], s[20:21]
	s_cbranch_execz .LBB63_954
; %bb.952:
	; divergent unreachable
	s_or_b64 exec, exec, s[8:9]
	s_and_saveexec_b64 s[8:9], s[36:37]
	s_xor_b64 s[8:9], exec, s[8:9]
	s_cbranch_execnz .LBB63_955
.LBB63_953:
	s_or_b64 exec, exec, s[8:9]
	s_and_saveexec_b64 s[8:9], s[0:1]
	s_cbranch_execnz .LBB63_956
	s_branch .LBB63_993
.LBB63_954:
	s_or_b64 exec, exec, s[8:9]
	s_and_saveexec_b64 s[8:9], s[36:37]
	s_xor_b64 s[8:9], exec, s[8:9]
	s_cbranch_execz .LBB63_953
.LBB63_955:
	v_cmp_neq_f64_e64 s[10:11], s[2:3], 0
	v_cmp_neq_f64_e64 s[12:13], s[6:7], 0
	s_or_b64 s[10:11], s[10:11], s[12:13]
	v_cndmask_b32_e64 v2, 0, 1, s[10:11]
	global_store_byte v[0:1], v2, off
	s_or_b64 exec, exec, s[8:9]
	s_and_saveexec_b64 s[8:9], s[0:1]
	s_cbranch_execz .LBB63_993
.LBB63_956:
	v_cmp_lt_i16_e64 s[8:9], s24, 5
	s_mov_b64 s[0:1], -1
	s_and_b64 vcc, exec, s[8:9]
	s_cbranch_vccnz .LBB63_977
; %bb.957:
	v_cmp_lt_i16_e64 s[8:9], s24, 8
	s_and_b64 vcc, exec, s[8:9]
	s_cbranch_vccnz .LBB63_967
; %bb.958:
	v_cmp_lt_i16_e64 s[8:9], s24, 9
	s_and_b64 vcc, exec, s[8:9]
	s_cbranch_vccnz .LBB63_964
; %bb.959:
	v_cmp_gt_i16_e64 s[8:9], s24, 9
	s_and_b64 vcc, exec, s[8:9]
	s_cbranch_vccz .LBB63_961
; %bb.960:
	v_mov_b32_e32 v2, s2
	v_mov_b32_e32 v3, s3
	;; [unrolled: 1-line block ×4, first 2 shown]
	global_store_dwordx4 v[0:1], v[2:5], off
	s_mov_b64 s[0:1], 0
.LBB63_961:
	s_andn2_b64 vcc, exec, s[0:1]
	s_cbranch_vccnz .LBB63_963
; %bb.962:
	v_cvt_f32_f64_e32 v3, s[6:7]
	v_cvt_f32_f64_e32 v2, s[4:5]
	global_store_dwordx2 v[0:1], v[2:3], off
.LBB63_963:
	s_mov_b64 s[0:1], 0
.LBB63_964:
	s_andn2_b64 vcc, exec, s[0:1]
	s_cbranch_vccnz .LBB63_966
; %bb.965:
	v_cvt_f32_f64_e32 v2, s[2:3]
	v_cvt_f32_f64_e32 v3, s[6:7]
	v_cvt_f16_f32_e32 v2, v2
	v_cvt_f16_f32_sdwa v3, v3 dst_sel:WORD_1 dst_unused:UNUSED_PAD src0_sel:DWORD
	v_or_b32_e32 v2, v3, v2
	global_store_dword v[0:1], v2, off
.LBB63_966:
	s_mov_b64 s[0:1], 0
.LBB63_967:
	s_andn2_b64 vcc, exec, s[0:1]
	s_cbranch_vccnz .LBB63_976
; %bb.968:
	v_cmp_lt_i16_e64 s[4:5], s24, 6
	s_mov_b64 s[0:1], -1
	s_and_b64 vcc, exec, s[4:5]
	s_cbranch_vccnz .LBB63_974
; %bb.969:
	v_cmp_gt_i16_e64 s[4:5], s24, 6
	s_and_b64 vcc, exec, s[4:5]
	s_cbranch_vccz .LBB63_971
; %bb.970:
	v_pk_mov_b32 v[2:3], s[2:3], s[2:3] op_sel:[0,1]
	global_store_dwordx2 v[0:1], v[2:3], off
	s_mov_b64 s[0:1], 0
.LBB63_971:
	s_andn2_b64 vcc, exec, s[0:1]
	s_cbranch_vccnz .LBB63_973
; %bb.972:
	v_cvt_f32_f64_e32 v2, s[2:3]
	global_store_dword v[0:1], v2, off
.LBB63_973:
	s_mov_b64 s[0:1], 0
.LBB63_974:
	s_andn2_b64 vcc, exec, s[0:1]
	s_cbranch_vccnz .LBB63_976
; %bb.975:
	v_cvt_f32_f64_e32 v2, s[2:3]
	v_cvt_f16_f32_e32 v2, v2
	global_store_short v[0:1], v2, off
.LBB63_976:
	s_mov_b64 s[0:1], 0
.LBB63_977:
	s_andn2_b64 vcc, exec, s[0:1]
	s_cbranch_vccnz .LBB63_993
; %bb.978:
	v_cmp_lt_i16_e64 s[4:5], s24, 2
	s_mov_b64 s[0:1], -1
	s_and_b64 vcc, exec, s[4:5]
	s_cbranch_vccnz .LBB63_988
; %bb.979:
	v_cmp_lt_i16_e64 s[4:5], s24, 3
	s_and_b64 vcc, exec, s[4:5]
	s_cbranch_vccnz .LBB63_985
; %bb.980:
	v_cmp_gt_i16_e64 s[4:5], s24, 3
	s_and_b64 vcc, exec, s[4:5]
	s_cbranch_vccz .LBB63_982
; %bb.981:
	v_trunc_f64_e32 v[2:3], s[2:3]
	s_movk_i32 s0, 0xffe0
	v_ldexp_f64 v[4:5], v[2:3], s0
	v_floor_f64_e32 v[4:5], v[4:5]
	v_fmac_f64_e32 v[2:3], 0xc1f00000, v[4:5]
	v_cvt_i32_f64_e32 v7, v[4:5]
	v_cvt_u32_f64_e32 v6, v[2:3]
	global_store_dwordx2 v[0:1], v[6:7], off
	s_mov_b64 s[0:1], 0
.LBB63_982:
	s_andn2_b64 vcc, exec, s[0:1]
	s_cbranch_vccnz .LBB63_984
; %bb.983:
	v_cvt_i32_f64_e32 v2, s[2:3]
	global_store_dword v[0:1], v2, off
.LBB63_984:
	s_mov_b64 s[0:1], 0
.LBB63_985:
	s_andn2_b64 vcc, exec, s[0:1]
	s_cbranch_vccnz .LBB63_987
; %bb.986:
	v_cvt_i32_f64_e32 v2, s[2:3]
	global_store_short v[0:1], v2, off
.LBB63_987:
	s_mov_b64 s[0:1], 0
.LBB63_988:
	s_andn2_b64 vcc, exec, s[0:1]
	s_cbranch_vccnz .LBB63_993
; %bb.989:
	v_cmp_gt_i16_e64 s[4:5], s24, 0
	s_mov_b64 s[0:1], -1
	s_and_b64 vcc, exec, s[4:5]
	s_cbranch_vccz .LBB63_991
; %bb.990:
	v_cvt_i32_f64_e32 v2, s[2:3]
	global_store_byte v[0:1], v2, off
	s_mov_b64 s[0:1], 0
.LBB63_991:
	s_andn2_b64 vcc, exec, s[0:1]
	s_cbranch_vccnz .LBB63_993
; %bb.992:
	v_trunc_f64_e32 v[2:3], s[2:3]
	s_movk_i32 s0, 0xffe0
	v_ldexp_f64 v[4:5], v[2:3], s0
	v_floor_f64_e32 v[4:5], v[4:5]
	v_fmac_f64_e32 v[2:3], 0xc1f00000, v[4:5]
	v_cvt_u32_f64_e32 v2, v[2:3]
	global_store_byte v[0:1], v2, off
	s_endpgm
.LBB63_993:
	s_endpgm
.LBB63_994:
	s_trap 2
	s_or_b64 s[8:9], s[8:9], exec
	s_cbranch_execz .LBB63_909
	s_branch .LBB63_910
.LBB63_995:
	s_mov_b64 s[12:13], -1
	s_mov_b64 s[10:11], 0
                                        ; implicit-def: $sgpr15
.LBB63_996:
	s_andn2_b64 vcc, exec, s[12:13]
	v_mov_b32_e32 v2, s15
                                        ; implicit-def: $sgpr12
	s_cbranch_vccnz .LBB63_998
; %bb.997:
	v_mov_b32_e32 v2, 0x42800000
	v_add_f32_e64 v2, |s14|, v2
	v_and_b32_e32 v2, 0xff, v2
	s_mov_b32 s12, 0
	v_cmp_ne_u32_e64 s[10:11], 0, v2
.LBB63_998:
	s_andn2_b64 vcc, exec, s[10:11]
	v_mov_b32_e32 v3, s12
	s_cbranch_vccnz .LBB63_1000
; %bb.999:
	s_lshr_b32 s10, s14, 24
	s_and_b32 s10, s10, 0x80
	v_or_b32_e32 v3, s10, v2
.LBB63_1000:
	s_mov_b64 s[10:11], 0
	global_store_byte v[0:1], v3, off
.LBB63_1001:
	s_and_b64 vcc, exec, s[10:11]
	s_cbranch_vccz .LBB63_1013
; %bb.1002:
	v_cvt_f32_f64_e32 v2, s[2:3]
	v_readfirstlane_b32 s12, v2
	s_and_b32 s13, s12, 0x7fffffff
	s_cmp_lt_u32 s13, 0x43f00000
	s_cbranch_scc0 .LBB63_1005
; %bb.1003:
	s_cmp_gt_u32 s13, 0x3c7fffff
	s_cbranch_scc0 .LBB63_1006
; %bb.1004:
	s_bfe_u32 s10, s12, 0x10014
	s_add_i32 s10, s12, s10
	s_add_i32 s10, s10, 0x407ffff
	s_lshr_b32 s11, s10, 20
	s_and_b32 s10, s10, 0xff00000
	s_cmp_lg_u32 s10, 0x7f00000
	s_cselect_b32 s14, s11, 0x7e
	s_mov_b64 s[10:11], 0
	s_branch .LBB63_1007
.LBB63_1005:
	s_mov_b64 s[10:11], -1
                                        ; implicit-def: $vgpr3
	s_branch .LBB63_1010
.LBB63_1006:
	s_mov_b64 s[10:11], -1
                                        ; implicit-def: $sgpr14
.LBB63_1007:
	s_andn2_b64 vcc, exec, s[10:11]
	v_mov_b32_e32 v3, s14
	s_cbranch_vccnz .LBB63_1009
; %bb.1008:
	s_mov_b32 s10, 0x46800000
	v_add_f32_e64 v3, |v2|, s10
.LBB63_1009:
	s_mov_b64 s[10:11], 0
.LBB63_1010:
	s_andn2_b64 vcc, exec, s[10:11]
	s_cbranch_vccnz .LBB63_1012
; %bb.1011:
	s_cmp_gt_u32 s13, 0x7f800000
	s_movk_i32 s10, 0x7f
	s_cselect_b32 s10, s10, 0x7e
	v_mov_b32_e32 v3, s10
.LBB63_1012:
	s_lshr_b32 s10, s12, 24
	s_and_b32 s10, s10, 0x80
	v_or_b32_e32 v2, s10, v3
	global_store_byte v[0:1], v2, off
.LBB63_1013:
	s_mov_b64 s[10:11], 0
.LBB63_1014:
	s_andn2_b64 vcc, exec, s[10:11]
	s_cbranch_vccnz .LBB63_1026
; %bb.1015:
	v_cvt_f32_f64_e32 v2, s[2:3]
	v_readfirstlane_b32 s12, v2
	s_and_b32 s13, s12, 0x7fffffff
	s_cmp_lt_u32 s13, 0x47800000
	s_cbranch_scc0 .LBB63_1018
; %bb.1016:
	s_cmp_gt_u32 s13, 0x387fffff
	s_cbranch_scc0 .LBB63_1019
; %bb.1017:
	s_bfe_u32 s10, s12, 0x10015
	s_add_i32 s10, s12, s10
	s_add_i32 s10, s10, 0x80fffff
	s_lshr_b32 s14, s10, 21
	s_mov_b64 s[10:11], 0
	s_branch .LBB63_1020
.LBB63_1018:
	s_mov_b64 s[10:11], -1
                                        ; implicit-def: $vgpr3
	s_branch .LBB63_1023
.LBB63_1019:
	s_mov_b64 s[10:11], -1
                                        ; implicit-def: $sgpr14
.LBB63_1020:
	s_andn2_b64 vcc, exec, s[10:11]
	v_mov_b32_e32 v3, s14
	s_cbranch_vccnz .LBB63_1022
; %bb.1021:
	s_mov_b32 s10, 0x43000000
	v_add_f32_e64 v3, |v2|, s10
.LBB63_1022:
	s_mov_b64 s[10:11], 0
.LBB63_1023:
	s_andn2_b64 vcc, exec, s[10:11]
	s_cbranch_vccnz .LBB63_1025
; %bb.1024:
	s_cmp_gt_u32 s13, 0x7f800000
	s_movk_i32 s10, 0x7f
	s_cselect_b32 s10, s10, 0x7c
	v_mov_b32_e32 v3, s10
.LBB63_1025:
	s_lshr_b32 s10, s12, 24
	s_and_b32 s10, s10, 0x80
	v_or_b32_e32 v2, s10, v3
	global_store_byte v[0:1], v2, off
.LBB63_1026:
	s_mov_b64 s[10:11], 0
.LBB63_1027:
	s_andn2_b64 vcc, exec, s[10:11]
	s_mov_b64 s[10:11], 0
	s_cbranch_vccnz .LBB63_1034
; %bb.1028:
	v_cmp_gt_i16_e64 s[10:11], s24, 14
	s_mov_b64 s[12:13], -1
	s_and_b64 vcc, exec, s[10:11]
	s_cbranch_vccz .LBB63_1032
; %bb.1029:
	v_cmp_eq_u16_e64 s[10:11], s24, 15
	s_mov_b64 s[0:1], -1
	s_and_b64 vcc, exec, s[10:11]
	s_cbranch_vccz .LBB63_1031
; %bb.1030:
	v_cvt_f32_f64_e32 v2, s[2:3]
	v_bfe_u32 v3, v2, 16, 1
	v_add_u32_e32 v3, v2, v3
	v_add_u32_e32 v3, 0x7fff, v3
	v_lshrrev_b32_e32 v3, 16, v3
	v_mov_b32_e32 v4, 0x7fc0
	v_cmp_o_f32_e32 vcc, v2, v2
	v_cndmask_b32_e32 v2, v4, v3, vcc
	global_store_short v[0:1], v2, off
	s_mov_b64 s[0:1], 0
.LBB63_1031:
	s_mov_b64 s[12:13], 0
.LBB63_1032:
	s_mov_b64 s[10:11], 0
	s_and_b64 vcc, exec, s[12:13]
	s_cbranch_vccz .LBB63_1034
; %bb.1033:
	v_cmp_ne_u16_e64 s[0:1], s24, 11
	s_mov_b64 s[10:11], -1
.LBB63_1034:
	s_and_b64 vcc, exec, s[0:1]
	s_cbranch_vccnz .LBB63_1036
.LBB63_1035:
	s_mov_b64 s[0:1], 0
	s_branch .LBB63_950
.LBB63_1036:
	s_mov_b64 s[10:11], 0
	s_or_b64 s[8:9], s[8:9], exec
	s_trap 2
	s_branch .LBB63_1035
	.section	.rodata,"a",@progbits
	.p2align	6, 0x0
	.amdhsa_kernel _ZN2at6native32elementwise_kernel_manual_unrollILi128ELi4EZNS0_15gpu_kernel_implINS0_11FillFunctorIN3c107complexIdEEEEEEvRNS_18TensorIteratorBaseERKT_EUlibE0_EEviT1_
		.amdhsa_group_segment_fixed_size 0
		.amdhsa_private_segment_fixed_size 0
		.amdhsa_kernarg_size 320
		.amdhsa_user_sgpr_count 6
		.amdhsa_user_sgpr_private_segment_buffer 1
		.amdhsa_user_sgpr_dispatch_ptr 0
		.amdhsa_user_sgpr_queue_ptr 0
		.amdhsa_user_sgpr_kernarg_segment_ptr 1
		.amdhsa_user_sgpr_dispatch_id 0
		.amdhsa_user_sgpr_flat_scratch_init 0
		.amdhsa_user_sgpr_kernarg_preload_length 0
		.amdhsa_user_sgpr_kernarg_preload_offset 0
		.amdhsa_user_sgpr_private_segment_size 0
		.amdhsa_uses_dynamic_stack 0
		.amdhsa_system_sgpr_private_segment_wavefront_offset 0
		.amdhsa_system_sgpr_workgroup_id_x 1
		.amdhsa_system_sgpr_workgroup_id_y 0
		.amdhsa_system_sgpr_workgroup_id_z 0
		.amdhsa_system_sgpr_workgroup_info 0
		.amdhsa_system_vgpr_workitem_id 0
		.amdhsa_next_free_vgpr 24
		.amdhsa_next_free_sgpr 96
		.amdhsa_accum_offset 24
		.amdhsa_reserve_vcc 1
		.amdhsa_reserve_flat_scratch 0
		.amdhsa_float_round_mode_32 0
		.amdhsa_float_round_mode_16_64 0
		.amdhsa_float_denorm_mode_32 3
		.amdhsa_float_denorm_mode_16_64 3
		.amdhsa_dx10_clamp 1
		.amdhsa_ieee_mode 1
		.amdhsa_fp16_overflow 0
		.amdhsa_tg_split 0
		.amdhsa_exception_fp_ieee_invalid_op 0
		.amdhsa_exception_fp_denorm_src 0
		.amdhsa_exception_fp_ieee_div_zero 0
		.amdhsa_exception_fp_ieee_overflow 0
		.amdhsa_exception_fp_ieee_underflow 0
		.amdhsa_exception_fp_ieee_inexact 0
		.amdhsa_exception_int_div_zero 0
	.end_amdhsa_kernel
	.section	.text._ZN2at6native32elementwise_kernel_manual_unrollILi128ELi4EZNS0_15gpu_kernel_implINS0_11FillFunctorIN3c107complexIdEEEEEEvRNS_18TensorIteratorBaseERKT_EUlibE0_EEviT1_,"axG",@progbits,_ZN2at6native32elementwise_kernel_manual_unrollILi128ELi4EZNS0_15gpu_kernel_implINS0_11FillFunctorIN3c107complexIdEEEEEEvRNS_18TensorIteratorBaseERKT_EUlibE0_EEviT1_,comdat
.Lfunc_end63:
	.size	_ZN2at6native32elementwise_kernel_manual_unrollILi128ELi4EZNS0_15gpu_kernel_implINS0_11FillFunctorIN3c107complexIdEEEEEEvRNS_18TensorIteratorBaseERKT_EUlibE0_EEviT1_, .Lfunc_end63-_ZN2at6native32elementwise_kernel_manual_unrollILi128ELi4EZNS0_15gpu_kernel_implINS0_11FillFunctorIN3c107complexIdEEEEEEvRNS_18TensorIteratorBaseERKT_EUlibE0_EEviT1_
                                        ; -- End function
	.section	.AMDGPU.csdata,"",@progbits
; Kernel info:
; codeLenInByte = 19352
; NumSgprs: 100
; NumVgprs: 24
; NumAgprs: 0
; TotalNumVgprs: 24
; ScratchSize: 0
; MemoryBound: 0
; FloatMode: 240
; IeeeMode: 1
; LDSByteSize: 0 bytes/workgroup (compile time only)
; SGPRBlocks: 12
; VGPRBlocks: 2
; NumSGPRsForWavesPerEU: 100
; NumVGPRsForWavesPerEU: 24
; AccumOffset: 24
; Occupancy: 8
; WaveLimiterHint : 1
; COMPUTE_PGM_RSRC2:SCRATCH_EN: 0
; COMPUTE_PGM_RSRC2:USER_SGPR: 6
; COMPUTE_PGM_RSRC2:TRAP_HANDLER: 0
; COMPUTE_PGM_RSRC2:TGID_X_EN: 1
; COMPUTE_PGM_RSRC2:TGID_Y_EN: 0
; COMPUTE_PGM_RSRC2:TGID_Z_EN: 0
; COMPUTE_PGM_RSRC2:TIDIG_COMP_CNT: 0
; COMPUTE_PGM_RSRC3_GFX90A:ACCUM_OFFSET: 5
; COMPUTE_PGM_RSRC3_GFX90A:TG_SPLIT: 0
	.section	.text._ZN2at6native29vectorized_elementwise_kernelILi16ENS0_11FillFunctorIN3c107complexIfEEEESt5arrayIPcLm1EEEEviT0_T1_,"axG",@progbits,_ZN2at6native29vectorized_elementwise_kernelILi16ENS0_11FillFunctorIN3c107complexIfEEEESt5arrayIPcLm1EEEEviT0_T1_,comdat
	.protected	_ZN2at6native29vectorized_elementwise_kernelILi16ENS0_11FillFunctorIN3c107complexIfEEEESt5arrayIPcLm1EEEEviT0_T1_ ; -- Begin function _ZN2at6native29vectorized_elementwise_kernelILi16ENS0_11FillFunctorIN3c107complexIfEEEESt5arrayIPcLm1EEEEviT0_T1_
	.globl	_ZN2at6native29vectorized_elementwise_kernelILi16ENS0_11FillFunctorIN3c107complexIfEEEESt5arrayIPcLm1EEEEviT0_T1_
	.p2align	8
	.type	_ZN2at6native29vectorized_elementwise_kernelILi16ENS0_11FillFunctorIN3c107complexIfEEEESt5arrayIPcLm1EEEEviT0_T1_,@function
_ZN2at6native29vectorized_elementwise_kernelILi16ENS0_11FillFunctorIN3c107complexIfEEEESt5arrayIPcLm1EEEEviT0_T1_: ; @_ZN2at6native29vectorized_elementwise_kernelILi16ENS0_11FillFunctorIN3c107complexIfEEEESt5arrayIPcLm1EEEEviT0_T1_
; %bb.0:
	s_load_dword s7, s[4:5], 0x0
	s_load_dwordx4 s[0:3], s[4:5], 0x8
	s_lshl_b32 s4, s6, 10
	s_waitcnt lgkmcnt(0)
	s_sub_i32 s8, s7, s4
	s_cmpk_gt_i32 s8, 0x3ff
	s_mov_b64 s[6:7], -1
	s_cbranch_scc0 .LBB64_2
; %bb.1:
	s_ashr_i32 s5, s4, 31
	s_lshl_b64 s[6:7], s[4:5], 3
	s_mov_b32 s12, s0
	s_mov_b32 s13, s1
	s_add_u32 s6, s2, s6
	s_mov_b32 s14, s0
	s_mov_b32 s15, s1
	v_pk_mov_b32 v[2:3], s[12:13], s[12:13] op_sel:[0,1]
	s_addc_u32 s7, s3, s7
	v_lshlrev_b32_e32 v1, 5, v0
	v_pk_mov_b32 v[4:5], s[14:15], s[14:15] op_sel:[0,1]
	global_store_dwordx4 v1, v[2:5], s[6:7]
	global_store_dwordx4 v1, v[2:5], s[6:7] offset:16
	s_mov_b64 s[6:7], 0
.LBB64_2:
	s_andn2_b64 vcc, exec, s[6:7]
	s_cbranch_vccnz .LBB64_8
; %bb.3:
	v_cmp_gt_i32_e32 vcc, s8, v0
	v_or_b32_e32 v2, 0x100, v0
	v_mov_b32_e32 v1, v0
	s_and_saveexec_b64 s[6:7], vcc
	s_cbranch_execnz .LBB64_9
; %bb.4:
	s_or_b64 exec, exec, s[6:7]
	v_cmp_gt_i32_e32 vcc, s8, v1
	s_and_saveexec_b64 s[6:7], vcc
	s_cbranch_execnz .LBB64_10
.LBB64_5:
	s_or_b64 exec, exec, s[6:7]
	v_cmp_gt_i32_e32 vcc, s8, v1
	s_and_saveexec_b64 s[6:7], vcc
	s_cbranch_execnz .LBB64_11
.LBB64_6:
	s_or_b64 exec, exec, s[6:7]
	v_cmp_gt_i32_e32 vcc, s8, v1
	s_and_saveexec_b64 s[6:7], vcc
	s_cbranch_execz .LBB64_8
.LBB64_7:
	v_or_b32_e32 v0, 0x300, v0
	v_mov_b32_e32 v2, s1
	v_cmp_gt_i32_e32 vcc, s8, v0
	v_mov_b32_e32 v0, s0
	v_cndmask_b32_e32 v3, 0, v2, vcc
	v_cndmask_b32_e32 v2, 0, v0, vcc
	v_add_u32_e32 v0, s4, v1
	v_mov_b32_e32 v1, 0
	v_lshlrev_b64 v[0:1], 3, v[0:1]
	v_mov_b32_e32 v4, s3
	v_add_co_u32_e32 v0, vcc, s2, v0
	v_addc_co_u32_e32 v1, vcc, v4, v1, vcc
	global_store_dwordx2 v[0:1], v[2:3], off
.LBB64_8:
	s_endpgm
.LBB64_9:
	v_or_b32_e32 v4, s4, v0
	v_mov_b32_e32 v5, 0
	v_lshlrev_b64 v[4:5], 3, v[4:5]
	v_mov_b32_e32 v1, s3
	v_add_co_u32_e32 v4, vcc, s2, v4
	v_addc_co_u32_e32 v5, vcc, v1, v5, vcc
	v_pk_mov_b32 v[6:7], s[0:1], s[0:1] op_sel:[0,1]
	v_mov_b32_e32 v1, v2
	global_store_dwordx2 v[4:5], v[6:7], off
	s_or_b64 exec, exec, s[6:7]
	v_cmp_gt_i32_e32 vcc, s8, v1
	s_and_saveexec_b64 s[6:7], vcc
	s_cbranch_execz .LBB64_5
.LBB64_10:
	v_add_u32_e32 v4, s4, v1
	v_mov_b32_e32 v5, 0
	v_mov_b32_e32 v3, s1
	v_cmp_gt_i32_e32 vcc, s8, v2
	v_mov_b32_e32 v2, s0
	v_lshlrev_b64 v[4:5], 3, v[4:5]
	v_cndmask_b32_e32 v3, 0, v3, vcc
	v_cndmask_b32_e32 v2, 0, v2, vcc
	v_add_u32_e32 v6, 0x100, v1
	v_mov_b32_e32 v1, s3
	v_add_co_u32_e32 v4, vcc, s2, v4
	v_addc_co_u32_e32 v5, vcc, v1, v5, vcc
	v_mov_b32_e32 v1, v6
	global_store_dwordx2 v[4:5], v[2:3], off
	s_or_b64 exec, exec, s[6:7]
	v_cmp_gt_i32_e32 vcc, s8, v1
	s_and_saveexec_b64 s[6:7], vcc
	s_cbranch_execz .LBB64_6
.LBB64_11:
	v_or_b32_e32 v2, 0x200, v0
	v_add_u32_e32 v4, s4, v1
	v_mov_b32_e32 v5, 0
	v_mov_b32_e32 v3, s1
	v_cmp_gt_i32_e32 vcc, s8, v2
	v_mov_b32_e32 v2, s0
	v_lshlrev_b64 v[4:5], 3, v[4:5]
	v_cndmask_b32_e32 v3, 0, v3, vcc
	v_cndmask_b32_e32 v2, 0, v2, vcc
	v_add_u32_e32 v6, 0x100, v1
	v_mov_b32_e32 v1, s3
	v_add_co_u32_e32 v4, vcc, s2, v4
	v_addc_co_u32_e32 v5, vcc, v1, v5, vcc
	v_mov_b32_e32 v1, v6
	global_store_dwordx2 v[4:5], v[2:3], off
	s_or_b64 exec, exec, s[6:7]
	v_cmp_gt_i32_e32 vcc, s8, v1
	s_and_saveexec_b64 s[6:7], vcc
	s_cbranch_execnz .LBB64_7
	s_branch .LBB64_8
	.section	.rodata,"a",@progbits
	.p2align	6, 0x0
	.amdhsa_kernel _ZN2at6native29vectorized_elementwise_kernelILi16ENS0_11FillFunctorIN3c107complexIfEEEESt5arrayIPcLm1EEEEviT0_T1_
		.amdhsa_group_segment_fixed_size 0
		.amdhsa_private_segment_fixed_size 0
		.amdhsa_kernarg_size 24
		.amdhsa_user_sgpr_count 6
		.amdhsa_user_sgpr_private_segment_buffer 1
		.amdhsa_user_sgpr_dispatch_ptr 0
		.amdhsa_user_sgpr_queue_ptr 0
		.amdhsa_user_sgpr_kernarg_segment_ptr 1
		.amdhsa_user_sgpr_dispatch_id 0
		.amdhsa_user_sgpr_flat_scratch_init 0
		.amdhsa_user_sgpr_kernarg_preload_length 0
		.amdhsa_user_sgpr_kernarg_preload_offset 0
		.amdhsa_user_sgpr_private_segment_size 0
		.amdhsa_uses_dynamic_stack 0
		.amdhsa_system_sgpr_private_segment_wavefront_offset 0
		.amdhsa_system_sgpr_workgroup_id_x 1
		.amdhsa_system_sgpr_workgroup_id_y 0
		.amdhsa_system_sgpr_workgroup_id_z 0
		.amdhsa_system_sgpr_workgroup_info 0
		.amdhsa_system_vgpr_workitem_id 0
		.amdhsa_next_free_vgpr 8
		.amdhsa_next_free_sgpr 16
		.amdhsa_accum_offset 8
		.amdhsa_reserve_vcc 1
		.amdhsa_reserve_flat_scratch 0
		.amdhsa_float_round_mode_32 0
		.amdhsa_float_round_mode_16_64 0
		.amdhsa_float_denorm_mode_32 3
		.amdhsa_float_denorm_mode_16_64 3
		.amdhsa_dx10_clamp 1
		.amdhsa_ieee_mode 1
		.amdhsa_fp16_overflow 0
		.amdhsa_tg_split 0
		.amdhsa_exception_fp_ieee_invalid_op 0
		.amdhsa_exception_fp_denorm_src 0
		.amdhsa_exception_fp_ieee_div_zero 0
		.amdhsa_exception_fp_ieee_overflow 0
		.amdhsa_exception_fp_ieee_underflow 0
		.amdhsa_exception_fp_ieee_inexact 0
		.amdhsa_exception_int_div_zero 0
	.end_amdhsa_kernel
	.section	.text._ZN2at6native29vectorized_elementwise_kernelILi16ENS0_11FillFunctorIN3c107complexIfEEEESt5arrayIPcLm1EEEEviT0_T1_,"axG",@progbits,_ZN2at6native29vectorized_elementwise_kernelILi16ENS0_11FillFunctorIN3c107complexIfEEEESt5arrayIPcLm1EEEEviT0_T1_,comdat
.Lfunc_end64:
	.size	_ZN2at6native29vectorized_elementwise_kernelILi16ENS0_11FillFunctorIN3c107complexIfEEEESt5arrayIPcLm1EEEEviT0_T1_, .Lfunc_end64-_ZN2at6native29vectorized_elementwise_kernelILi16ENS0_11FillFunctorIN3c107complexIfEEEESt5arrayIPcLm1EEEEviT0_T1_
                                        ; -- End function
	.section	.AMDGPU.csdata,"",@progbits
; Kernel info:
; codeLenInByte = 504
; NumSgprs: 20
; NumVgprs: 8
; NumAgprs: 0
; TotalNumVgprs: 8
; ScratchSize: 0
; MemoryBound: 0
; FloatMode: 240
; IeeeMode: 1
; LDSByteSize: 0 bytes/workgroup (compile time only)
; SGPRBlocks: 2
; VGPRBlocks: 0
; NumSGPRsForWavesPerEU: 20
; NumVGPRsForWavesPerEU: 8
; AccumOffset: 8
; Occupancy: 8
; WaveLimiterHint : 0
; COMPUTE_PGM_RSRC2:SCRATCH_EN: 0
; COMPUTE_PGM_RSRC2:USER_SGPR: 6
; COMPUTE_PGM_RSRC2:TRAP_HANDLER: 0
; COMPUTE_PGM_RSRC2:TGID_X_EN: 1
; COMPUTE_PGM_RSRC2:TGID_Y_EN: 0
; COMPUTE_PGM_RSRC2:TGID_Z_EN: 0
; COMPUTE_PGM_RSRC2:TIDIG_COMP_CNT: 0
; COMPUTE_PGM_RSRC3_GFX90A:ACCUM_OFFSET: 1
; COMPUTE_PGM_RSRC3_GFX90A:TG_SPLIT: 0
	.section	.text._ZN2at6native29vectorized_elementwise_kernelILi8ENS0_11FillFunctorIN3c107complexIfEEEESt5arrayIPcLm1EEEEviT0_T1_,"axG",@progbits,_ZN2at6native29vectorized_elementwise_kernelILi8ENS0_11FillFunctorIN3c107complexIfEEEESt5arrayIPcLm1EEEEviT0_T1_,comdat
	.protected	_ZN2at6native29vectorized_elementwise_kernelILi8ENS0_11FillFunctorIN3c107complexIfEEEESt5arrayIPcLm1EEEEviT0_T1_ ; -- Begin function _ZN2at6native29vectorized_elementwise_kernelILi8ENS0_11FillFunctorIN3c107complexIfEEEESt5arrayIPcLm1EEEEviT0_T1_
	.globl	_ZN2at6native29vectorized_elementwise_kernelILi8ENS0_11FillFunctorIN3c107complexIfEEEESt5arrayIPcLm1EEEEviT0_T1_
	.p2align	8
	.type	_ZN2at6native29vectorized_elementwise_kernelILi8ENS0_11FillFunctorIN3c107complexIfEEEESt5arrayIPcLm1EEEEviT0_T1_,@function
_ZN2at6native29vectorized_elementwise_kernelILi8ENS0_11FillFunctorIN3c107complexIfEEEESt5arrayIPcLm1EEEEviT0_T1_: ; @_ZN2at6native29vectorized_elementwise_kernelILi8ENS0_11FillFunctorIN3c107complexIfEEEESt5arrayIPcLm1EEEEviT0_T1_
; %bb.0:
	s_load_dword s7, s[4:5], 0x0
	s_load_dwordx4 s[0:3], s[4:5], 0x8
	s_lshl_b32 s4, s6, 10
	s_waitcnt lgkmcnt(0)
	s_sub_i32 s8, s7, s4
	s_cmpk_gt_i32 s8, 0x3ff
	s_mov_b64 s[6:7], -1
	s_cbranch_scc0 .LBB65_2
; %bb.1:
	s_ashr_i32 s5, s4, 31
	s_lshl_b64 s[6:7], s[4:5], 3
	s_mov_b32 s12, s0
	s_mov_b32 s13, s1
	s_add_u32 s6, s2, s6
	s_mov_b32 s14, s0
	s_mov_b32 s15, s1
	v_pk_mov_b32 v[2:3], s[12:13], s[12:13] op_sel:[0,1]
	s_addc_u32 s7, s3, s7
	v_lshlrev_b32_e32 v1, 5, v0
	v_pk_mov_b32 v[4:5], s[14:15], s[14:15] op_sel:[0,1]
	global_store_dwordx4 v1, v[2:5], s[6:7]
	global_store_dwordx4 v1, v[2:5], s[6:7] offset:16
	s_mov_b64 s[6:7], 0
.LBB65_2:
	s_andn2_b64 vcc, exec, s[6:7]
	s_cbranch_vccnz .LBB65_8
; %bb.3:
	v_cmp_gt_i32_e32 vcc, s8, v0
	v_or_b32_e32 v2, 0x100, v0
	v_mov_b32_e32 v1, v0
	s_and_saveexec_b64 s[6:7], vcc
	s_cbranch_execnz .LBB65_9
; %bb.4:
	s_or_b64 exec, exec, s[6:7]
	v_cmp_gt_i32_e32 vcc, s8, v1
	s_and_saveexec_b64 s[6:7], vcc
	s_cbranch_execnz .LBB65_10
.LBB65_5:
	s_or_b64 exec, exec, s[6:7]
	v_cmp_gt_i32_e32 vcc, s8, v1
	s_and_saveexec_b64 s[6:7], vcc
	s_cbranch_execnz .LBB65_11
.LBB65_6:
	s_or_b64 exec, exec, s[6:7]
	v_cmp_gt_i32_e32 vcc, s8, v1
	s_and_saveexec_b64 s[6:7], vcc
	s_cbranch_execz .LBB65_8
.LBB65_7:
	v_or_b32_e32 v0, 0x300, v0
	v_mov_b32_e32 v2, s1
	v_cmp_gt_i32_e32 vcc, s8, v0
	v_mov_b32_e32 v0, s0
	v_cndmask_b32_e32 v3, 0, v2, vcc
	v_cndmask_b32_e32 v2, 0, v0, vcc
	v_add_u32_e32 v0, s4, v1
	v_mov_b32_e32 v1, 0
	v_lshlrev_b64 v[0:1], 3, v[0:1]
	v_mov_b32_e32 v4, s3
	v_add_co_u32_e32 v0, vcc, s2, v0
	v_addc_co_u32_e32 v1, vcc, v4, v1, vcc
	global_store_dwordx2 v[0:1], v[2:3], off
.LBB65_8:
	s_endpgm
.LBB65_9:
	v_or_b32_e32 v4, s4, v0
	v_mov_b32_e32 v5, 0
	v_lshlrev_b64 v[4:5], 3, v[4:5]
	v_mov_b32_e32 v1, s3
	v_add_co_u32_e32 v4, vcc, s2, v4
	v_addc_co_u32_e32 v5, vcc, v1, v5, vcc
	v_pk_mov_b32 v[6:7], s[0:1], s[0:1] op_sel:[0,1]
	v_mov_b32_e32 v1, v2
	global_store_dwordx2 v[4:5], v[6:7], off
	s_or_b64 exec, exec, s[6:7]
	v_cmp_gt_i32_e32 vcc, s8, v1
	s_and_saveexec_b64 s[6:7], vcc
	s_cbranch_execz .LBB65_5
.LBB65_10:
	v_add_u32_e32 v4, s4, v1
	v_mov_b32_e32 v5, 0
	v_mov_b32_e32 v3, s1
	v_cmp_gt_i32_e32 vcc, s8, v2
	v_mov_b32_e32 v2, s0
	v_lshlrev_b64 v[4:5], 3, v[4:5]
	v_cndmask_b32_e32 v3, 0, v3, vcc
	v_cndmask_b32_e32 v2, 0, v2, vcc
	v_add_u32_e32 v6, 0x100, v1
	v_mov_b32_e32 v1, s3
	v_add_co_u32_e32 v4, vcc, s2, v4
	v_addc_co_u32_e32 v5, vcc, v1, v5, vcc
	v_mov_b32_e32 v1, v6
	global_store_dwordx2 v[4:5], v[2:3], off
	s_or_b64 exec, exec, s[6:7]
	v_cmp_gt_i32_e32 vcc, s8, v1
	s_and_saveexec_b64 s[6:7], vcc
	s_cbranch_execz .LBB65_6
.LBB65_11:
	v_or_b32_e32 v2, 0x200, v0
	v_add_u32_e32 v4, s4, v1
	v_mov_b32_e32 v5, 0
	v_mov_b32_e32 v3, s1
	v_cmp_gt_i32_e32 vcc, s8, v2
	v_mov_b32_e32 v2, s0
	v_lshlrev_b64 v[4:5], 3, v[4:5]
	v_cndmask_b32_e32 v3, 0, v3, vcc
	v_cndmask_b32_e32 v2, 0, v2, vcc
	v_add_u32_e32 v6, 0x100, v1
	v_mov_b32_e32 v1, s3
	v_add_co_u32_e32 v4, vcc, s2, v4
	v_addc_co_u32_e32 v5, vcc, v1, v5, vcc
	v_mov_b32_e32 v1, v6
	global_store_dwordx2 v[4:5], v[2:3], off
	s_or_b64 exec, exec, s[6:7]
	v_cmp_gt_i32_e32 vcc, s8, v1
	s_and_saveexec_b64 s[6:7], vcc
	s_cbranch_execnz .LBB65_7
	s_branch .LBB65_8
	.section	.rodata,"a",@progbits
	.p2align	6, 0x0
	.amdhsa_kernel _ZN2at6native29vectorized_elementwise_kernelILi8ENS0_11FillFunctorIN3c107complexIfEEEESt5arrayIPcLm1EEEEviT0_T1_
		.amdhsa_group_segment_fixed_size 0
		.amdhsa_private_segment_fixed_size 0
		.amdhsa_kernarg_size 24
		.amdhsa_user_sgpr_count 6
		.amdhsa_user_sgpr_private_segment_buffer 1
		.amdhsa_user_sgpr_dispatch_ptr 0
		.amdhsa_user_sgpr_queue_ptr 0
		.amdhsa_user_sgpr_kernarg_segment_ptr 1
		.amdhsa_user_sgpr_dispatch_id 0
		.amdhsa_user_sgpr_flat_scratch_init 0
		.amdhsa_user_sgpr_kernarg_preload_length 0
		.amdhsa_user_sgpr_kernarg_preload_offset 0
		.amdhsa_user_sgpr_private_segment_size 0
		.amdhsa_uses_dynamic_stack 0
		.amdhsa_system_sgpr_private_segment_wavefront_offset 0
		.amdhsa_system_sgpr_workgroup_id_x 1
		.amdhsa_system_sgpr_workgroup_id_y 0
		.amdhsa_system_sgpr_workgroup_id_z 0
		.amdhsa_system_sgpr_workgroup_info 0
		.amdhsa_system_vgpr_workitem_id 0
		.amdhsa_next_free_vgpr 8
		.amdhsa_next_free_sgpr 16
		.amdhsa_accum_offset 8
		.amdhsa_reserve_vcc 1
		.amdhsa_reserve_flat_scratch 0
		.amdhsa_float_round_mode_32 0
		.amdhsa_float_round_mode_16_64 0
		.amdhsa_float_denorm_mode_32 3
		.amdhsa_float_denorm_mode_16_64 3
		.amdhsa_dx10_clamp 1
		.amdhsa_ieee_mode 1
		.amdhsa_fp16_overflow 0
		.amdhsa_tg_split 0
		.amdhsa_exception_fp_ieee_invalid_op 0
		.amdhsa_exception_fp_denorm_src 0
		.amdhsa_exception_fp_ieee_div_zero 0
		.amdhsa_exception_fp_ieee_overflow 0
		.amdhsa_exception_fp_ieee_underflow 0
		.amdhsa_exception_fp_ieee_inexact 0
		.amdhsa_exception_int_div_zero 0
	.end_amdhsa_kernel
	.section	.text._ZN2at6native29vectorized_elementwise_kernelILi8ENS0_11FillFunctorIN3c107complexIfEEEESt5arrayIPcLm1EEEEviT0_T1_,"axG",@progbits,_ZN2at6native29vectorized_elementwise_kernelILi8ENS0_11FillFunctorIN3c107complexIfEEEESt5arrayIPcLm1EEEEviT0_T1_,comdat
.Lfunc_end65:
	.size	_ZN2at6native29vectorized_elementwise_kernelILi8ENS0_11FillFunctorIN3c107complexIfEEEESt5arrayIPcLm1EEEEviT0_T1_, .Lfunc_end65-_ZN2at6native29vectorized_elementwise_kernelILi8ENS0_11FillFunctorIN3c107complexIfEEEESt5arrayIPcLm1EEEEviT0_T1_
                                        ; -- End function
	.section	.AMDGPU.csdata,"",@progbits
; Kernel info:
; codeLenInByte = 504
; NumSgprs: 20
; NumVgprs: 8
; NumAgprs: 0
; TotalNumVgprs: 8
; ScratchSize: 0
; MemoryBound: 0
; FloatMode: 240
; IeeeMode: 1
; LDSByteSize: 0 bytes/workgroup (compile time only)
; SGPRBlocks: 2
; VGPRBlocks: 0
; NumSGPRsForWavesPerEU: 20
; NumVGPRsForWavesPerEU: 8
; AccumOffset: 8
; Occupancy: 8
; WaveLimiterHint : 0
; COMPUTE_PGM_RSRC2:SCRATCH_EN: 0
; COMPUTE_PGM_RSRC2:USER_SGPR: 6
; COMPUTE_PGM_RSRC2:TRAP_HANDLER: 0
; COMPUTE_PGM_RSRC2:TGID_X_EN: 1
; COMPUTE_PGM_RSRC2:TGID_Y_EN: 0
; COMPUTE_PGM_RSRC2:TGID_Z_EN: 0
; COMPUTE_PGM_RSRC2:TIDIG_COMP_CNT: 0
; COMPUTE_PGM_RSRC3_GFX90A:ACCUM_OFFSET: 1
; COMPUTE_PGM_RSRC3_GFX90A:TG_SPLIT: 0
	.section	.text._ZN2at6native29vectorized_elementwise_kernelILi4ENS0_11FillFunctorIN3c107complexIfEEEESt5arrayIPcLm1EEEEviT0_T1_,"axG",@progbits,_ZN2at6native29vectorized_elementwise_kernelILi4ENS0_11FillFunctorIN3c107complexIfEEEESt5arrayIPcLm1EEEEviT0_T1_,comdat
	.protected	_ZN2at6native29vectorized_elementwise_kernelILi4ENS0_11FillFunctorIN3c107complexIfEEEESt5arrayIPcLm1EEEEviT0_T1_ ; -- Begin function _ZN2at6native29vectorized_elementwise_kernelILi4ENS0_11FillFunctorIN3c107complexIfEEEESt5arrayIPcLm1EEEEviT0_T1_
	.globl	_ZN2at6native29vectorized_elementwise_kernelILi4ENS0_11FillFunctorIN3c107complexIfEEEESt5arrayIPcLm1EEEEviT0_T1_
	.p2align	8
	.type	_ZN2at6native29vectorized_elementwise_kernelILi4ENS0_11FillFunctorIN3c107complexIfEEEESt5arrayIPcLm1EEEEviT0_T1_,@function
_ZN2at6native29vectorized_elementwise_kernelILi4ENS0_11FillFunctorIN3c107complexIfEEEESt5arrayIPcLm1EEEEviT0_T1_: ; @_ZN2at6native29vectorized_elementwise_kernelILi4ENS0_11FillFunctorIN3c107complexIfEEEESt5arrayIPcLm1EEEEviT0_T1_
; %bb.0:
	s_load_dword s7, s[4:5], 0x0
	s_load_dwordx4 s[0:3], s[4:5], 0x8
	s_lshl_b32 s4, s6, 10
	s_waitcnt lgkmcnt(0)
	s_sub_i32 s8, s7, s4
	s_cmpk_gt_i32 s8, 0x3ff
	s_mov_b64 s[6:7], -1
	s_cbranch_scc0 .LBB66_2
; %bb.1:
	s_ashr_i32 s5, s4, 31
	s_lshl_b64 s[6:7], s[4:5], 3
	s_mov_b32 s12, s0
	s_mov_b32 s13, s1
	s_add_u32 s6, s2, s6
	s_mov_b32 s14, s0
	s_mov_b32 s15, s1
	v_pk_mov_b32 v[2:3], s[12:13], s[12:13] op_sel:[0,1]
	s_addc_u32 s7, s3, s7
	v_lshlrev_b32_e32 v1, 5, v0
	v_pk_mov_b32 v[4:5], s[14:15], s[14:15] op_sel:[0,1]
	global_store_dwordx4 v1, v[2:5], s[6:7]
	global_store_dwordx4 v1, v[2:5], s[6:7] offset:16
	s_mov_b64 s[6:7], 0
.LBB66_2:
	s_andn2_b64 vcc, exec, s[6:7]
	s_cbranch_vccnz .LBB66_8
; %bb.3:
	v_cmp_gt_i32_e32 vcc, s8, v0
	v_or_b32_e32 v2, 0x100, v0
	v_mov_b32_e32 v1, v0
	s_and_saveexec_b64 s[6:7], vcc
	s_cbranch_execnz .LBB66_9
; %bb.4:
	s_or_b64 exec, exec, s[6:7]
	v_cmp_gt_i32_e32 vcc, s8, v1
	s_and_saveexec_b64 s[6:7], vcc
	s_cbranch_execnz .LBB66_10
.LBB66_5:
	s_or_b64 exec, exec, s[6:7]
	v_cmp_gt_i32_e32 vcc, s8, v1
	s_and_saveexec_b64 s[6:7], vcc
	s_cbranch_execnz .LBB66_11
.LBB66_6:
	s_or_b64 exec, exec, s[6:7]
	v_cmp_gt_i32_e32 vcc, s8, v1
	s_and_saveexec_b64 s[6:7], vcc
	s_cbranch_execz .LBB66_8
.LBB66_7:
	v_or_b32_e32 v0, 0x300, v0
	v_mov_b32_e32 v2, s1
	v_cmp_gt_i32_e32 vcc, s8, v0
	v_mov_b32_e32 v0, s0
	v_cndmask_b32_e32 v3, 0, v2, vcc
	v_cndmask_b32_e32 v2, 0, v0, vcc
	v_add_u32_e32 v0, s4, v1
	v_mov_b32_e32 v1, 0
	v_lshlrev_b64 v[0:1], 3, v[0:1]
	v_mov_b32_e32 v4, s3
	v_add_co_u32_e32 v0, vcc, s2, v0
	v_addc_co_u32_e32 v1, vcc, v4, v1, vcc
	global_store_dwordx2 v[0:1], v[2:3], off
.LBB66_8:
	s_endpgm
.LBB66_9:
	v_or_b32_e32 v4, s4, v0
	v_mov_b32_e32 v5, 0
	v_lshlrev_b64 v[4:5], 3, v[4:5]
	v_mov_b32_e32 v1, s3
	v_add_co_u32_e32 v4, vcc, s2, v4
	v_addc_co_u32_e32 v5, vcc, v1, v5, vcc
	v_pk_mov_b32 v[6:7], s[0:1], s[0:1] op_sel:[0,1]
	v_mov_b32_e32 v1, v2
	global_store_dwordx2 v[4:5], v[6:7], off
	s_or_b64 exec, exec, s[6:7]
	v_cmp_gt_i32_e32 vcc, s8, v1
	s_and_saveexec_b64 s[6:7], vcc
	s_cbranch_execz .LBB66_5
.LBB66_10:
	v_add_u32_e32 v4, s4, v1
	v_mov_b32_e32 v5, 0
	v_mov_b32_e32 v3, s1
	v_cmp_gt_i32_e32 vcc, s8, v2
	v_mov_b32_e32 v2, s0
	v_lshlrev_b64 v[4:5], 3, v[4:5]
	v_cndmask_b32_e32 v3, 0, v3, vcc
	v_cndmask_b32_e32 v2, 0, v2, vcc
	v_add_u32_e32 v6, 0x100, v1
	v_mov_b32_e32 v1, s3
	v_add_co_u32_e32 v4, vcc, s2, v4
	v_addc_co_u32_e32 v5, vcc, v1, v5, vcc
	v_mov_b32_e32 v1, v6
	global_store_dwordx2 v[4:5], v[2:3], off
	s_or_b64 exec, exec, s[6:7]
	v_cmp_gt_i32_e32 vcc, s8, v1
	s_and_saveexec_b64 s[6:7], vcc
	s_cbranch_execz .LBB66_6
.LBB66_11:
	v_or_b32_e32 v2, 0x200, v0
	v_add_u32_e32 v4, s4, v1
	v_mov_b32_e32 v5, 0
	v_mov_b32_e32 v3, s1
	v_cmp_gt_i32_e32 vcc, s8, v2
	v_mov_b32_e32 v2, s0
	v_lshlrev_b64 v[4:5], 3, v[4:5]
	v_cndmask_b32_e32 v3, 0, v3, vcc
	v_cndmask_b32_e32 v2, 0, v2, vcc
	v_add_u32_e32 v6, 0x100, v1
	v_mov_b32_e32 v1, s3
	v_add_co_u32_e32 v4, vcc, s2, v4
	v_addc_co_u32_e32 v5, vcc, v1, v5, vcc
	v_mov_b32_e32 v1, v6
	global_store_dwordx2 v[4:5], v[2:3], off
	s_or_b64 exec, exec, s[6:7]
	v_cmp_gt_i32_e32 vcc, s8, v1
	s_and_saveexec_b64 s[6:7], vcc
	s_cbranch_execnz .LBB66_7
	s_branch .LBB66_8
	.section	.rodata,"a",@progbits
	.p2align	6, 0x0
	.amdhsa_kernel _ZN2at6native29vectorized_elementwise_kernelILi4ENS0_11FillFunctorIN3c107complexIfEEEESt5arrayIPcLm1EEEEviT0_T1_
		.amdhsa_group_segment_fixed_size 0
		.amdhsa_private_segment_fixed_size 0
		.amdhsa_kernarg_size 24
		.amdhsa_user_sgpr_count 6
		.amdhsa_user_sgpr_private_segment_buffer 1
		.amdhsa_user_sgpr_dispatch_ptr 0
		.amdhsa_user_sgpr_queue_ptr 0
		.amdhsa_user_sgpr_kernarg_segment_ptr 1
		.amdhsa_user_sgpr_dispatch_id 0
		.amdhsa_user_sgpr_flat_scratch_init 0
		.amdhsa_user_sgpr_kernarg_preload_length 0
		.amdhsa_user_sgpr_kernarg_preload_offset 0
		.amdhsa_user_sgpr_private_segment_size 0
		.amdhsa_uses_dynamic_stack 0
		.amdhsa_system_sgpr_private_segment_wavefront_offset 0
		.amdhsa_system_sgpr_workgroup_id_x 1
		.amdhsa_system_sgpr_workgroup_id_y 0
		.amdhsa_system_sgpr_workgroup_id_z 0
		.amdhsa_system_sgpr_workgroup_info 0
		.amdhsa_system_vgpr_workitem_id 0
		.amdhsa_next_free_vgpr 8
		.amdhsa_next_free_sgpr 16
		.amdhsa_accum_offset 8
		.amdhsa_reserve_vcc 1
		.amdhsa_reserve_flat_scratch 0
		.amdhsa_float_round_mode_32 0
		.amdhsa_float_round_mode_16_64 0
		.amdhsa_float_denorm_mode_32 3
		.amdhsa_float_denorm_mode_16_64 3
		.amdhsa_dx10_clamp 1
		.amdhsa_ieee_mode 1
		.amdhsa_fp16_overflow 0
		.amdhsa_tg_split 0
		.amdhsa_exception_fp_ieee_invalid_op 0
		.amdhsa_exception_fp_denorm_src 0
		.amdhsa_exception_fp_ieee_div_zero 0
		.amdhsa_exception_fp_ieee_overflow 0
		.amdhsa_exception_fp_ieee_underflow 0
		.amdhsa_exception_fp_ieee_inexact 0
		.amdhsa_exception_int_div_zero 0
	.end_amdhsa_kernel
	.section	.text._ZN2at6native29vectorized_elementwise_kernelILi4ENS0_11FillFunctorIN3c107complexIfEEEESt5arrayIPcLm1EEEEviT0_T1_,"axG",@progbits,_ZN2at6native29vectorized_elementwise_kernelILi4ENS0_11FillFunctorIN3c107complexIfEEEESt5arrayIPcLm1EEEEviT0_T1_,comdat
.Lfunc_end66:
	.size	_ZN2at6native29vectorized_elementwise_kernelILi4ENS0_11FillFunctorIN3c107complexIfEEEESt5arrayIPcLm1EEEEviT0_T1_, .Lfunc_end66-_ZN2at6native29vectorized_elementwise_kernelILi4ENS0_11FillFunctorIN3c107complexIfEEEESt5arrayIPcLm1EEEEviT0_T1_
                                        ; -- End function
	.section	.AMDGPU.csdata,"",@progbits
; Kernel info:
; codeLenInByte = 504
; NumSgprs: 20
; NumVgprs: 8
; NumAgprs: 0
; TotalNumVgprs: 8
; ScratchSize: 0
; MemoryBound: 0
; FloatMode: 240
; IeeeMode: 1
; LDSByteSize: 0 bytes/workgroup (compile time only)
; SGPRBlocks: 2
; VGPRBlocks: 0
; NumSGPRsForWavesPerEU: 20
; NumVGPRsForWavesPerEU: 8
; AccumOffset: 8
; Occupancy: 8
; WaveLimiterHint : 0
; COMPUTE_PGM_RSRC2:SCRATCH_EN: 0
; COMPUTE_PGM_RSRC2:USER_SGPR: 6
; COMPUTE_PGM_RSRC2:TRAP_HANDLER: 0
; COMPUTE_PGM_RSRC2:TGID_X_EN: 1
; COMPUTE_PGM_RSRC2:TGID_Y_EN: 0
; COMPUTE_PGM_RSRC2:TGID_Z_EN: 0
; COMPUTE_PGM_RSRC2:TIDIG_COMP_CNT: 0
; COMPUTE_PGM_RSRC3_GFX90A:ACCUM_OFFSET: 1
; COMPUTE_PGM_RSRC3_GFX90A:TG_SPLIT: 0
	.section	.text._ZN2at6native29vectorized_elementwise_kernelILi2ENS0_11FillFunctorIN3c107complexIfEEEESt5arrayIPcLm1EEEEviT0_T1_,"axG",@progbits,_ZN2at6native29vectorized_elementwise_kernelILi2ENS0_11FillFunctorIN3c107complexIfEEEESt5arrayIPcLm1EEEEviT0_T1_,comdat
	.protected	_ZN2at6native29vectorized_elementwise_kernelILi2ENS0_11FillFunctorIN3c107complexIfEEEESt5arrayIPcLm1EEEEviT0_T1_ ; -- Begin function _ZN2at6native29vectorized_elementwise_kernelILi2ENS0_11FillFunctorIN3c107complexIfEEEESt5arrayIPcLm1EEEEviT0_T1_
	.globl	_ZN2at6native29vectorized_elementwise_kernelILi2ENS0_11FillFunctorIN3c107complexIfEEEESt5arrayIPcLm1EEEEviT0_T1_
	.p2align	8
	.type	_ZN2at6native29vectorized_elementwise_kernelILi2ENS0_11FillFunctorIN3c107complexIfEEEESt5arrayIPcLm1EEEEviT0_T1_,@function
_ZN2at6native29vectorized_elementwise_kernelILi2ENS0_11FillFunctorIN3c107complexIfEEEESt5arrayIPcLm1EEEEviT0_T1_: ; @_ZN2at6native29vectorized_elementwise_kernelILi2ENS0_11FillFunctorIN3c107complexIfEEEESt5arrayIPcLm1EEEEviT0_T1_
; %bb.0:
	s_load_dword s7, s[4:5], 0x0
	s_load_dwordx4 s[0:3], s[4:5], 0x8
	s_lshl_b32 s4, s6, 10
	s_waitcnt lgkmcnt(0)
	s_sub_i32 s8, s7, s4
	s_cmpk_gt_i32 s8, 0x3ff
	s_mov_b64 s[6:7], -1
	s_cbranch_scc0 .LBB67_2
; %bb.1:
	s_ashr_i32 s5, s4, 31
	s_lshl_b64 s[6:7], s[4:5], 3
	s_add_u32 s6, s2, s6
	s_addc_u32 s7, s3, s7
	v_lshlrev_b32_e32 v1, 4, v0
	v_mov_b32_e32 v2, s7
	v_add_co_u32_e32 v6, vcc, s6, v1
	v_addc_co_u32_e32 v7, vcc, 0, v2, vcc
	s_mov_b32 s12, s0
	s_mov_b32 s13, s1
	;; [unrolled: 1-line block ×4, first 2 shown]
	v_pk_mov_b32 v[2:3], s[12:13], s[12:13] op_sel:[0,1]
	v_add_co_u32_e32 v6, vcc, 0x1000, v6
	v_pk_mov_b32 v[4:5], s[14:15], s[14:15] op_sel:[0,1]
	v_addc_co_u32_e32 v7, vcc, 0, v7, vcc
	global_store_dwordx4 v1, v[2:5], s[6:7]
	global_store_dwordx4 v[6:7], v[2:5], off
	s_mov_b64 s[6:7], 0
.LBB67_2:
	s_andn2_b64 vcc, exec, s[6:7]
	s_cbranch_vccnz .LBB67_8
; %bb.3:
	v_cmp_gt_i32_e32 vcc, s8, v0
	v_or_b32_e32 v2, 0x100, v0
	v_mov_b32_e32 v1, v0
	s_and_saveexec_b64 s[6:7], vcc
	s_cbranch_execnz .LBB67_9
; %bb.4:
	s_or_b64 exec, exec, s[6:7]
	v_cmp_gt_i32_e32 vcc, s8, v1
	s_and_saveexec_b64 s[6:7], vcc
	s_cbranch_execnz .LBB67_10
.LBB67_5:
	s_or_b64 exec, exec, s[6:7]
	v_cmp_gt_i32_e32 vcc, s8, v1
	s_and_saveexec_b64 s[6:7], vcc
	s_cbranch_execnz .LBB67_11
.LBB67_6:
	s_or_b64 exec, exec, s[6:7]
	v_cmp_gt_i32_e32 vcc, s8, v1
	s_and_saveexec_b64 s[6:7], vcc
	s_cbranch_execz .LBB67_8
.LBB67_7:
	v_or_b32_e32 v0, 0x300, v0
	v_mov_b32_e32 v2, s1
	v_cmp_gt_i32_e32 vcc, s8, v0
	v_mov_b32_e32 v0, s0
	v_cndmask_b32_e32 v3, 0, v2, vcc
	v_cndmask_b32_e32 v2, 0, v0, vcc
	v_add_u32_e32 v0, s4, v1
	v_mov_b32_e32 v1, 0
	v_lshlrev_b64 v[0:1], 3, v[0:1]
	v_mov_b32_e32 v4, s3
	v_add_co_u32_e32 v0, vcc, s2, v0
	v_addc_co_u32_e32 v1, vcc, v4, v1, vcc
	global_store_dwordx2 v[0:1], v[2:3], off
.LBB67_8:
	s_endpgm
.LBB67_9:
	v_or_b32_e32 v4, s4, v0
	v_mov_b32_e32 v5, 0
	v_lshlrev_b64 v[4:5], 3, v[4:5]
	v_mov_b32_e32 v1, s3
	v_add_co_u32_e32 v4, vcc, s2, v4
	v_addc_co_u32_e32 v5, vcc, v1, v5, vcc
	v_pk_mov_b32 v[6:7], s[0:1], s[0:1] op_sel:[0,1]
	v_mov_b32_e32 v1, v2
	global_store_dwordx2 v[4:5], v[6:7], off
	s_or_b64 exec, exec, s[6:7]
	v_cmp_gt_i32_e32 vcc, s8, v1
	s_and_saveexec_b64 s[6:7], vcc
	s_cbranch_execz .LBB67_5
.LBB67_10:
	v_add_u32_e32 v4, s4, v1
	v_mov_b32_e32 v5, 0
	v_mov_b32_e32 v3, s1
	v_cmp_gt_i32_e32 vcc, s8, v2
	v_mov_b32_e32 v2, s0
	v_lshlrev_b64 v[4:5], 3, v[4:5]
	v_cndmask_b32_e32 v3, 0, v3, vcc
	v_cndmask_b32_e32 v2, 0, v2, vcc
	v_add_u32_e32 v6, 0x100, v1
	v_mov_b32_e32 v1, s3
	v_add_co_u32_e32 v4, vcc, s2, v4
	v_addc_co_u32_e32 v5, vcc, v1, v5, vcc
	v_mov_b32_e32 v1, v6
	global_store_dwordx2 v[4:5], v[2:3], off
	s_or_b64 exec, exec, s[6:7]
	v_cmp_gt_i32_e32 vcc, s8, v1
	s_and_saveexec_b64 s[6:7], vcc
	s_cbranch_execz .LBB67_6
.LBB67_11:
	v_or_b32_e32 v2, 0x200, v0
	v_add_u32_e32 v4, s4, v1
	v_mov_b32_e32 v5, 0
	v_mov_b32_e32 v3, s1
	v_cmp_gt_i32_e32 vcc, s8, v2
	v_mov_b32_e32 v2, s0
	v_lshlrev_b64 v[4:5], 3, v[4:5]
	v_cndmask_b32_e32 v3, 0, v3, vcc
	v_cndmask_b32_e32 v2, 0, v2, vcc
	v_add_u32_e32 v6, 0x100, v1
	v_mov_b32_e32 v1, s3
	v_add_co_u32_e32 v4, vcc, s2, v4
	v_addc_co_u32_e32 v5, vcc, v1, v5, vcc
	v_mov_b32_e32 v1, v6
	global_store_dwordx2 v[4:5], v[2:3], off
	s_or_b64 exec, exec, s[6:7]
	v_cmp_gt_i32_e32 vcc, s8, v1
	s_and_saveexec_b64 s[6:7], vcc
	s_cbranch_execnz .LBB67_7
	s_branch .LBB67_8
	.section	.rodata,"a",@progbits
	.p2align	6, 0x0
	.amdhsa_kernel _ZN2at6native29vectorized_elementwise_kernelILi2ENS0_11FillFunctorIN3c107complexIfEEEESt5arrayIPcLm1EEEEviT0_T1_
		.amdhsa_group_segment_fixed_size 0
		.amdhsa_private_segment_fixed_size 0
		.amdhsa_kernarg_size 24
		.amdhsa_user_sgpr_count 6
		.amdhsa_user_sgpr_private_segment_buffer 1
		.amdhsa_user_sgpr_dispatch_ptr 0
		.amdhsa_user_sgpr_queue_ptr 0
		.amdhsa_user_sgpr_kernarg_segment_ptr 1
		.amdhsa_user_sgpr_dispatch_id 0
		.amdhsa_user_sgpr_flat_scratch_init 0
		.amdhsa_user_sgpr_kernarg_preload_length 0
		.amdhsa_user_sgpr_kernarg_preload_offset 0
		.amdhsa_user_sgpr_private_segment_size 0
		.amdhsa_uses_dynamic_stack 0
		.amdhsa_system_sgpr_private_segment_wavefront_offset 0
		.amdhsa_system_sgpr_workgroup_id_x 1
		.amdhsa_system_sgpr_workgroup_id_y 0
		.amdhsa_system_sgpr_workgroup_id_z 0
		.amdhsa_system_sgpr_workgroup_info 0
		.amdhsa_system_vgpr_workitem_id 0
		.amdhsa_next_free_vgpr 8
		.amdhsa_next_free_sgpr 16
		.amdhsa_accum_offset 8
		.amdhsa_reserve_vcc 1
		.amdhsa_reserve_flat_scratch 0
		.amdhsa_float_round_mode_32 0
		.amdhsa_float_round_mode_16_64 0
		.amdhsa_float_denorm_mode_32 3
		.amdhsa_float_denorm_mode_16_64 3
		.amdhsa_dx10_clamp 1
		.amdhsa_ieee_mode 1
		.amdhsa_fp16_overflow 0
		.amdhsa_tg_split 0
		.amdhsa_exception_fp_ieee_invalid_op 0
		.amdhsa_exception_fp_denorm_src 0
		.amdhsa_exception_fp_ieee_div_zero 0
		.amdhsa_exception_fp_ieee_overflow 0
		.amdhsa_exception_fp_ieee_underflow 0
		.amdhsa_exception_fp_ieee_inexact 0
		.amdhsa_exception_int_div_zero 0
	.end_amdhsa_kernel
	.section	.text._ZN2at6native29vectorized_elementwise_kernelILi2ENS0_11FillFunctorIN3c107complexIfEEEESt5arrayIPcLm1EEEEviT0_T1_,"axG",@progbits,_ZN2at6native29vectorized_elementwise_kernelILi2ENS0_11FillFunctorIN3c107complexIfEEEESt5arrayIPcLm1EEEEviT0_T1_,comdat
.Lfunc_end67:
	.size	_ZN2at6native29vectorized_elementwise_kernelILi2ENS0_11FillFunctorIN3c107complexIfEEEESt5arrayIPcLm1EEEEviT0_T1_, .Lfunc_end67-_ZN2at6native29vectorized_elementwise_kernelILi2ENS0_11FillFunctorIN3c107complexIfEEEESt5arrayIPcLm1EEEEviT0_T1_
                                        ; -- End function
	.section	.AMDGPU.csdata,"",@progbits
; Kernel info:
; codeLenInByte = 528
; NumSgprs: 20
; NumVgprs: 8
; NumAgprs: 0
; TotalNumVgprs: 8
; ScratchSize: 0
; MemoryBound: 0
; FloatMode: 240
; IeeeMode: 1
; LDSByteSize: 0 bytes/workgroup (compile time only)
; SGPRBlocks: 2
; VGPRBlocks: 0
; NumSGPRsForWavesPerEU: 20
; NumVGPRsForWavesPerEU: 8
; AccumOffset: 8
; Occupancy: 8
; WaveLimiterHint : 1
; COMPUTE_PGM_RSRC2:SCRATCH_EN: 0
; COMPUTE_PGM_RSRC2:USER_SGPR: 6
; COMPUTE_PGM_RSRC2:TRAP_HANDLER: 0
; COMPUTE_PGM_RSRC2:TGID_X_EN: 1
; COMPUTE_PGM_RSRC2:TGID_Y_EN: 0
; COMPUTE_PGM_RSRC2:TGID_Z_EN: 0
; COMPUTE_PGM_RSRC2:TIDIG_COMP_CNT: 0
; COMPUTE_PGM_RSRC3_GFX90A:ACCUM_OFFSET: 1
; COMPUTE_PGM_RSRC3_GFX90A:TG_SPLIT: 0
	.section	.text._ZN2at6native27unrolled_elementwise_kernelINS0_11FillFunctorIN3c107complexIfEEEESt5arrayIPcLm1EELi4E23TrivialOffsetCalculatorILi0EjESA_ILi1EjENS0_6memory15LoadWithoutCastENSD_16StoreWithoutCastEEEviT_T0_T2_T3_T4_T5_,"axG",@progbits,_ZN2at6native27unrolled_elementwise_kernelINS0_11FillFunctorIN3c107complexIfEEEESt5arrayIPcLm1EELi4E23TrivialOffsetCalculatorILi0EjESA_ILi1EjENS0_6memory15LoadWithoutCastENSD_16StoreWithoutCastEEEviT_T0_T2_T3_T4_T5_,comdat
	.protected	_ZN2at6native27unrolled_elementwise_kernelINS0_11FillFunctorIN3c107complexIfEEEESt5arrayIPcLm1EELi4E23TrivialOffsetCalculatorILi0EjESA_ILi1EjENS0_6memory15LoadWithoutCastENSD_16StoreWithoutCastEEEviT_T0_T2_T3_T4_T5_ ; -- Begin function _ZN2at6native27unrolled_elementwise_kernelINS0_11FillFunctorIN3c107complexIfEEEESt5arrayIPcLm1EELi4E23TrivialOffsetCalculatorILi0EjESA_ILi1EjENS0_6memory15LoadWithoutCastENSD_16StoreWithoutCastEEEviT_T0_T2_T3_T4_T5_
	.globl	_ZN2at6native27unrolled_elementwise_kernelINS0_11FillFunctorIN3c107complexIfEEEESt5arrayIPcLm1EELi4E23TrivialOffsetCalculatorILi0EjESA_ILi1EjENS0_6memory15LoadWithoutCastENSD_16StoreWithoutCastEEEviT_T0_T2_T3_T4_T5_
	.p2align	8
	.type	_ZN2at6native27unrolled_elementwise_kernelINS0_11FillFunctorIN3c107complexIfEEEESt5arrayIPcLm1EELi4E23TrivialOffsetCalculatorILi0EjESA_ILi1EjENS0_6memory15LoadWithoutCastENSD_16StoreWithoutCastEEEviT_T0_T2_T3_T4_T5_,@function
_ZN2at6native27unrolled_elementwise_kernelINS0_11FillFunctorIN3c107complexIfEEEESt5arrayIPcLm1EELi4E23TrivialOffsetCalculatorILi0EjESA_ILi1EjENS0_6memory15LoadWithoutCastENSD_16StoreWithoutCastEEEviT_T0_T2_T3_T4_T5_: ; @_ZN2at6native27unrolled_elementwise_kernelINS0_11FillFunctorIN3c107complexIfEEEESt5arrayIPcLm1EELi4E23TrivialOffsetCalculatorILi0EjESA_ILi1EjENS0_6memory15LoadWithoutCastENSD_16StoreWithoutCastEEEviT_T0_T2_T3_T4_T5_
; %bb.0:
	s_load_dword s7, s[4:5], 0x0
	s_load_dwordx4 s[0:3], s[4:5], 0x8
	s_lshl_b32 s6, s6, 10
	v_or_b32_e32 v2, 0x100, v0
	v_mov_b32_e32 v1, v0
	s_waitcnt lgkmcnt(0)
	s_sub_i32 s7, s7, s6
	v_cmp_gt_i32_e32 vcc, s7, v0
	s_and_saveexec_b64 s[4:5], vcc
	s_cbranch_execnz .LBB68_5
; %bb.1:
	s_or_b64 exec, exec, s[4:5]
	v_cmp_gt_i32_e32 vcc, s7, v1
	s_and_saveexec_b64 s[4:5], vcc
	s_cbranch_execnz .LBB68_6
.LBB68_2:
	s_or_b64 exec, exec, s[4:5]
	v_cmp_gt_i32_e32 vcc, s7, v1
	s_and_saveexec_b64 s[4:5], vcc
	s_cbranch_execnz .LBB68_7
.LBB68_3:
	s_or_b64 exec, exec, s[4:5]
	v_cmp_gt_i32_e32 vcc, s7, v1
	s_and_saveexec_b64 s[4:5], vcc
	s_cbranch_execnz .LBB68_8
.LBB68_4:
	s_endpgm
.LBB68_5:
	v_or_b32_e32 v4, s6, v0
	v_mov_b32_e32 v5, 0
	v_lshlrev_b64 v[4:5], 3, v[4:5]
	v_mov_b32_e32 v1, s3
	v_add_co_u32_e32 v4, vcc, s2, v4
	v_addc_co_u32_e32 v5, vcc, v1, v5, vcc
	v_pk_mov_b32 v[6:7], s[0:1], s[0:1] op_sel:[0,1]
	v_mov_b32_e32 v1, v2
	global_store_dwordx2 v[4:5], v[6:7], off
	s_or_b64 exec, exec, s[4:5]
	v_cmp_gt_i32_e32 vcc, s7, v1
	s_and_saveexec_b64 s[4:5], vcc
	s_cbranch_execz .LBB68_2
.LBB68_6:
	v_add_u32_e32 v4, s6, v1
	v_mov_b32_e32 v5, 0
	v_mov_b32_e32 v3, s1
	v_cmp_gt_i32_e32 vcc, s7, v2
	v_mov_b32_e32 v2, s0
	v_lshlrev_b64 v[4:5], 3, v[4:5]
	v_cndmask_b32_e32 v3, 0, v3, vcc
	v_cndmask_b32_e32 v2, 0, v2, vcc
	v_mov_b32_e32 v6, s3
	v_add_co_u32_e32 v4, vcc, s2, v4
	v_addc_co_u32_e32 v5, vcc, v6, v5, vcc
	v_add_u32_e32 v1, 0x100, v1
	global_store_dwordx2 v[4:5], v[2:3], off
	s_or_b64 exec, exec, s[4:5]
	v_cmp_gt_i32_e32 vcc, s7, v1
	s_and_saveexec_b64 s[4:5], vcc
	s_cbranch_execz .LBB68_3
.LBB68_7:
	v_or_b32_e32 v2, 0x200, v0
	v_add_u32_e32 v4, s6, v1
	v_mov_b32_e32 v5, 0
	v_mov_b32_e32 v3, s1
	v_cmp_gt_i32_e32 vcc, s7, v2
	v_mov_b32_e32 v2, s0
	v_lshlrev_b64 v[4:5], 3, v[4:5]
	v_cndmask_b32_e32 v3, 0, v3, vcc
	v_cndmask_b32_e32 v2, 0, v2, vcc
	v_mov_b32_e32 v6, s3
	v_add_co_u32_e32 v4, vcc, s2, v4
	v_addc_co_u32_e32 v5, vcc, v6, v5, vcc
	v_add_u32_e32 v1, 0x100, v1
	global_store_dwordx2 v[4:5], v[2:3], off
	s_or_b64 exec, exec, s[4:5]
	v_cmp_gt_i32_e32 vcc, s7, v1
	s_and_saveexec_b64 s[4:5], vcc
	s_cbranch_execz .LBB68_4
.LBB68_8:
	v_or_b32_e32 v0, 0x300, v0
	v_mov_b32_e32 v2, s1
	v_cmp_gt_i32_e32 vcc, s7, v0
	v_mov_b32_e32 v0, s0
	v_cndmask_b32_e32 v3, 0, v2, vcc
	v_cndmask_b32_e32 v2, 0, v0, vcc
	v_add_u32_e32 v0, s6, v1
	v_mov_b32_e32 v1, 0
	v_lshlrev_b64 v[0:1], 3, v[0:1]
	v_mov_b32_e32 v4, s3
	v_add_co_u32_e32 v0, vcc, s2, v0
	v_addc_co_u32_e32 v1, vcc, v4, v1, vcc
	global_store_dwordx2 v[0:1], v[2:3], off
	s_endpgm
	.section	.rodata,"a",@progbits
	.p2align	6, 0x0
	.amdhsa_kernel _ZN2at6native27unrolled_elementwise_kernelINS0_11FillFunctorIN3c107complexIfEEEESt5arrayIPcLm1EELi4E23TrivialOffsetCalculatorILi0EjESA_ILi1EjENS0_6memory15LoadWithoutCastENSD_16StoreWithoutCastEEEviT_T0_T2_T3_T4_T5_
		.amdhsa_group_segment_fixed_size 0
		.amdhsa_private_segment_fixed_size 0
		.amdhsa_kernarg_size 28
		.amdhsa_user_sgpr_count 6
		.amdhsa_user_sgpr_private_segment_buffer 1
		.amdhsa_user_sgpr_dispatch_ptr 0
		.amdhsa_user_sgpr_queue_ptr 0
		.amdhsa_user_sgpr_kernarg_segment_ptr 1
		.amdhsa_user_sgpr_dispatch_id 0
		.amdhsa_user_sgpr_flat_scratch_init 0
		.amdhsa_user_sgpr_kernarg_preload_length 0
		.amdhsa_user_sgpr_kernarg_preload_offset 0
		.amdhsa_user_sgpr_private_segment_size 0
		.amdhsa_uses_dynamic_stack 0
		.amdhsa_system_sgpr_private_segment_wavefront_offset 0
		.amdhsa_system_sgpr_workgroup_id_x 1
		.amdhsa_system_sgpr_workgroup_id_y 0
		.amdhsa_system_sgpr_workgroup_id_z 0
		.amdhsa_system_sgpr_workgroup_info 0
		.amdhsa_system_vgpr_workitem_id 0
		.amdhsa_next_free_vgpr 8
		.amdhsa_next_free_sgpr 8
		.amdhsa_accum_offset 8
		.amdhsa_reserve_vcc 1
		.amdhsa_reserve_flat_scratch 0
		.amdhsa_float_round_mode_32 0
		.amdhsa_float_round_mode_16_64 0
		.amdhsa_float_denorm_mode_32 3
		.amdhsa_float_denorm_mode_16_64 3
		.amdhsa_dx10_clamp 1
		.amdhsa_ieee_mode 1
		.amdhsa_fp16_overflow 0
		.amdhsa_tg_split 0
		.amdhsa_exception_fp_ieee_invalid_op 0
		.amdhsa_exception_fp_denorm_src 0
		.amdhsa_exception_fp_ieee_div_zero 0
		.amdhsa_exception_fp_ieee_overflow 0
		.amdhsa_exception_fp_ieee_underflow 0
		.amdhsa_exception_fp_ieee_inexact 0
		.amdhsa_exception_int_div_zero 0
	.end_amdhsa_kernel
	.section	.text._ZN2at6native27unrolled_elementwise_kernelINS0_11FillFunctorIN3c107complexIfEEEESt5arrayIPcLm1EELi4E23TrivialOffsetCalculatorILi0EjESA_ILi1EjENS0_6memory15LoadWithoutCastENSD_16StoreWithoutCastEEEviT_T0_T2_T3_T4_T5_,"axG",@progbits,_ZN2at6native27unrolled_elementwise_kernelINS0_11FillFunctorIN3c107complexIfEEEESt5arrayIPcLm1EELi4E23TrivialOffsetCalculatorILi0EjESA_ILi1EjENS0_6memory15LoadWithoutCastENSD_16StoreWithoutCastEEEviT_T0_T2_T3_T4_T5_,comdat
.Lfunc_end68:
	.size	_ZN2at6native27unrolled_elementwise_kernelINS0_11FillFunctorIN3c107complexIfEEEESt5arrayIPcLm1EELi4E23TrivialOffsetCalculatorILi0EjESA_ILi1EjENS0_6memory15LoadWithoutCastENSD_16StoreWithoutCastEEEviT_T0_T2_T3_T4_T5_, .Lfunc_end68-_ZN2at6native27unrolled_elementwise_kernelINS0_11FillFunctorIN3c107complexIfEEEESt5arrayIPcLm1EELi4E23TrivialOffsetCalculatorILi0EjESA_ILi1EjENS0_6memory15LoadWithoutCastENSD_16StoreWithoutCastEEEviT_T0_T2_T3_T4_T5_
                                        ; -- End function
	.section	.AMDGPU.csdata,"",@progbits
; Kernel info:
; codeLenInByte = 404
; NumSgprs: 12
; NumVgprs: 8
; NumAgprs: 0
; TotalNumVgprs: 8
; ScratchSize: 0
; MemoryBound: 0
; FloatMode: 240
; IeeeMode: 1
; LDSByteSize: 0 bytes/workgroup (compile time only)
; SGPRBlocks: 1
; VGPRBlocks: 0
; NumSGPRsForWavesPerEU: 12
; NumVGPRsForWavesPerEU: 8
; AccumOffset: 8
; Occupancy: 8
; WaveLimiterHint : 0
; COMPUTE_PGM_RSRC2:SCRATCH_EN: 0
; COMPUTE_PGM_RSRC2:USER_SGPR: 6
; COMPUTE_PGM_RSRC2:TRAP_HANDLER: 0
; COMPUTE_PGM_RSRC2:TGID_X_EN: 1
; COMPUTE_PGM_RSRC2:TGID_Y_EN: 0
; COMPUTE_PGM_RSRC2:TGID_Z_EN: 0
; COMPUTE_PGM_RSRC2:TIDIG_COMP_CNT: 0
; COMPUTE_PGM_RSRC3_GFX90A:ACCUM_OFFSET: 1
; COMPUTE_PGM_RSRC3_GFX90A:TG_SPLIT: 0
	.section	.text._ZN2at6native32elementwise_kernel_manual_unrollILi128ELi4EZNS0_22gpu_kernel_impl_nocastINS0_11FillFunctorIN3c107complexIfEEEEEEvRNS_18TensorIteratorBaseERKT_EUlibE_EEviT1_,"axG",@progbits,_ZN2at6native32elementwise_kernel_manual_unrollILi128ELi4EZNS0_22gpu_kernel_impl_nocastINS0_11FillFunctorIN3c107complexIfEEEEEEvRNS_18TensorIteratorBaseERKT_EUlibE_EEviT1_,comdat
	.protected	_ZN2at6native32elementwise_kernel_manual_unrollILi128ELi4EZNS0_22gpu_kernel_impl_nocastINS0_11FillFunctorIN3c107complexIfEEEEEEvRNS_18TensorIteratorBaseERKT_EUlibE_EEviT1_ ; -- Begin function _ZN2at6native32elementwise_kernel_manual_unrollILi128ELi4EZNS0_22gpu_kernel_impl_nocastINS0_11FillFunctorIN3c107complexIfEEEEEEvRNS_18TensorIteratorBaseERKT_EUlibE_EEviT1_
	.globl	_ZN2at6native32elementwise_kernel_manual_unrollILi128ELi4EZNS0_22gpu_kernel_impl_nocastINS0_11FillFunctorIN3c107complexIfEEEEEEvRNS_18TensorIteratorBaseERKT_EUlibE_EEviT1_
	.p2align	8
	.type	_ZN2at6native32elementwise_kernel_manual_unrollILi128ELi4EZNS0_22gpu_kernel_impl_nocastINS0_11FillFunctorIN3c107complexIfEEEEEEvRNS_18TensorIteratorBaseERKT_EUlibE_EEviT1_,@function
_ZN2at6native32elementwise_kernel_manual_unrollILi128ELi4EZNS0_22gpu_kernel_impl_nocastINS0_11FillFunctorIN3c107complexIfEEEEEEvRNS_18TensorIteratorBaseERKT_EUlibE_EEviT1_: ; @_ZN2at6native32elementwise_kernel_manual_unrollILi128ELi4EZNS0_22gpu_kernel_impl_nocastINS0_11FillFunctorIN3c107complexIfEEEEEEvRNS_18TensorIteratorBaseERKT_EUlibE_EEviT1_
; %bb.0:
	s_load_dword s49, s[4:5], 0x0
	s_load_dword s33, s[4:5], 0x8
	s_or_b32 s4, s4, 8
	v_lshl_or_b32 v4, s6, 9, v0
	v_or_b32_e32 v10, 0x180, v4
	s_waitcnt lgkmcnt(0)
	v_cmp_le_i32_e32 vcc, s49, v10
	s_add_i32 s48, s33, -1
	s_cmp_gt_u32 s48, 1
	s_cselect_b64 s[6:7], -1, 0
	s_mov_b64 s[24:25], 0
                                        ; implicit-def: $sgpr3
                                        ; implicit-def: $vgpr8_vgpr9
	s_and_saveexec_b64 s[0:1], vcc
	s_xor_b64 s[28:29], exec, s[0:1]
	s_cbranch_execnz .LBB69_4
; %bb.1:
	s_or_saveexec_b64 s[26:27], s[28:29]
	v_mov_b32_e32 v0, s3
	s_xor_b64 exec, exec, s[26:27]
	s_cbranch_execnz .LBB69_69
.LBB69_2:
	s_or_b64 exec, exec, s[26:27]
	s_and_saveexec_b64 s[0:1], s[24:25]
	s_cbranch_execnz .LBB69_122
.LBB69_3:
	s_endpgm
.LBB69_4:
	s_load_dwordx4 s[16:19], s[4:5], 0x4
	s_load_dwordx2 s[34:35], s[4:5], 0x14
	s_load_dwordx2 s[30:31], s[4:5], 0xc4
	s_load_dwordx4 s[0:3], s[4:5], 0x108
	s_cmp_lg_u32 s33, 0
	s_cselect_b64 s[40:41], -1, 0
	s_add_u32 s38, s4, 0xc4
	s_addc_u32 s39, s5, 0
	s_min_u32 s50, s48, 15
	s_cmp_gt_u32 s33, 1
	s_cselect_b64 s[36:37], -1, 0
	v_cmp_gt_i32_e32 vcc, s49, v4
	s_and_saveexec_b64 s[42:43], vcc
	s_cbranch_execnz .LBB69_7
; %bb.5:
	s_or_b64 exec, exec, s[42:43]
	v_cmp_gt_i32_e32 vcc, s49, v4
	s_and_saveexec_b64 s[42:43], vcc
	s_cbranch_execnz .LBB69_22
.LBB69_6:
	s_or_b64 exec, exec, s[42:43]
	v_cmp_gt_i32_e32 vcc, s49, v4
	s_and_saveexec_b64 s[42:43], vcc
	s_cbranch_execnz .LBB69_37
	s_branch .LBB69_52
.LBB69_7:
	s_andn2_b64 vcc, exec, s[6:7]
	s_cbranch_vccnz .LBB69_12
; %bb.8:
	s_andn2_b64 vcc, exec, s[40:41]
	s_cbranch_vccnz .LBB69_13
; %bb.9:
	s_add_i32 s52, s50, 1
	s_mov_b32 s51, 0
	s_cmp_eq_u32 s48, 2
	v_mov_b32_e32 v0, 0
	s_cbranch_scc1 .LBB69_14
; %bb.10:
	s_and_b32 s51, s52, 28
	s_mov_b32 s53, 0
	v_mov_b32_e32 v0, 0
	s_mov_b64 s[44:45], s[4:5]
	s_mov_b64 s[46:47], s[38:39]
	v_mov_b32_e32 v2, v4
.LBB69_11:                              ; =>This Inner Loop Header: Depth=1
	s_load_dwordx8 s[8:15], s[44:45], 0x4
	s_load_dwordx4 s[20:23], s[44:45], 0x24
	s_load_dwordx4 s[24:27], s[46:47], 0x0
	s_add_u32 s44, s44, 48
	s_addc_u32 s45, s45, 0
	s_waitcnt lgkmcnt(0)
	v_mul_hi_u32 v1, s9, v2
	v_add_u32_e32 v1, v2, v1
	v_lshrrev_b32_e32 v1, s10, v1
	v_mul_lo_u32 v3, v1, s8
	v_mul_hi_u32 v5, s12, v1
	v_sub_u32_e32 v2, v2, v3
	v_add_u32_e32 v3, v1, v5
	v_lshrrev_b32_e32 v3, s13, v3
	v_mul_lo_u32 v5, v3, s11
	v_mul_hi_u32 v6, s15, v3
	v_sub_u32_e32 v1, v1, v5
	v_add_u32_e32 v5, v3, v6
	v_mul_lo_u32 v2, v2, s24
	v_mul_lo_u32 v1, v1, s25
	v_lshrrev_b32_e32 v5, s20, v5
	v_add3_u32 v0, v2, v0, v1
	v_mul_hi_u32 v2, s22, v5
	v_add_u32_e32 v2, v5, v2
	v_mul_lo_u32 v1, v5, s14
	v_lshrrev_b32_e32 v2, s23, v2
	s_add_i32 s53, s53, 4
	v_sub_u32_e32 v1, v3, v1
	v_mul_lo_u32 v3, v2, s21
	s_add_u32 s46, s46, 16
	v_sub_u32_e32 v3, v5, v3
	s_addc_u32 s47, s47, 0
	v_mul_lo_u32 v1, v1, s26
	v_mul_lo_u32 v3, v3, s27
	s_cmp_lg_u32 s51, s53
	v_add3_u32 v0, v1, v0, v3
	s_cbranch_scc1 .LBB69_11
	s_branch .LBB69_15
.LBB69_12:
                                        ; implicit-def: $vgpr0
	s_branch .LBB69_19
.LBB69_13:
	v_mov_b32_e32 v0, 0
	s_branch .LBB69_18
.LBB69_14:
	v_mov_b32_e32 v2, v4
.LBB69_15:
	s_and_b32 s12, s52, 3
	s_cmp_eq_u32 s12, 0
	s_cbranch_scc1 .LBB69_18
; %bb.16:
	s_lshl_b32 s8, s51, 2
	s_add_u32 s8, s8, s4
	s_addc_u32 s9, s5, 0
	s_add_u32 s8, s8, 0xc4
	s_addc_u32 s9, s9, 0
	s_mul_i32 s10, s51, 12
	s_add_u32 s10, s4, s10
	s_addc_u32 s11, s5, 0
.LBB69_17:                              ; =>This Inner Loop Header: Depth=1
	s_load_dwordx2 s[14:15], s[10:11], 0x4
	s_load_dword s13, s[10:11], 0xc
	s_load_dword s20, s[8:9], 0x0
	s_add_u32 s10, s10, 12
	s_addc_u32 s11, s11, 0
	s_waitcnt lgkmcnt(0)
	v_mul_hi_u32 v1, s15, v2
	v_add_u32_e32 v1, v2, v1
	v_lshrrev_b32_e32 v1, s13, v1
	s_add_u32 s8, s8, 4
	v_mul_lo_u32 v3, v1, s14
	s_addc_u32 s9, s9, 0
	s_add_i32 s12, s12, -1
	v_sub_u32_e32 v3, v2, v3
	s_cmp_lg_u32 s12, 0
	v_mov_b32_e32 v2, v1
	v_mad_u64_u32 v[0:1], s[14:15], v3, s20, v[0:1]
	s_cbranch_scc1 .LBB69_17
.LBB69_18:
	s_cbranch_execnz .LBB69_21
.LBB69_19:
	s_waitcnt lgkmcnt(0)
	v_mul_hi_u32 v0, s17, v4
	v_add_u32_e32 v0, v4, v0
	v_lshrrev_b32_e32 v1, s18, v0
	v_mul_lo_u32 v0, v1, s16
	v_sub_u32_e32 v0, v4, v0
	s_andn2_b64 vcc, exec, s[36:37]
	v_mul_lo_u32 v0, v0, s30
	s_cbranch_vccnz .LBB69_21
; %bb.20:
	v_mul_hi_u32 v2, s34, v1
	v_add_u32_e32 v2, v1, v2
	v_lshrrev_b32_e32 v2, s35, v2
	v_mul_lo_u32 v2, v2, s19
	v_sub_u32_e32 v1, v1, v2
	v_mad_u64_u32 v[0:1], s[8:9], v1, s31, v[0:1]
.LBB69_21:
	s_waitcnt lgkmcnt(0)
	v_pk_mov_b32 v[2:3], s[2:3], s[2:3] op_sel:[0,1]
	v_add_u32_e32 v4, 0x80, v4
	global_store_dwordx2 v0, v[2:3], s[0:1]
	s_or_b64 exec, exec, s[42:43]
	v_cmp_gt_i32_e32 vcc, s49, v4
	s_and_saveexec_b64 s[42:43], vcc
	s_cbranch_execz .LBB69_6
.LBB69_22:
	s_andn2_b64 vcc, exec, s[6:7]
	s_cbranch_vccnz .LBB69_27
; %bb.23:
	s_andn2_b64 vcc, exec, s[40:41]
	s_cbranch_vccnz .LBB69_28
; %bb.24:
	s_add_i32 s52, s50, 1
	s_mov_b32 s51, 0
	s_cmp_eq_u32 s48, 2
	v_mov_b32_e32 v0, 0
	s_cbranch_scc1 .LBB69_29
; %bb.25:
	s_and_b32 s51, s52, 28
	s_mov_b32 s53, 0
	v_mov_b32_e32 v0, 0
	s_mov_b64 s[44:45], s[4:5]
	s_mov_b64 s[46:47], s[38:39]
	v_mov_b32_e32 v2, v4
.LBB69_26:                              ; =>This Inner Loop Header: Depth=1
	s_load_dwordx8 s[8:15], s[44:45], 0x4
	s_load_dwordx4 s[20:23], s[44:45], 0x24
	s_load_dwordx4 s[24:27], s[46:47], 0x0
	s_add_u32 s44, s44, 48
	s_addc_u32 s45, s45, 0
	s_waitcnt lgkmcnt(0)
	v_mul_hi_u32 v1, s9, v2
	v_add_u32_e32 v1, v2, v1
	v_lshrrev_b32_e32 v1, s10, v1
	v_mul_lo_u32 v3, v1, s8
	v_mul_hi_u32 v5, s12, v1
	v_sub_u32_e32 v2, v2, v3
	v_add_u32_e32 v3, v1, v5
	v_lshrrev_b32_e32 v3, s13, v3
	v_mul_lo_u32 v5, v3, s11
	v_mul_hi_u32 v6, s15, v3
	v_sub_u32_e32 v1, v1, v5
	v_add_u32_e32 v5, v3, v6
	v_mul_lo_u32 v2, v2, s24
	v_mul_lo_u32 v1, v1, s25
	v_lshrrev_b32_e32 v5, s20, v5
	v_add3_u32 v0, v2, v0, v1
	v_mul_hi_u32 v2, s22, v5
	v_add_u32_e32 v2, v5, v2
	v_mul_lo_u32 v1, v5, s14
	v_lshrrev_b32_e32 v2, s23, v2
	s_add_i32 s53, s53, 4
	v_sub_u32_e32 v1, v3, v1
	v_mul_lo_u32 v3, v2, s21
	s_add_u32 s46, s46, 16
	v_sub_u32_e32 v3, v5, v3
	s_addc_u32 s47, s47, 0
	v_mul_lo_u32 v1, v1, s26
	v_mul_lo_u32 v3, v3, s27
	s_cmp_eq_u32 s51, s53
	v_add3_u32 v0, v1, v0, v3
	s_cbranch_scc0 .LBB69_26
	s_branch .LBB69_30
.LBB69_27:
                                        ; implicit-def: $vgpr0
	s_branch .LBB69_34
.LBB69_28:
	v_mov_b32_e32 v0, 0
	s_branch .LBB69_33
.LBB69_29:
	v_mov_b32_e32 v2, v4
.LBB69_30:
	s_and_b32 s12, s52, 3
	s_cmp_eq_u32 s12, 0
	s_cbranch_scc1 .LBB69_33
; %bb.31:
	s_lshl_b32 s8, s51, 2
	s_add_u32 s8, s8, s4
	s_addc_u32 s9, s5, 0
	s_add_u32 s8, s8, 0xc4
	s_addc_u32 s9, s9, 0
	s_mul_i32 s10, s51, 12
	s_add_u32 s10, s4, s10
	s_addc_u32 s11, s5, 0
.LBB69_32:                              ; =>This Inner Loop Header: Depth=1
	s_load_dwordx2 s[14:15], s[10:11], 0x4
	s_load_dword s13, s[10:11], 0xc
	s_load_dword s20, s[8:9], 0x0
	s_add_u32 s10, s10, 12
	s_addc_u32 s11, s11, 0
	s_waitcnt lgkmcnt(0)
	v_mul_hi_u32 v1, s15, v2
	v_add_u32_e32 v1, v2, v1
	v_lshrrev_b32_e32 v1, s13, v1
	s_add_u32 s8, s8, 4
	v_mul_lo_u32 v3, v1, s14
	s_addc_u32 s9, s9, 0
	s_add_i32 s12, s12, -1
	v_sub_u32_e32 v3, v2, v3
	s_cmp_lg_u32 s12, 0
	v_mov_b32_e32 v2, v1
	v_mad_u64_u32 v[0:1], s[14:15], v3, s20, v[0:1]
	s_cbranch_scc1 .LBB69_32
.LBB69_33:
	s_cbranch_execnz .LBB69_36
.LBB69_34:
	s_waitcnt lgkmcnt(0)
	v_mul_hi_u32 v0, s17, v4
	v_add_u32_e32 v0, v4, v0
	v_lshrrev_b32_e32 v1, s18, v0
	v_mul_lo_u32 v0, v1, s16
	v_sub_u32_e32 v0, v4, v0
	s_andn2_b64 vcc, exec, s[36:37]
	v_mul_lo_u32 v0, v0, s30
	s_cbranch_vccnz .LBB69_36
; %bb.35:
	v_mul_hi_u32 v2, s34, v1
	v_add_u32_e32 v2, v1, v2
	v_lshrrev_b32_e32 v2, s35, v2
	v_mul_lo_u32 v2, v2, s19
	v_sub_u32_e32 v1, v1, v2
	v_mad_u64_u32 v[0:1], s[8:9], v1, s31, v[0:1]
.LBB69_36:
	s_waitcnt lgkmcnt(0)
	v_pk_mov_b32 v[2:3], s[2:3], s[2:3] op_sel:[0,1]
	v_add_u32_e32 v4, 0x80, v4
	global_store_dwordx2 v0, v[2:3], s[0:1]
	s_or_b64 exec, exec, s[42:43]
	v_cmp_gt_i32_e32 vcc, s49, v4
	s_and_saveexec_b64 s[42:43], vcc
	s_cbranch_execz .LBB69_52
.LBB69_37:
	s_andn2_b64 vcc, exec, s[6:7]
	s_cbranch_vccnz .LBB69_42
; %bb.38:
	s_andn2_b64 vcc, exec, s[40:41]
	s_cbranch_vccnz .LBB69_43
; %bb.39:
	s_add_i32 s52, s50, 1
	s_mov_b32 s51, 0
	s_cmp_eq_u32 s48, 2
	v_mov_b32_e32 v0, 0
	s_cbranch_scc1 .LBB69_44
; %bb.40:
	s_and_b32 s51, s52, 28
	s_mov_b32 s53, 0
	v_mov_b32_e32 v0, 0
	s_mov_b64 s[44:45], s[4:5]
	s_mov_b64 s[46:47], s[38:39]
	v_mov_b32_e32 v2, v4
.LBB69_41:                              ; =>This Inner Loop Header: Depth=1
	s_load_dwordx8 s[8:15], s[44:45], 0x4
	s_load_dwordx4 s[20:23], s[44:45], 0x24
	s_load_dwordx4 s[24:27], s[46:47], 0x0
	s_add_u32 s44, s44, 48
	s_addc_u32 s45, s45, 0
	s_waitcnt lgkmcnt(0)
	v_mul_hi_u32 v1, s9, v2
	v_add_u32_e32 v1, v2, v1
	v_lshrrev_b32_e32 v1, s10, v1
	v_mul_lo_u32 v3, v1, s8
	v_mul_hi_u32 v5, s12, v1
	v_sub_u32_e32 v2, v2, v3
	v_add_u32_e32 v3, v1, v5
	v_lshrrev_b32_e32 v3, s13, v3
	v_mul_lo_u32 v5, v3, s11
	v_mul_hi_u32 v6, s15, v3
	v_sub_u32_e32 v1, v1, v5
	v_add_u32_e32 v5, v3, v6
	v_mul_lo_u32 v2, v2, s24
	v_mul_lo_u32 v1, v1, s25
	v_lshrrev_b32_e32 v5, s20, v5
	v_add3_u32 v0, v2, v0, v1
	v_mul_hi_u32 v2, s22, v5
	v_add_u32_e32 v2, v5, v2
	v_mul_lo_u32 v1, v5, s14
	v_lshrrev_b32_e32 v2, s23, v2
	s_add_i32 s53, s53, 4
	v_sub_u32_e32 v1, v3, v1
	v_mul_lo_u32 v3, v2, s21
	s_add_u32 s46, s46, 16
	v_sub_u32_e32 v3, v5, v3
	s_addc_u32 s47, s47, 0
	v_mul_lo_u32 v1, v1, s26
	v_mul_lo_u32 v3, v3, s27
	s_cmp_eq_u32 s51, s53
	v_add3_u32 v0, v1, v0, v3
	s_cbranch_scc0 .LBB69_41
	s_branch .LBB69_45
.LBB69_42:
                                        ; implicit-def: $vgpr0
	s_branch .LBB69_49
.LBB69_43:
	v_mov_b32_e32 v0, 0
	s_branch .LBB69_48
.LBB69_44:
	v_mov_b32_e32 v2, v4
.LBB69_45:
	s_and_b32 s12, s52, 3
	s_cmp_eq_u32 s12, 0
	s_cbranch_scc1 .LBB69_48
; %bb.46:
	s_lshl_b32 s8, s51, 2
	s_add_u32 s8, s8, s4
	s_addc_u32 s9, s5, 0
	s_add_u32 s8, s8, 0xc4
	s_addc_u32 s9, s9, 0
	s_mul_i32 s10, s51, 12
	s_add_u32 s10, s4, s10
	s_addc_u32 s11, s5, 0
.LBB69_47:                              ; =>This Inner Loop Header: Depth=1
	s_load_dwordx2 s[14:15], s[10:11], 0x4
	s_load_dword s13, s[10:11], 0xc
	s_load_dword s20, s[8:9], 0x0
	s_add_u32 s10, s10, 12
	s_addc_u32 s11, s11, 0
	s_waitcnt lgkmcnt(0)
	v_mul_hi_u32 v1, s15, v2
	v_add_u32_e32 v1, v2, v1
	v_lshrrev_b32_e32 v1, s13, v1
	s_add_u32 s8, s8, 4
	v_mul_lo_u32 v3, v1, s14
	s_addc_u32 s9, s9, 0
	s_add_i32 s12, s12, -1
	v_sub_u32_e32 v3, v2, v3
	s_cmp_lg_u32 s12, 0
	v_mov_b32_e32 v2, v1
	v_mad_u64_u32 v[0:1], s[14:15], v3, s20, v[0:1]
	s_cbranch_scc1 .LBB69_47
.LBB69_48:
	s_cbranch_execnz .LBB69_51
.LBB69_49:
	s_waitcnt lgkmcnt(0)
	v_mul_hi_u32 v0, s17, v4
	v_add_u32_e32 v0, v4, v0
	v_lshrrev_b32_e32 v1, s18, v0
	v_mul_lo_u32 v0, v1, s16
	v_sub_u32_e32 v0, v4, v0
	s_andn2_b64 vcc, exec, s[36:37]
	v_mul_lo_u32 v0, v0, s30
	s_cbranch_vccnz .LBB69_51
; %bb.50:
	v_mul_hi_u32 v2, s34, v1
	v_add_u32_e32 v2, v1, v2
	v_lshrrev_b32_e32 v2, s35, v2
	v_mul_lo_u32 v2, v2, s19
	v_sub_u32_e32 v1, v1, v2
	v_mad_u64_u32 v[0:1], s[8:9], v1, s31, v[0:1]
.LBB69_51:
	s_waitcnt lgkmcnt(0)
	v_pk_mov_b32 v[2:3], s[2:3], s[2:3] op_sel:[0,1]
	v_add_u32_e32 v4, 0x80, v4
	global_store_dwordx2 v0, v[2:3], s[0:1]
.LBB69_52:
	s_or_b64 exec, exec, s[42:43]
	v_cmp_gt_i32_e32 vcc, s49, v4
	s_mov_b64 s[8:9], 0
                                        ; implicit-def: $vgpr8_vgpr9
	s_and_saveexec_b64 s[42:43], vcc
	s_cbranch_execz .LBB69_68
; %bb.53:
	s_andn2_b64 vcc, exec, s[6:7]
	s_cbranch_vccnz .LBB69_58
; %bb.54:
	s_andn2_b64 vcc, exec, s[40:41]
	s_cbranch_vccnz .LBB69_59
; %bb.55:
	s_add_i32 s50, s50, 1
	s_mov_b32 s44, 0
	s_cmp_eq_u32 s48, 2
	v_mov_b32_e32 v0, 0
	s_cbranch_scc1 .LBB69_60
; %bb.56:
	s_and_b32 s44, s50, 28
	s_mov_b32 s45, 0
	v_mov_b32_e32 v0, 0
	s_mov_b64 s[40:41], s[4:5]
	v_mov_b32_e32 v2, v4
.LBB69_57:                              ; =>This Inner Loop Header: Depth=1
	s_load_dwordx8 s[8:15], s[40:41], 0x4
	s_load_dwordx4 s[20:23], s[40:41], 0x24
	s_load_dwordx4 s[24:27], s[38:39], 0x0
	s_add_u32 s40, s40, 48
	s_addc_u32 s41, s41, 0
	s_waitcnt lgkmcnt(0)
	v_mul_hi_u32 v1, s9, v2
	v_add_u32_e32 v1, v2, v1
	v_lshrrev_b32_e32 v1, s10, v1
	v_mul_lo_u32 v3, v1, s8
	v_mul_hi_u32 v5, s12, v1
	v_sub_u32_e32 v2, v2, v3
	v_add_u32_e32 v3, v1, v5
	v_lshrrev_b32_e32 v3, s13, v3
	v_mul_lo_u32 v5, v3, s11
	v_mul_hi_u32 v6, s15, v3
	v_sub_u32_e32 v1, v1, v5
	v_add_u32_e32 v5, v3, v6
	v_mul_lo_u32 v2, v2, s24
	v_mul_lo_u32 v1, v1, s25
	v_lshrrev_b32_e32 v5, s20, v5
	v_add3_u32 v0, v2, v0, v1
	v_mul_hi_u32 v2, s22, v5
	v_add_u32_e32 v2, v5, v2
	v_mul_lo_u32 v1, v5, s14
	v_lshrrev_b32_e32 v2, s23, v2
	s_add_i32 s45, s45, 4
	v_sub_u32_e32 v1, v3, v1
	v_mul_lo_u32 v3, v2, s21
	s_add_u32 s38, s38, 16
	v_sub_u32_e32 v3, v5, v3
	s_addc_u32 s39, s39, 0
	v_mul_lo_u32 v1, v1, s26
	v_mul_lo_u32 v3, v3, s27
	s_cmp_eq_u32 s44, s45
	v_add3_u32 v0, v1, v0, v3
	s_cbranch_scc0 .LBB69_57
	s_branch .LBB69_61
.LBB69_58:
                                        ; implicit-def: $vgpr0
	s_branch .LBB69_65
.LBB69_59:
	v_mov_b32_e32 v0, 0
	s_branch .LBB69_64
.LBB69_60:
	v_mov_b32_e32 v2, v4
.LBB69_61:
	s_and_b32 s12, s50, 3
	s_cmp_eq_u32 s12, 0
	s_cbranch_scc1 .LBB69_64
; %bb.62:
	s_lshl_b32 s8, s44, 2
	s_add_u32 s8, s8, s4
	s_addc_u32 s9, s5, 0
	s_add_u32 s8, s8, 0xc4
	s_addc_u32 s9, s9, 0
	s_mul_i32 s10, s44, 12
	s_add_u32 s10, s4, s10
	s_addc_u32 s11, s5, 0
.LBB69_63:                              ; =>This Inner Loop Header: Depth=1
	s_load_dwordx2 s[14:15], s[10:11], 0x4
	s_load_dword s13, s[10:11], 0xc
	s_load_dword s20, s[8:9], 0x0
	s_add_u32 s10, s10, 12
	s_addc_u32 s11, s11, 0
	s_waitcnt lgkmcnt(0)
	v_mul_hi_u32 v1, s15, v2
	v_add_u32_e32 v1, v2, v1
	v_lshrrev_b32_e32 v1, s13, v1
	s_add_u32 s8, s8, 4
	v_mul_lo_u32 v3, v1, s14
	s_addc_u32 s9, s9, 0
	s_add_i32 s12, s12, -1
	v_sub_u32_e32 v3, v2, v3
	s_cmp_lg_u32 s12, 0
	v_mov_b32_e32 v2, v1
	v_mad_u64_u32 v[0:1], s[14:15], v3, s20, v[0:1]
	s_cbranch_scc1 .LBB69_63
.LBB69_64:
	s_cbranch_execnz .LBB69_67
.LBB69_65:
	s_waitcnt lgkmcnt(0)
	v_mul_hi_u32 v0, s17, v4
	v_add_u32_e32 v0, v4, v0
	v_lshrrev_b32_e32 v1, s18, v0
	v_mul_lo_u32 v0, v1, s16
	v_sub_u32_e32 v0, v4, v0
	s_andn2_b64 vcc, exec, s[36:37]
	v_mul_lo_u32 v0, v0, s30
	s_cbranch_vccnz .LBB69_67
; %bb.66:
	v_mul_hi_u32 v2, s34, v1
	v_add_u32_e32 v2, v1, v2
	v_lshrrev_b32_e32 v2, s35, v2
	v_mul_lo_u32 v2, v2, s19
	v_sub_u32_e32 v1, v1, v2
	v_mad_u64_u32 v[0:1], s[8:9], v1, s31, v[0:1]
.LBB69_67:
	s_waitcnt lgkmcnt(0)
	v_mov_b32_e32 v1, s1
	v_add_co_u32_e32 v8, vcc, s0, v0
	s_mov_b64 s[8:9], exec
	v_addc_co_u32_e32 v9, vcc, 0, v1, vcc
	v_mov_b32_e32 v1, s2
	global_store_dword v0, v1, s[0:1]
.LBB69_68:
	s_or_b64 exec, exec, s[42:43]
	s_and_b64 s[24:25], s[8:9], exec
                                        ; implicit-def: $vgpr10
                                        ; implicit-def: $vgpr4
	s_or_saveexec_b64 s[26:27], s[28:29]
	s_waitcnt lgkmcnt(0)
	v_mov_b32_e32 v0, s3
	s_xor_b64 exec, exec, s[26:27]
	s_cbranch_execz .LBB69_2
.LBB69_69:
	v_cndmask_b32_e64 v0, 0, 1, s[6:7]
	v_cmp_ne_u32_e64 s[0:1], 1, v0
	s_andn2_b64 vcc, exec, s[6:7]
	s_cbranch_vccnz .LBB69_75
; %bb.70:
	s_mov_b32 s28, 0
	s_cmp_eq_u32 s33, 0
	v_mov_b32_e32 v0, 0
	s_cbranch_scc1 .LBB69_79
; %bb.71:
	s_min_u32 s29, s48, 15
	s_add_i32 s29, s29, 1
	s_cmp_eq_u32 s48, 2
	v_mov_b32_e32 v0, 0
	s_cbranch_scc1 .LBB69_76
; %bb.72:
	s_add_u32 s2, s4, 0xc4
	s_addc_u32 s3, s5, 0
	s_and_b32 s28, s29, 28
	s_mov_b32 s30, 0
	v_mov_b32_e32 v0, 0
	s_mov_b64 s[6:7], s[4:5]
	v_mov_b32_e32 v2, v4
.LBB69_73:                              ; =>This Inner Loop Header: Depth=1
	s_load_dwordx8 s[8:15], s[6:7], 0x4
	s_load_dwordx4 s[16:19], s[6:7], 0x24
	s_load_dwordx4 s[20:23], s[2:3], 0x0
	s_add_u32 s6, s6, 48
	s_addc_u32 s7, s7, 0
	s_waitcnt lgkmcnt(0)
	v_mul_hi_u32 v1, s9, v2
	v_add_u32_e32 v1, v2, v1
	v_lshrrev_b32_e32 v1, s10, v1
	v_mul_lo_u32 v3, v1, s8
	v_mul_hi_u32 v5, s12, v1
	v_sub_u32_e32 v2, v2, v3
	v_add_u32_e32 v3, v1, v5
	v_lshrrev_b32_e32 v3, s13, v3
	v_mul_lo_u32 v5, v3, s11
	v_mul_hi_u32 v6, s15, v3
	v_sub_u32_e32 v1, v1, v5
	v_add_u32_e32 v5, v3, v6
	v_mul_lo_u32 v2, v2, s20
	v_mul_lo_u32 v1, v1, s21
	v_lshrrev_b32_e32 v5, s16, v5
	v_add3_u32 v0, v2, v0, v1
	v_mul_hi_u32 v2, s18, v5
	v_add_u32_e32 v2, v5, v2
	v_mul_lo_u32 v1, v5, s14
	v_lshrrev_b32_e32 v2, s19, v2
	s_add_i32 s30, s30, 4
	v_sub_u32_e32 v1, v3, v1
	v_mul_lo_u32 v3, v2, s17
	s_add_u32 s2, s2, 16
	v_sub_u32_e32 v3, v5, v3
	s_addc_u32 s3, s3, 0
	v_mul_lo_u32 v1, v1, s22
	v_mul_lo_u32 v3, v3, s23
	s_cmp_lg_u32 s28, s30
	v_add3_u32 v0, v1, v0, v3
	s_cbranch_scc1 .LBB69_73
; %bb.74:
	s_and_b32 s8, s29, 3
	s_cmp_eq_u32 s8, 0
	s_cbranch_scc0 .LBB69_77
	s_branch .LBB69_79
.LBB69_75:
                                        ; implicit-def: $vgpr0
	s_branch .LBB69_80
.LBB69_76:
	v_mov_b32_e32 v2, v4
	s_and_b32 s8, s29, 3
	s_cmp_eq_u32 s8, 0
	s_cbranch_scc1 .LBB69_79
.LBB69_77:
	s_lshl_b32 s2, s28, 2
	s_add_u32 s2, s2, s4
	s_addc_u32 s3, 0, s5
	s_add_u32 s2, s2, 0xc4
	s_addc_u32 s3, s3, 0
	s_mul_i32 s6, s28, 12
	s_add_u32 s6, s4, s6
	s_addc_u32 s7, 0, s5
.LBB69_78:                              ; =>This Inner Loop Header: Depth=1
	s_load_dwordx2 s[10:11], s[6:7], 0x4
	s_load_dword s9, s[6:7], 0xc
	s_load_dword s12, s[2:3], 0x0
	s_add_u32 s6, s6, 12
	s_addc_u32 s7, s7, 0
	s_waitcnt lgkmcnt(0)
	v_mul_hi_u32 v1, s11, v2
	v_add_u32_e32 v1, v2, v1
	v_lshrrev_b32_e32 v1, s9, v1
	s_add_u32 s2, s2, 4
	v_mul_lo_u32 v3, v1, s10
	s_addc_u32 s3, s3, 0
	s_add_i32 s8, s8, -1
	v_sub_u32_e32 v3, v2, v3
	s_cmp_lg_u32 s8, 0
	v_mov_b32_e32 v2, v1
	v_mad_u64_u32 v[0:1], s[10:11], v3, s12, v[0:1]
	s_cbranch_scc1 .LBB69_78
.LBB69_79:
	s_cbranch_execnz .LBB69_82
.LBB69_80:
	s_load_dwordx4 s[8:11], s[4:5], 0x4
	s_load_dword s2, s[4:5], 0xc4
	s_cmp_lt_u32 s33, 2
	s_waitcnt lgkmcnt(0)
	v_mul_hi_u32 v0, s9, v4
	v_add_u32_e32 v0, v4, v0
	v_lshrrev_b32_e32 v1, s10, v0
	v_mul_lo_u32 v0, v1, s8
	v_sub_u32_e32 v0, v4, v0
	v_mul_lo_u32 v0, v0, s2
	s_cbranch_scc1 .LBB69_82
; %bb.81:
	s_load_dwordx4 s[8:11], s[4:5], 0x10
	s_load_dword s2, s[4:5], 0xc8
	s_waitcnt lgkmcnt(0)
	v_mul_hi_u32 v2, s9, v1
	v_add_u32_e32 v2, v1, v2
	v_lshrrev_b32_e32 v2, s10, v2
	v_mul_lo_u32 v2, v2, s8
	v_sub_u32_e32 v1, v1, v2
	v_mad_u64_u32 v[0:1], s[2:3], v1, s2, v[0:1]
.LBB69_82:
	s_and_b64 vcc, exec, s[0:1]
	v_add_u32_e32 v1, 0x80, v4
	s_cbranch_vccnz .LBB69_88
; %bb.83:
	s_mov_b32 s28, 0
	s_cmp_eq_u32 s33, 0
	v_mov_b32_e32 v2, 0
	s_cbranch_scc1 .LBB69_92
; %bb.84:
	s_min_u32 s29, s48, 15
	s_add_i32 s29, s29, 1
	s_cmp_eq_u32 s48, 2
	v_mov_b32_e32 v2, 0
	s_cbranch_scc1 .LBB69_89
; %bb.85:
	s_add_u32 s2, s4, 0xc4
	s_addc_u32 s3, s5, 0
	s_and_b32 s28, s29, 28
	s_mov_b32 s30, 0
	v_mov_b32_e32 v2, 0
	s_mov_b64 s[6:7], s[4:5]
	v_mov_b32_e32 v5, v1
.LBB69_86:                              ; =>This Inner Loop Header: Depth=1
	s_load_dwordx8 s[8:15], s[6:7], 0x4
	s_load_dwordx4 s[16:19], s[6:7], 0x24
	s_load_dwordx4 s[20:23], s[2:3], 0x0
	s_add_u32 s6, s6, 48
	s_addc_u32 s7, s7, 0
	s_waitcnt lgkmcnt(0)
	v_mul_hi_u32 v3, s9, v5
	v_add_u32_e32 v3, v5, v3
	v_lshrrev_b32_e32 v3, s10, v3
	v_mul_lo_u32 v6, v3, s8
	v_mul_hi_u32 v7, s12, v3
	v_sub_u32_e32 v5, v5, v6
	v_add_u32_e32 v6, v3, v7
	v_lshrrev_b32_e32 v6, s13, v6
	v_mul_lo_u32 v7, v6, s11
	v_mul_hi_u32 v8, s15, v6
	v_sub_u32_e32 v3, v3, v7
	v_add_u32_e32 v7, v6, v8
	v_mul_lo_u32 v5, v5, s20
	v_mul_lo_u32 v3, v3, s21
	v_lshrrev_b32_e32 v7, s16, v7
	v_add3_u32 v2, v5, v2, v3
	v_mul_hi_u32 v5, s18, v7
	v_add_u32_e32 v5, v7, v5
	v_mul_lo_u32 v3, v7, s14
	v_lshrrev_b32_e32 v5, s19, v5
	s_add_i32 s30, s30, 4
	v_sub_u32_e32 v3, v6, v3
	v_mul_lo_u32 v6, v5, s17
	s_add_u32 s2, s2, 16
	v_sub_u32_e32 v6, v7, v6
	s_addc_u32 s3, s3, 0
	v_mul_lo_u32 v3, v3, s22
	v_mul_lo_u32 v6, v6, s23
	s_cmp_lg_u32 s28, s30
	v_add3_u32 v2, v3, v2, v6
	s_cbranch_scc1 .LBB69_86
; %bb.87:
	s_and_b32 s8, s29, 3
	s_cmp_eq_u32 s8, 0
	s_cbranch_scc0 .LBB69_90
	s_branch .LBB69_92
.LBB69_88:
                                        ; implicit-def: $vgpr2
	s_branch .LBB69_93
.LBB69_89:
	v_mov_b32_e32 v5, v1
	s_and_b32 s8, s29, 3
	s_cmp_eq_u32 s8, 0
	s_cbranch_scc1 .LBB69_92
.LBB69_90:
	s_lshl_b32 s2, s28, 2
	s_add_u32 s2, s2, s4
	s_addc_u32 s3, 0, s5
	s_add_u32 s2, s2, 0xc4
	s_addc_u32 s3, s3, 0
	s_mul_i32 s6, s28, 12
	s_add_u32 s6, s4, s6
	s_addc_u32 s7, 0, s5
.LBB69_91:                              ; =>This Inner Loop Header: Depth=1
	s_load_dwordx2 s[10:11], s[6:7], 0x4
	s_load_dword s9, s[6:7], 0xc
	s_load_dword s12, s[2:3], 0x0
	s_add_u32 s6, s6, 12
	s_addc_u32 s7, s7, 0
	s_waitcnt lgkmcnt(0)
	v_mul_hi_u32 v3, s11, v5
	v_add_u32_e32 v3, v5, v3
	v_lshrrev_b32_e32 v3, s9, v3
	s_add_u32 s2, s2, 4
	v_mul_lo_u32 v6, v3, s10
	s_addc_u32 s3, s3, 0
	s_add_i32 s8, s8, -1
	v_sub_u32_e32 v6, v5, v6
	s_cmp_lg_u32 s8, 0
	v_mov_b32_e32 v5, v3
	v_mad_u64_u32 v[2:3], s[10:11], v6, s12, v[2:3]
	s_cbranch_scc1 .LBB69_91
.LBB69_92:
	s_cbranch_execnz .LBB69_95
.LBB69_93:
	s_load_dwordx4 s[8:11], s[4:5], 0x4
	s_load_dword s2, s[4:5], 0xc4
	s_cmp_lt_u32 s33, 2
	s_waitcnt lgkmcnt(0)
	v_mul_hi_u32 v2, s9, v1
	v_add_u32_e32 v2, v1, v2
	v_lshrrev_b32_e32 v3, s10, v2
	v_mul_lo_u32 v2, v3, s8
	v_sub_u32_e32 v1, v1, v2
	v_mul_lo_u32 v2, v1, s2
	s_cbranch_scc1 .LBB69_95
; %bb.94:
	s_load_dwordx4 s[8:11], s[4:5], 0x10
	s_load_dword s2, s[4:5], 0xc8
	s_waitcnt lgkmcnt(0)
	v_mul_hi_u32 v1, s9, v3
	v_add_u32_e32 v1, v3, v1
	v_lshrrev_b32_e32 v1, s10, v1
	v_mul_lo_u32 v1, v1, s8
	v_sub_u32_e32 v1, v3, v1
	v_mad_u64_u32 v[2:3], s[2:3], v1, s2, v[2:3]
.LBB69_95:
	s_and_b64 vcc, exec, s[0:1]
	v_add_u32_e32 v1, 0x100, v4
	s_cbranch_vccnz .LBB69_101
; %bb.96:
	s_mov_b32 s28, 0
	s_cmp_eq_u32 s33, 0
	v_mov_b32_e32 v4, 0
	s_cbranch_scc1 .LBB69_105
; %bb.97:
	s_min_u32 s29, s48, 15
	s_add_i32 s29, s29, 1
	s_cmp_eq_u32 s48, 2
	v_mov_b32_e32 v4, 0
	s_cbranch_scc1 .LBB69_102
; %bb.98:
	s_add_u32 s2, s4, 0xc4
	s_addc_u32 s3, s5, 0
	s_and_b32 s28, s29, 28
	s_mov_b32 s30, 0
	v_mov_b32_e32 v4, 0
	s_mov_b64 s[6:7], s[4:5]
	v_mov_b32_e32 v3, v1
.LBB69_99:                              ; =>This Inner Loop Header: Depth=1
	s_load_dwordx8 s[8:15], s[6:7], 0x4
	s_load_dwordx4 s[16:19], s[6:7], 0x24
	s_load_dwordx4 s[20:23], s[2:3], 0x0
	s_add_u32 s6, s6, 48
	s_addc_u32 s7, s7, 0
	s_waitcnt lgkmcnt(0)
	v_mul_hi_u32 v5, s9, v3
	v_add_u32_e32 v5, v3, v5
	v_lshrrev_b32_e32 v5, s10, v5
	v_mul_lo_u32 v6, v5, s8
	v_mul_hi_u32 v7, s12, v5
	v_sub_u32_e32 v3, v3, v6
	v_add_u32_e32 v6, v5, v7
	v_lshrrev_b32_e32 v6, s13, v6
	v_mul_lo_u32 v7, v6, s11
	v_mul_hi_u32 v8, s15, v6
	v_sub_u32_e32 v5, v5, v7
	v_add_u32_e32 v7, v6, v8
	v_mul_lo_u32 v3, v3, s20
	v_mul_lo_u32 v5, v5, s21
	v_lshrrev_b32_e32 v7, s16, v7
	v_add3_u32 v4, v3, v4, v5
	v_mul_lo_u32 v3, v7, s14
	v_mul_hi_u32 v5, s18, v7
	v_sub_u32_e32 v3, v6, v3
	v_add_u32_e32 v5, v7, v5
	v_mul_lo_u32 v6, v3, s22
	v_lshrrev_b32_e32 v3, s19, v5
	s_add_i32 s30, s30, 4
	v_mul_lo_u32 v5, v3, s17
	s_add_u32 s2, s2, 16
	v_sub_u32_e32 v5, v7, v5
	s_addc_u32 s3, s3, 0
	v_mul_lo_u32 v5, v5, s23
	s_cmp_lg_u32 s28, s30
	v_add3_u32 v4, v6, v4, v5
	s_cbranch_scc1 .LBB69_99
; %bb.100:
	s_and_b32 s8, s29, 3
	s_cmp_eq_u32 s8, 0
	s_cbranch_scc0 .LBB69_103
	s_branch .LBB69_105
.LBB69_101:
                                        ; implicit-def: $vgpr4
	s_branch .LBB69_106
.LBB69_102:
	v_mov_b32_e32 v3, v1
	s_and_b32 s8, s29, 3
	s_cmp_eq_u32 s8, 0
	s_cbranch_scc1 .LBB69_105
.LBB69_103:
	s_lshl_b32 s2, s28, 2
	s_add_u32 s2, s2, s4
	s_addc_u32 s3, 0, s5
	s_add_u32 s2, s2, 0xc4
	s_addc_u32 s3, s3, 0
	s_mul_i32 s6, s28, 12
	s_add_u32 s6, s4, s6
	s_addc_u32 s7, 0, s5
.LBB69_104:                             ; =>This Inner Loop Header: Depth=1
	s_load_dwordx2 s[10:11], s[6:7], 0x4
	s_load_dword s9, s[6:7], 0xc
	s_load_dword s12, s[2:3], 0x0
	s_add_u32 s6, s6, 12
	s_addc_u32 s7, s7, 0
	s_waitcnt lgkmcnt(0)
	v_mul_hi_u32 v5, s11, v3
	v_add_u32_e32 v5, v3, v5
	v_lshrrev_b32_e32 v5, s9, v5
	s_add_u32 s2, s2, 4
	v_mul_lo_u32 v6, v5, s10
	s_addc_u32 s3, s3, 0
	s_add_i32 s8, s8, -1
	v_sub_u32_e32 v6, v3, v6
	s_cmp_lg_u32 s8, 0
	v_mov_b32_e32 v3, v5
	v_mad_u64_u32 v[4:5], s[10:11], v6, s12, v[4:5]
	s_cbranch_scc1 .LBB69_104
.LBB69_105:
	s_cbranch_execnz .LBB69_108
.LBB69_106:
	s_load_dwordx4 s[8:11], s[4:5], 0x4
	s_load_dword s2, s[4:5], 0xc4
	s_cmp_lt_u32 s33, 2
	s_waitcnt lgkmcnt(0)
	v_mul_hi_u32 v3, s9, v1
	v_add_u32_e32 v3, v1, v3
	v_lshrrev_b32_e32 v3, s10, v3
	v_mul_lo_u32 v4, v3, s8
	v_sub_u32_e32 v1, v1, v4
	v_mul_lo_u32 v4, v1, s2
	s_cbranch_scc1 .LBB69_108
; %bb.107:
	s_load_dwordx4 s[8:11], s[4:5], 0x10
	s_load_dword s2, s[4:5], 0xc8
	s_waitcnt lgkmcnt(0)
	v_mul_hi_u32 v1, s9, v3
	v_add_u32_e32 v1, v3, v1
	v_lshrrev_b32_e32 v1, s10, v1
	v_mul_lo_u32 v1, v1, s8
	v_sub_u32_e32 v1, v3, v1
	v_mad_u64_u32 v[4:5], s[2:3], v1, s2, v[4:5]
.LBB69_108:
	s_and_b64 vcc, exec, s[0:1]
	s_cbranch_vccnz .LBB69_114
; %bb.109:
	s_mov_b32 s22, 0
	s_cmp_eq_u32 s33, 0
	v_mov_b32_e32 v6, 0
	s_cbranch_scc1 .LBB69_118
; %bb.110:
	s_min_u32 s23, s48, 15
	s_add_i32 s23, s23, 1
	s_cmp_eq_u32 s48, 2
	v_mov_b32_e32 v6, 0
	s_cbranch_scc1 .LBB69_115
; %bb.111:
	s_add_u32 s6, s4, 0xc4
	s_addc_u32 s7, s5, 0
	s_and_b32 s22, s23, 28
	s_mov_b32 s28, 0
	v_mov_b32_e32 v6, 0
	s_mov_b64 s[20:21], s[4:5]
	v_mov_b32_e32 v1, v10
.LBB69_112:                             ; =>This Inner Loop Header: Depth=1
	s_load_dwordx8 s[8:15], s[20:21], 0x4
	s_load_dwordx4 s[0:3], s[20:21], 0x24
	s_load_dwordx4 s[16:19], s[6:7], 0x0
	s_add_u32 s20, s20, 48
	s_addc_u32 s21, s21, 0
	s_waitcnt lgkmcnt(0)
	v_mul_hi_u32 v3, s9, v1
	v_add_u32_e32 v3, v1, v3
	v_lshrrev_b32_e32 v3, s10, v3
	v_mul_lo_u32 v5, v3, s8
	v_mul_hi_u32 v7, s12, v3
	v_sub_u32_e32 v1, v1, v5
	v_add_u32_e32 v5, v3, v7
	v_lshrrev_b32_e32 v5, s13, v5
	v_mul_lo_u32 v7, v5, s11
	v_mul_hi_u32 v8, s15, v5
	v_sub_u32_e32 v3, v3, v7
	v_add_u32_e32 v7, v5, v8
	v_mul_lo_u32 v1, v1, s16
	v_mul_lo_u32 v3, v3, s17
	v_lshrrev_b32_e32 v7, s0, v7
	v_add3_u32 v3, v1, v6, v3
	v_mul_lo_u32 v1, v7, s14
	v_mul_hi_u32 v6, s2, v7
	v_sub_u32_e32 v1, v5, v1
	v_add_u32_e32 v5, v7, v6
	v_mul_lo_u32 v6, v1, s18
	v_lshrrev_b32_e32 v1, s3, v5
	s_add_i32 s28, s28, 4
	v_mul_lo_u32 v5, v1, s1
	s_add_u32 s6, s6, 16
	v_sub_u32_e32 v5, v7, v5
	s_addc_u32 s7, s7, 0
	v_mul_lo_u32 v5, v5, s19
	s_cmp_lg_u32 s22, s28
	v_add3_u32 v6, v6, v3, v5
	s_cbranch_scc1 .LBB69_112
; %bb.113:
	s_and_b32 s6, s23, 3
	s_cmp_eq_u32 s6, 0
	s_cbranch_scc0 .LBB69_116
	s_branch .LBB69_118
.LBB69_114:
                                        ; implicit-def: $vgpr6
	s_branch .LBB69_119
.LBB69_115:
	v_mov_b32_e32 v1, v10
	s_and_b32 s6, s23, 3
	s_cmp_eq_u32 s6, 0
	s_cbranch_scc1 .LBB69_118
.LBB69_116:
	s_lshl_b32 s0, s22, 2
	s_add_u32 s0, s0, s4
	s_addc_u32 s1, 0, s5
	s_add_u32 s0, s0, 0xc4
	s_addc_u32 s1, s1, 0
	s_mul_i32 s2, s22, 12
	s_add_u32 s2, s4, s2
	s_addc_u32 s3, 0, s5
.LBB69_117:                             ; =>This Inner Loop Header: Depth=1
	s_load_dwordx2 s[8:9], s[2:3], 0x4
	s_load_dword s7, s[2:3], 0xc
	s_load_dword s10, s[0:1], 0x0
	s_add_u32 s2, s2, 12
	s_addc_u32 s3, s3, 0
	s_waitcnt lgkmcnt(0)
	v_mul_hi_u32 v3, s9, v1
	v_add_u32_e32 v3, v1, v3
	v_lshrrev_b32_e32 v3, s7, v3
	s_add_u32 s0, s0, 4
	v_mul_lo_u32 v5, v3, s8
	s_addc_u32 s1, s1, 0
	s_add_i32 s6, s6, -1
	v_sub_u32_e32 v5, v1, v5
	s_cmp_lg_u32 s6, 0
	v_mov_b32_e32 v1, v3
	v_mad_u64_u32 v[6:7], s[8:9], v5, s10, v[6:7]
	s_cbranch_scc1 .LBB69_117
.LBB69_118:
	s_cbranch_execnz .LBB69_121
.LBB69_119:
	s_load_dwordx4 s[0:3], s[4:5], 0x4
	s_waitcnt lgkmcnt(0)
	s_load_dword s3, s[4:5], 0xc4
	s_cmp_lt_u32 s33, 2
	v_mul_hi_u32 v1, s1, v10
	v_add_u32_e32 v1, v10, v1
	v_lshrrev_b32_e32 v1, s2, v1
	v_mul_lo_u32 v3, v1, s0
	v_sub_u32_e32 v3, v10, v3
	s_waitcnt lgkmcnt(0)
	v_mul_lo_u32 v6, v3, s3
	s_cbranch_scc1 .LBB69_121
; %bb.120:
	s_load_dwordx4 s[0:3], s[4:5], 0x10
	s_waitcnt lgkmcnt(0)
	s_load_dword s3, s[4:5], 0xc8
	v_mul_hi_u32 v3, s1, v1
	v_add_u32_e32 v3, v1, v3
	v_lshrrev_b32_e32 v3, s2, v3
	v_mul_lo_u32 v3, v3, s0
	v_sub_u32_e32 v1, v1, v3
	s_waitcnt lgkmcnt(0)
	v_mad_u64_u32 v[6:7], s[0:1], v1, s3, v[6:7]
.LBB69_121:
	s_load_dwordx4 s[0:3], s[4:5], 0x108
	s_or_b64 s[24:25], s[24:25], exec
	s_waitcnt lgkmcnt(0)
	v_pk_mov_b32 v[10:11], s[2:3], s[2:3] op_sel:[0,1]
	v_mov_b32_e32 v1, s1
	v_add_co_u32_e32 v8, vcc, s0, v6
	global_store_dwordx2 v0, v[10:11], s[0:1]
	global_store_dwordx2 v2, v[10:11], s[0:1]
	global_store_dwordx2 v4, v[10:11], s[0:1]
	v_mov_b32_e32 v0, s2
	v_addc_co_u32_e32 v9, vcc, 0, v1, vcc
	global_store_dword v6, v0, s[0:1]
	v_mov_b32_e32 v0, s3
	s_or_b64 exec, exec, s[26:27]
	s_and_saveexec_b64 s[0:1], s[24:25]
	s_cbranch_execz .LBB69_3
.LBB69_122:
	global_store_dword v[8:9], v0, off offset:4
	s_endpgm
	.section	.rodata,"a",@progbits
	.p2align	6, 0x0
	.amdhsa_kernel _ZN2at6native32elementwise_kernel_manual_unrollILi128ELi4EZNS0_22gpu_kernel_impl_nocastINS0_11FillFunctorIN3c107complexIfEEEEEEvRNS_18TensorIteratorBaseERKT_EUlibE_EEviT1_
		.amdhsa_group_segment_fixed_size 0
		.amdhsa_private_segment_fixed_size 0
		.amdhsa_kernarg_size 288
		.amdhsa_user_sgpr_count 6
		.amdhsa_user_sgpr_private_segment_buffer 1
		.amdhsa_user_sgpr_dispatch_ptr 0
		.amdhsa_user_sgpr_queue_ptr 0
		.amdhsa_user_sgpr_kernarg_segment_ptr 1
		.amdhsa_user_sgpr_dispatch_id 0
		.amdhsa_user_sgpr_flat_scratch_init 0
		.amdhsa_user_sgpr_kernarg_preload_length 0
		.amdhsa_user_sgpr_kernarg_preload_offset 0
		.amdhsa_user_sgpr_private_segment_size 0
		.amdhsa_uses_dynamic_stack 0
		.amdhsa_system_sgpr_private_segment_wavefront_offset 0
		.amdhsa_system_sgpr_workgroup_id_x 1
		.amdhsa_system_sgpr_workgroup_id_y 0
		.amdhsa_system_sgpr_workgroup_id_z 0
		.amdhsa_system_sgpr_workgroup_info 0
		.amdhsa_system_vgpr_workitem_id 0
		.amdhsa_next_free_vgpr 12
		.amdhsa_next_free_sgpr 54
		.amdhsa_accum_offset 12
		.amdhsa_reserve_vcc 1
		.amdhsa_reserve_flat_scratch 0
		.amdhsa_float_round_mode_32 0
		.amdhsa_float_round_mode_16_64 0
		.amdhsa_float_denorm_mode_32 3
		.amdhsa_float_denorm_mode_16_64 3
		.amdhsa_dx10_clamp 1
		.amdhsa_ieee_mode 1
		.amdhsa_fp16_overflow 0
		.amdhsa_tg_split 0
		.amdhsa_exception_fp_ieee_invalid_op 0
		.amdhsa_exception_fp_denorm_src 0
		.amdhsa_exception_fp_ieee_div_zero 0
		.amdhsa_exception_fp_ieee_overflow 0
		.amdhsa_exception_fp_ieee_underflow 0
		.amdhsa_exception_fp_ieee_inexact 0
		.amdhsa_exception_int_div_zero 0
	.end_amdhsa_kernel
	.section	.text._ZN2at6native32elementwise_kernel_manual_unrollILi128ELi4EZNS0_22gpu_kernel_impl_nocastINS0_11FillFunctorIN3c107complexIfEEEEEEvRNS_18TensorIteratorBaseERKT_EUlibE_EEviT1_,"axG",@progbits,_ZN2at6native32elementwise_kernel_manual_unrollILi128ELi4EZNS0_22gpu_kernel_impl_nocastINS0_11FillFunctorIN3c107complexIfEEEEEEvRNS_18TensorIteratorBaseERKT_EUlibE_EEviT1_,comdat
.Lfunc_end69:
	.size	_ZN2at6native32elementwise_kernel_manual_unrollILi128ELi4EZNS0_22gpu_kernel_impl_nocastINS0_11FillFunctorIN3c107complexIfEEEEEEvRNS_18TensorIteratorBaseERKT_EUlibE_EEviT1_, .Lfunc_end69-_ZN2at6native32elementwise_kernel_manual_unrollILi128ELi4EZNS0_22gpu_kernel_impl_nocastINS0_11FillFunctorIN3c107complexIfEEEEEEvRNS_18TensorIteratorBaseERKT_EUlibE_EEviT1_
                                        ; -- End function
	.section	.AMDGPU.csdata,"",@progbits
; Kernel info:
; codeLenInByte = 4996
; NumSgprs: 58
; NumVgprs: 12
; NumAgprs: 0
; TotalNumVgprs: 12
; ScratchSize: 0
; MemoryBound: 0
; FloatMode: 240
; IeeeMode: 1
; LDSByteSize: 0 bytes/workgroup (compile time only)
; SGPRBlocks: 7
; VGPRBlocks: 1
; NumSGPRsForWavesPerEU: 58
; NumVGPRsForWavesPerEU: 12
; AccumOffset: 12
; Occupancy: 8
; WaveLimiterHint : 1
; COMPUTE_PGM_RSRC2:SCRATCH_EN: 0
; COMPUTE_PGM_RSRC2:USER_SGPR: 6
; COMPUTE_PGM_RSRC2:TRAP_HANDLER: 0
; COMPUTE_PGM_RSRC2:TGID_X_EN: 1
; COMPUTE_PGM_RSRC2:TGID_Y_EN: 0
; COMPUTE_PGM_RSRC2:TGID_Z_EN: 0
; COMPUTE_PGM_RSRC2:TIDIG_COMP_CNT: 0
; COMPUTE_PGM_RSRC3_GFX90A:ACCUM_OFFSET: 2
; COMPUTE_PGM_RSRC3_GFX90A:TG_SPLIT: 0
	.section	.text._ZN2at6native32elementwise_kernel_manual_unrollILi128ELi4EZNS0_15gpu_kernel_implINS0_11FillFunctorIN3c107complexIfEEEEEEvRNS_18TensorIteratorBaseERKT_EUlibE_EEviT1_,"axG",@progbits,_ZN2at6native32elementwise_kernel_manual_unrollILi128ELi4EZNS0_15gpu_kernel_implINS0_11FillFunctorIN3c107complexIfEEEEEEvRNS_18TensorIteratorBaseERKT_EUlibE_EEviT1_,comdat
	.protected	_ZN2at6native32elementwise_kernel_manual_unrollILi128ELi4EZNS0_15gpu_kernel_implINS0_11FillFunctorIN3c107complexIfEEEEEEvRNS_18TensorIteratorBaseERKT_EUlibE_EEviT1_ ; -- Begin function _ZN2at6native32elementwise_kernel_manual_unrollILi128ELi4EZNS0_15gpu_kernel_implINS0_11FillFunctorIN3c107complexIfEEEEEEvRNS_18TensorIteratorBaseERKT_EUlibE_EEviT1_
	.globl	_ZN2at6native32elementwise_kernel_manual_unrollILi128ELi4EZNS0_15gpu_kernel_implINS0_11FillFunctorIN3c107complexIfEEEEEEvRNS_18TensorIteratorBaseERKT_EUlibE_EEviT1_
	.p2align	8
	.type	_ZN2at6native32elementwise_kernel_manual_unrollILi128ELi4EZNS0_15gpu_kernel_implINS0_11FillFunctorIN3c107complexIfEEEEEEvRNS_18TensorIteratorBaseERKT_EUlibE_EEviT1_,@function
_ZN2at6native32elementwise_kernel_manual_unrollILi128ELi4EZNS0_15gpu_kernel_implINS0_11FillFunctorIN3c107complexIfEEEEEEvRNS_18TensorIteratorBaseERKT_EUlibE_EEviT1_: ; @_ZN2at6native32elementwise_kernel_manual_unrollILi128ELi4EZNS0_15gpu_kernel_implINS0_11FillFunctorIN3c107complexIfEEEEEEvRNS_18TensorIteratorBaseERKT_EUlibE_EEviT1_
; %bb.0:
	v_lshl_or_b32 v16, s6, 9, v0
	s_load_dword s48, s[4:5], 0x0
	s_load_dwordx2 s[8:9], s[4:5], 0x8
	s_load_dword s52, s[4:5], 0x10
	s_load_dwordx2 s[2:3], s[4:5], 0x18
	s_load_dword s33, s[4:5], 0x20
	v_or_b32_e32 v0, 0x180, v16
	s_waitcnt lgkmcnt(0)
	v_cmp_le_i32_e32 vcc, s48, v0
	s_mov_b64 s[6:7], 0
	s_mov_b64 s[0:1], 0
	s_and_saveexec_b64 s[4:5], vcc
	s_xor_b64 s[4:5], exec, s[4:5]
	s_cbranch_execz .LBB70_404
; %bb.1:
	s_lshr_b32 s14, s2, 23
	s_bfe_u32 s12, s2, 0x80017
	s_cmpk_eq_i32 s12, 0xff
	s_cselect_b64 s[0:1], -1, 0
	s_bitcmp1_b32 s2, 22
	s_cselect_b64 s[10:11], -1, 0
	s_and_b32 s13, s2, 0x3fffff
	s_or_b32 s12, s12, s13
	s_cmp_lg_u32 s12, 0
	v_trunc_f32_e32 v4, s2
	s_cselect_b64 s[12:13], -1, 0
	v_mul_f32_e32 v0, 0x2f800000, v4
	s_and_b64 s[10:11], s[10:11], s[12:13]
	s_and_b32 s30, s2, 0x7fffffff
	v_floor_f32_e32 v0, v0
	v_mov_b32_e32 v1, v4
	s_cmp_lt_u32 s30, 0x43800000
	v_cvt_u32_f32_e32 v7, v0
	v_fmac_f32_e32 v1, 0xcf800000, v0
	v_cndmask_b32_e64 v0, 0, 1, s[10:11]
	s_cselect_b64 s[26:27], -1, 0
	s_cmp_gt_u32 s30, 0x3bffffff
	v_add_u32_e32 v15, s14, v0
	s_cselect_b64 s[24:25], -1, 0
	s_bfe_u32 s10, s2, 0x10014
	v_mov_b32_e32 v0, 0x46000000
	s_add_i32 s12, s2, s10
	v_add_f32_e64 v0, |s2|, v0
	s_add_i32 s10, s12, 0x487ffff
	v_readfirstlane_b32 s64, v0
	s_lshr_b32 s63, s10, 20
	s_and_b32 s10, s64, 0xff
	s_cmp_lg_u32 s10, 0
	s_cselect_b64 s[28:29], -1, 0
	s_lshr_b32 s10, s2, 24
	s_and_b32 s53, s10, 0x80
	s_cmp_gt_u32 s30, 0x477fffff
	s_cselect_b64 s[10:11], -1, 0
	s_cmp_lt_u32 s30, 0x47800000
	s_cselect_b64 s[20:21], -1, 0
	s_cmp_gt_u32 s30, 0x37ffffff
	s_cselect_b64 s[18:19], -1, 0
	s_bfe_u32 s13, s2, 0x10015
	v_mov_b32_e32 v0, 0x42800000
	s_add_i32 s31, s2, s13
	v_add_f32_e64 v0, |s2|, v0
	s_add_i32 s13, s31, 0x88fffff
	v_readfirstlane_b32 s62, v0
	s_lshr_b32 s60, s13, 21
	s_and_b32 s13, s62, 0xff
	s_cmp_lg_u32 s13, 0
	s_cselect_b64 s[22:23], -1, 0
	s_cmp_gt_u32 s30, 0x43efffff
	s_cselect_b64 s[14:15], -1, 0
	s_cmp_lt_u32 s30, 0x3c800000
	s_cselect_b64 s[16:17], -1, 0
	s_add_i32 s12, s12, 0x407ffff
	s_lshr_b32 s13, s12, 20
	s_and_b32 s12, s12, 0xff00000
	s_cmp_lg_u32 s12, 0x7f00000
	s_cselect_b32 s58, s13, 0x7e
	s_cmp_lt_u32 s30, 0x38800000
	s_cselect_b64 s[12:13], -1, 0
	s_add_i32 s31, s31, 0x80fffff
	s_lshr_b32 s55, s31, 21
	s_cmp_gt_u32 s30, 0x7f800000
	s_movk_i32 s30, 0x7f
	s_cselect_b32 s61, s30, 0x7e
	s_movk_i32 s30, 0x7c
	s_cselect_b32 s57, 0x7f, s30
	s_bfe_u32 s30, s2, 0x10010
	s_add_i32 s30, s2, s30
	s_addk_i32 s30, 0x7fff
	s_lshr_b32 s36, s30, 16
	v_cmp_o_f32_e64 s[30:31], s2, s2
	s_mov_b32 s34, 0x2f800000
	s_and_b64 s[30:31], s[30:31], exec
	s_cselect_b32 s54, s36, 0x7fc0
	s_or_b32 s30, s2, s3
	v_mul_f32_e64 v8, |v4|, s34
	s_mov_b32 s35, 0xcf800000
	s_bitset0_b32 s30, 31
	v_floor_f32_e32 v8, v8
	s_cmp_lg_u32 s30, 0
	v_cvt_f16_f32_e32 v11, s2
	v_cvt_f16_f32_sdwa v5, s3 dst_sel:WORD_1 dst_unused:UNUSED_PAD src0_sel:DWORD
	v_fma_f32 v9, v8, s35, |v4|
	s_cselect_b64 s[30:31], -1, 0
	v_cvt_u32_f32_e32 v9, v9
	v_cndmask_b32_e64 v13, 0, 1, s[30:31]
	s_bfe_u32 s30, s3, 0x10010
	v_cvt_u32_f32_e32 v8, v8
	s_add_i32 s30, s3, s30
	v_mov_b32_e32 v0, 0x46800000
	s_addk_i32 s30, 0x7fff
	v_or_b32_e32 v12, v5, v11
	v_ashrrev_i32_e32 v5, 31, v4
	v_cvt_u32_f32_e32 v6, v1
	v_cvt_u32_f32_e32 v14, s2
	v_add_f32_e64 v0, |s2|, v0
	s_and_b32 s36, s30, 0xffff0000
	v_cmp_o_f32_e64 s[30:31], s3, s3
	v_xor_b32_e32 v4, v9, v5
	v_cvt_i32_f32_e32 v10, s2
	v_readfirstlane_b32 s59, v0
	v_mov_b32_e32 v0, 0x43000000
	s_and_b64 s[30:31], s[30:31], exec
	v_xor_b32_e32 v8, v8, v5
	v_sub_co_u32_e32 v4, vcc, v4, v5
	v_add_f32_e64 v0, |s2|, v0
	s_cselect_b32 s30, s36, 0x7fc00000
	v_subb_co_u32_e32 v5, vcc, v8, v5, vcc
	v_readfirstlane_b32 s56, v0
	v_cvt_f64_f32_e32 v[0:1], s2
	v_cvt_f64_f32_e32 v[2:3], s3
	s_or_b32 s65, s30, s54
	v_cmp_gt_i32_e32 vcc, s48, v16
	s_mov_b64 s[36:37], -1
	s_mov_b64 s[38:39], 0
	s_mov_b64 s[30:31], 0
	s_and_saveexec_b64 s[34:35], vcc
	s_cbranch_execz .LBB70_100
; %bb.2:
	v_mul_lo_u32 v8, v16, s52
	v_ashrrev_i32_e32 v9, 31, v8
	v_mov_b32_e32 v17, s9
	v_add_co_u32_e32 v8, vcc, s8, v8
	v_addc_co_u32_e32 v9, vcc, v17, v9, vcc
	v_mov_b32_e32 v17, 11
	v_cmp_lt_i16_sdwa s[30:31], s33, v17 src0_sel:BYTE_0 src1_sel:DWORD
	s_and_b64 vcc, exec, s[30:31]
	s_cbranch_vccnz .LBB70_9
; %bb.3:
	v_mov_b32_e32 v17, 25
	v_cmp_gt_i16_sdwa s[30:31], s33, v17 src0_sel:BYTE_0 src1_sel:DWORD
	s_and_b64 vcc, exec, s[30:31]
	s_cbranch_vccz .LBB70_12
; %bb.4:
	v_mov_b32_e32 v17, 28
	v_cmp_gt_i16_sdwa s[30:31], s33, v17 src0_sel:BYTE_0 src1_sel:DWORD
	s_and_b64 vcc, exec, s[30:31]
	s_cbranch_vccz .LBB70_13
	;; [unrolled: 5-line block ×4, first 2 shown]
; %bb.7:
	v_mov_b32_e32 v17, 46
	v_cmp_eq_u16_sdwa s[36:37], s33, v17 src0_sel:BYTE_0 src1_sel:DWORD
	s_mov_b64 s[40:41], 0
	s_mov_b64 s[30:31], -1
	s_and_b64 vcc, exec, s[36:37]
	s_mov_b64 s[36:37], 0
	s_cbranch_vccz .LBB70_16
; %bb.8:
	v_mov_b32_e32 v17, s65
	global_store_dword v[8:9], v17, off
	s_mov_b64 s[36:37], -1
	s_mov_b64 s[30:31], 0
	s_branch .LBB70_16
.LBB70_9:
	s_mov_b64 s[30:31], 0
	s_mov_b64 s[36:37], 0
	s_cbranch_execnz .LBB70_60
.LBB70_10:
	s_andn2_b64 vcc, exec, s[36:37]
	s_cbranch_vccnz .LBB70_98
.LBB70_11:
	v_add_u32_e32 v16, 0x80, v16
	s_mov_b64 s[36:37], -1
	s_branch .LBB70_99
.LBB70_12:
	s_mov_b64 s[30:31], 0
	s_mov_b64 s[36:37], 0
	s_cbranch_execnz .LBB70_38
	s_branch .LBB70_59
.LBB70_13:
	s_mov_b64 s[40:41], -1
	s_mov_b64 s[30:31], 0
	s_mov_b64 s[36:37], 0
	s_branch .LBB70_24
.LBB70_14:
	s_mov_b64 s[40:41], -1
	s_mov_b64 s[30:31], 0
	s_mov_b64 s[36:37], 0
	s_branch .LBB70_20
.LBB70_15:
	s_mov_b64 s[40:41], -1
	s_mov_b64 s[30:31], 0
	s_mov_b64 s[36:37], 0
.LBB70_16:
	s_and_b64 vcc, exec, s[40:41]
	s_cbranch_vccz .LBB70_19
; %bb.17:
	v_mov_b32_e32 v17, 44
	v_cmp_eq_u16_sdwa s[40:41], s33, v17 src0_sel:BYTE_0 src1_sel:DWORD
	s_mov_b64 s[30:31], -1
	s_and_b64 vcc, exec, s[40:41]
	s_cbranch_vccz .LBB70_19
; %bb.18:
	v_mov_b32_e32 v17, 0xff
	v_cndmask_b32_e64 v17, v15, v17, s[0:1]
	global_store_byte v[8:9], v17, off
	s_mov_b64 s[36:37], -1
	s_mov_b64 s[30:31], 0
.LBB70_19:
	s_mov_b64 s[40:41], 0
.LBB70_20:
	s_and_b64 vcc, exec, s[40:41]
	s_cbranch_vccz .LBB70_23
; %bb.21:
	v_mov_b32_e32 v17, 29
	v_cmp_eq_u16_sdwa s[40:41], s33, v17 src0_sel:BYTE_0 src1_sel:DWORD
	s_mov_b64 s[30:31], -1
	s_and_b64 vcc, exec, s[40:41]
	s_cbranch_vccz .LBB70_23
; %bb.22:
	global_store_dwordx2 v[8:9], v[6:7], off
	s_mov_b64 s[36:37], -1
	s_mov_b64 s[30:31], 0
.LBB70_23:
	s_mov_b64 s[40:41], 0
.LBB70_24:
	s_and_b64 vcc, exec, s[40:41]
	s_cbranch_vccz .LBB70_37
; %bb.25:
	v_mov_b32_e32 v17, 27
	v_cmp_lt_i16_sdwa s[40:41], s33, v17 src0_sel:BYTE_0 src1_sel:DWORD
	s_mov_b64 s[36:37], -1
	s_and_b64 vcc, exec, s[40:41]
	s_cbranch_vccnz .LBB70_31
; %bb.26:
	v_cmp_gt_i16_sdwa s[40:41], s33, v17 src0_sel:BYTE_0 src1_sel:DWORD
	s_and_b64 vcc, exec, s[40:41]
	s_cbranch_vccz .LBB70_28
; %bb.27:
	s_mov_b64 s[36:37], 0
	global_store_dword v[8:9], v14, off
.LBB70_28:
	s_andn2_b64 vcc, exec, s[36:37]
	s_cbranch_vccnz .LBB70_30
; %bb.29:
	global_store_short v[8:9], v14, off
.LBB70_30:
	s_mov_b64 s[36:37], 0
.LBB70_31:
	s_andn2_b64 vcc, exec, s[36:37]
	s_cbranch_vccnz .LBB70_36
; %bb.32:
	s_andn2_b64 vcc, exec, s[26:27]
	s_movk_i32 s36, 0x80
	s_cbranch_vccnz .LBB70_35
; %bb.33:
	s_or_b64 s[36:37], s[24:25], s[28:29]
	s_andn2_b64 vcc, exec, s[36:37]
	s_mov_b32 s36, 0
	s_cbranch_vccnz .LBB70_35
; %bb.34:
	s_and_b64 s[36:37], s[24:25], exec
	s_cselect_b32 s36, s63, s64
	s_or_b32 s36, s36, s53
.LBB70_35:
	v_mov_b32_e32 v17, s36
	global_store_byte v[8:9], v17, off
.LBB70_36:
	s_mov_b64 s[36:37], -1
.LBB70_37:
	s_branch .LBB70_59
.LBB70_38:
	v_mov_b32_e32 v17, 22
	v_cmp_gt_i16_sdwa s[42:43], s33, v17 src0_sel:BYTE_0 src1_sel:DWORD
	s_mov_b64 s[40:41], -1
	s_and_b64 vcc, exec, s[42:43]
	s_cbranch_vccz .LBB70_51
; %bb.39:
	v_mov_b32_e32 v17, 24
	v_cmp_lt_i16_sdwa s[40:41], s33, v17 src0_sel:BYTE_0 src1_sel:DWORD
	s_mov_b64 s[36:37], -1
	s_and_b64 vcc, exec, s[40:41]
	s_cbranch_vccnz .LBB70_48
; %bb.40:
	v_cmp_gt_i16_sdwa s[40:41], s33, v17 src0_sel:BYTE_0 src1_sel:DWORD
	s_and_b64 vcc, exec, s[40:41]
	s_cbranch_vccz .LBB70_45
; %bb.41:
	s_andn2_b64 vcc, exec, s[20:21]
	s_movk_i32 s36, 0x80
	s_cbranch_vccnz .LBB70_44
; %bb.42:
	s_or_b64 s[36:37], s[18:19], s[22:23]
	s_andn2_b64 vcc, exec, s[36:37]
	s_mov_b32 s36, 0
	s_cbranch_vccnz .LBB70_44
; %bb.43:
	s_and_b64 s[36:37], s[18:19], exec
	s_cselect_b32 s36, s60, s62
	s_or_b32 s36, s36, s53
.LBB70_44:
	v_mov_b32_e32 v17, s36
	s_mov_b64 s[36:37], 0
	global_store_byte v[8:9], v17, off
.LBB70_45:
	s_and_b64 vcc, exec, s[36:37]
	s_cbranch_vccz .LBB70_47
; %bb.46:
	s_and_b64 s[36:37], s[16:17], exec
	s_cselect_b32 s40, s59, s58
	s_and_b64 s[36:37], s[14:15], exec
	s_cselect_b32 s36, s61, s40
	s_or_b32 s36, s36, s53
	v_mov_b32_e32 v17, s36
	global_store_byte v[8:9], v17, off
.LBB70_47:
	s_mov_b64 s[36:37], 0
.LBB70_48:
	s_andn2_b64 vcc, exec, s[36:37]
	s_cbranch_vccnz .LBB70_50
; %bb.49:
	s_and_b64 s[36:37], s[12:13], exec
	s_cselect_b32 s40, s56, s55
	s_and_b64 s[36:37], s[10:11], exec
	s_cselect_b32 s36, s57, s40
	s_or_b32 s36, s36, s53
	v_mov_b32_e32 v17, s36
	global_store_byte v[8:9], v17, off
.LBB70_50:
	s_mov_b64 s[40:41], 0
	s_mov_b64 s[36:37], -1
.LBB70_51:
	s_andn2_b64 vcc, exec, s[40:41]
	s_cbranch_vccnz .LBB70_59
; %bb.52:
	v_mov_b32_e32 v17, 14
	v_cmp_gt_i16_sdwa s[42:43], s33, v17 src0_sel:BYTE_0 src1_sel:DWORD
	s_mov_b64 s[40:41], -1
	s_and_b64 vcc, exec, s[42:43]
	s_cbranch_vccz .LBB70_56
; %bb.53:
	v_mov_b32_e32 v17, 15
	v_cmp_eq_u16_sdwa s[40:41], s33, v17 src0_sel:BYTE_0 src1_sel:DWORD
	s_mov_b64 s[30:31], -1
	s_and_b64 vcc, exec, s[40:41]
	s_cbranch_vccz .LBB70_55
; %bb.54:
	v_mov_b32_e32 v17, s54
	global_store_short v[8:9], v17, off
	s_mov_b64 s[36:37], -1
	s_mov_b64 s[30:31], 0
.LBB70_55:
	s_mov_b64 s[40:41], 0
.LBB70_56:
	s_and_b64 vcc, exec, s[40:41]
	s_cbranch_vccz .LBB70_59
; %bb.57:
	v_mov_b32_e32 v17, 11
	v_cmp_eq_u16_sdwa s[40:41], s33, v17 src0_sel:BYTE_0 src1_sel:DWORD
	s_mov_b64 s[30:31], -1
	s_and_b64 vcc, exec, s[40:41]
	s_cbranch_vccz .LBB70_59
; %bb.58:
	s_mov_b64 s[36:37], -1
	s_mov_b64 s[30:31], 0
	global_store_byte v[8:9], v13, off
.LBB70_59:
	s_branch .LBB70_10
.LBB70_60:
	v_mov_b32_e32 v17, 5
	v_cmp_lt_i16_sdwa s[40:41], s33, v17 src0_sel:BYTE_0 src1_sel:DWORD
	s_mov_b64 s[36:37], -1
	s_and_b64 vcc, exec, s[40:41]
	s_cbranch_vccnz .LBB70_81
; %bb.61:
	v_mov_b32_e32 v17, 8
	v_cmp_lt_i16_sdwa s[40:41], s33, v17 src0_sel:BYTE_0 src1_sel:DWORD
	s_and_b64 vcc, exec, s[40:41]
	s_cbranch_vccnz .LBB70_71
; %bb.62:
	v_mov_b32_e32 v17, 9
	v_cmp_lt_i16_sdwa s[40:41], s33, v17 src0_sel:BYTE_0 src1_sel:DWORD
	s_and_b64 vcc, exec, s[40:41]
	s_cbranch_vccnz .LBB70_68
; %bb.63:
	v_cmp_gt_i16_sdwa s[40:41], s33, v17 src0_sel:BYTE_0 src1_sel:DWORD
	s_and_b64 vcc, exec, s[40:41]
	s_cbranch_vccz .LBB70_65
; %bb.64:
	global_store_dwordx4 v[8:9], v[0:3], off
	s_mov_b64 s[36:37], 0
.LBB70_65:
	s_andn2_b64 vcc, exec, s[36:37]
	s_cbranch_vccnz .LBB70_67
; %bb.66:
	v_pk_mov_b32 v[18:19], s[2:3], s[2:3] op_sel:[0,1]
	global_store_dwordx2 v[8:9], v[18:19], off
.LBB70_67:
	s_mov_b64 s[36:37], 0
.LBB70_68:
	s_andn2_b64 vcc, exec, s[36:37]
	s_cbranch_vccnz .LBB70_70
; %bb.69:
	global_store_dword v[8:9], v12, off
.LBB70_70:
	s_mov_b64 s[36:37], 0
.LBB70_71:
	s_andn2_b64 vcc, exec, s[36:37]
	s_cbranch_vccnz .LBB70_80
; %bb.72:
	v_mov_b32_e32 v17, 6
	v_cmp_lt_i16_sdwa s[40:41], s33, v17 src0_sel:BYTE_0 src1_sel:DWORD
	s_mov_b64 s[36:37], -1
	s_and_b64 vcc, exec, s[40:41]
	s_cbranch_vccnz .LBB70_78
; %bb.73:
	v_cmp_gt_i16_sdwa s[40:41], s33, v17 src0_sel:BYTE_0 src1_sel:DWORD
	s_and_b64 vcc, exec, s[40:41]
	s_cbranch_vccz .LBB70_75
; %bb.74:
	global_store_dwordx2 v[8:9], v[0:1], off
	s_mov_b64 s[36:37], 0
.LBB70_75:
	s_andn2_b64 vcc, exec, s[36:37]
	s_cbranch_vccnz .LBB70_77
; %bb.76:
	v_mov_b32_e32 v17, s2
	global_store_dword v[8:9], v17, off
.LBB70_77:
	s_mov_b64 s[36:37], 0
.LBB70_78:
	s_andn2_b64 vcc, exec, s[36:37]
	s_cbranch_vccnz .LBB70_80
; %bb.79:
	global_store_short v[8:9], v11, off
.LBB70_80:
	s_mov_b64 s[36:37], 0
.LBB70_81:
	s_andn2_b64 vcc, exec, s[36:37]
	s_cbranch_vccnz .LBB70_97
; %bb.82:
	v_mov_b32_e32 v17, 2
	v_cmp_lt_i16_sdwa s[40:41], s33, v17 src0_sel:BYTE_0 src1_sel:DWORD
	s_mov_b64 s[36:37], -1
	s_and_b64 vcc, exec, s[40:41]
	s_cbranch_vccnz .LBB70_92
; %bb.83:
	v_mov_b32_e32 v17, 3
	v_cmp_lt_i16_sdwa s[40:41], s33, v17 src0_sel:BYTE_0 src1_sel:DWORD
	s_and_b64 vcc, exec, s[40:41]
	s_cbranch_vccnz .LBB70_89
; %bb.84:
	v_cmp_gt_i16_sdwa s[40:41], s33, v17 src0_sel:BYTE_0 src1_sel:DWORD
	s_and_b64 vcc, exec, s[40:41]
	s_cbranch_vccz .LBB70_86
; %bb.85:
	global_store_dwordx2 v[8:9], v[4:5], off
	s_mov_b64 s[36:37], 0
.LBB70_86:
	s_andn2_b64 vcc, exec, s[36:37]
	s_cbranch_vccnz .LBB70_88
; %bb.87:
	global_store_dword v[8:9], v10, off
.LBB70_88:
	s_mov_b64 s[36:37], 0
.LBB70_89:
	s_andn2_b64 vcc, exec, s[36:37]
	s_cbranch_vccnz .LBB70_91
; %bb.90:
	global_store_short v[8:9], v10, off
.LBB70_91:
	s_mov_b64 s[36:37], 0
.LBB70_92:
	s_andn2_b64 vcc, exec, s[36:37]
	s_cbranch_vccnz .LBB70_97
; %bb.93:
	v_mov_b32_e32 v17, 0
	v_cmp_gt_i16_sdwa s[40:41], s33, v17 src0_sel:BYTE_0 src1_sel:DWORD
	s_mov_b64 s[36:37], -1
	s_and_b64 vcc, exec, s[40:41]
	s_cbranch_vccz .LBB70_95
; %bb.94:
	global_store_byte v[8:9], v10, off
	s_mov_b64 s[36:37], 0
.LBB70_95:
	s_andn2_b64 vcc, exec, s[36:37]
	s_cbranch_vccnz .LBB70_97
; %bb.96:
	global_store_byte v[8:9], v4, off
.LBB70_97:
	s_branch .LBB70_11
.LBB70_98:
	s_mov_b64 s[36:37], 0
                                        ; implicit-def: $vgpr16
.LBB70_99:
	s_and_b64 s[30:31], s[30:31], exec
	s_orn2_b64 s[36:37], s[36:37], exec
.LBB70_100:
	s_or_b64 exec, exec, s[34:35]
	s_mov_b64 s[40:41], 0
                                        ; implicit-def: $vgpr17
                                        ; implicit-def: $vgpr8_vgpr9
	s_and_saveexec_b64 s[34:35], s[36:37]
	s_cbranch_execz .LBB70_109
; %bb.101:
	v_cmp_gt_i32_e32 vcc, s48, v16
	s_mov_b64 s[42:43], -1
	s_mov_b64 s[36:37], s[30:31]
	s_and_saveexec_b64 s[38:39], vcc
	s_cbranch_execz .LBB70_204
; %bb.102:
	v_mul_lo_u32 v8, v16, s52
	v_ashrrev_i32_e32 v9, 31, v8
	v_mov_b32_e32 v17, s9
	v_add_co_u32_e32 v8, vcc, s8, v8
	v_addc_co_u32_e32 v9, vcc, v17, v9, vcc
	v_mov_b32_e32 v17, 11
	v_cmp_lt_i16_sdwa s[36:37], s33, v17 src0_sel:BYTE_0 src1_sel:DWORD
	s_and_b64 vcc, exec, s[36:37]
	s_cbranch_vccnz .LBB70_112
; %bb.103:
	v_mov_b32_e32 v17, 25
	v_cmp_gt_i16_sdwa s[36:37], s33, v17 src0_sel:BYTE_0 src1_sel:DWORD
	s_and_b64 vcc, exec, s[36:37]
	s_cbranch_vccz .LBB70_115
; %bb.104:
	v_mov_b32_e32 v17, 28
	v_cmp_gt_i16_sdwa s[36:37], s33, v17 src0_sel:BYTE_0 src1_sel:DWORD
	s_and_b64 vcc, exec, s[36:37]
	s_cbranch_vccz .LBB70_116
	;; [unrolled: 5-line block ×4, first 2 shown]
; %bb.107:
	v_mov_b32_e32 v17, 46
	v_cmp_eq_u16_sdwa s[40:41], s33, v17 src0_sel:BYTE_0 src1_sel:DWORD
	s_mov_b64 s[42:43], 0
	s_mov_b64 s[36:37], -1
	s_and_b64 vcc, exec, s[40:41]
	s_mov_b64 s[40:41], 0
	s_cbranch_vccz .LBB70_119
; %bb.108:
	v_mov_b32_e32 v17, s65
	global_store_dword v[8:9], v17, off
	s_mov_b64 s[40:41], -1
	s_mov_b64 s[36:37], 0
	s_branch .LBB70_119
.LBB70_109:
	s_or_b64 exec, exec, s[34:35]
	s_mov_b64 s[0:1], 0
	s_and_saveexec_b64 s[10:11], s[30:31]
	s_cbranch_execnz .LBB70_364
.LBB70_110:
	s_or_b64 exec, exec, s[10:11]
	s_and_saveexec_b64 s[10:11], s[38:39]
	s_xor_b64 s[10:11], exec, s[10:11]
	s_cbranch_execz .LBB70_365
.LBB70_111:
	global_store_byte v[8:9], v13, off
	s_or_b64 exec, exec, s[10:11]
	s_and_saveexec_b64 s[10:11], s[40:41]
	s_xor_b64 s[10:11], exec, s[10:11]
	s_cbranch_execz .LBB70_403
	s_branch .LBB70_366
.LBB70_112:
	s_mov_b64 s[36:37], s[30:31]
	s_and_b64 vcc, exec, s[42:43]
	s_cbranch_vccnz .LBB70_164
.LBB70_113:
	s_andn2_b64 vcc, exec, s[40:41]
	s_cbranch_vccnz .LBB70_202
.LBB70_114:
	v_add_u32_e32 v16, 0x80, v16
	s_mov_b64 s[40:41], -1
	s_branch .LBB70_203
.LBB70_115:
	s_mov_b64 s[36:37], s[30:31]
	s_branch .LBB70_141
.LBB70_116:
	s_mov_b64 s[36:37], s[30:31]
	s_branch .LBB70_127
.LBB70_117:
	s_mov_b64 s[36:37], s[30:31]
	s_branch .LBB70_123
.LBB70_118:
	s_mov_b64 s[36:37], s[30:31]
.LBB70_119:
	s_and_b64 vcc, exec, s[42:43]
	s_cbranch_vccz .LBB70_122
; %bb.120:
	v_mov_b32_e32 v17, 44
	v_cmp_eq_u16_sdwa s[42:43], s33, v17 src0_sel:BYTE_0 src1_sel:DWORD
	s_mov_b64 s[36:37], -1
	s_and_b64 vcc, exec, s[42:43]
	s_cbranch_vccz .LBB70_122
; %bb.121:
	v_mov_b32_e32 v17, 0xff
	v_cndmask_b32_e64 v17, v15, v17, s[0:1]
	s_mov_b64 s[40:41], -1
	s_mov_b64 s[36:37], 0
	global_store_byte v[8:9], v17, off
.LBB70_122:
	s_mov_b64 s[42:43], 0
.LBB70_123:
	s_and_b64 vcc, exec, s[42:43]
	s_cbranch_vccz .LBB70_126
; %bb.124:
	v_mov_b32_e32 v17, 29
	v_cmp_eq_u16_sdwa s[42:43], s33, v17 src0_sel:BYTE_0 src1_sel:DWORD
	s_mov_b64 s[36:37], -1
	s_and_b64 vcc, exec, s[42:43]
	s_cbranch_vccz .LBB70_126
; %bb.125:
	global_store_dwordx2 v[8:9], v[6:7], off
	s_mov_b64 s[40:41], -1
	s_mov_b64 s[36:37], 0
.LBB70_126:
	s_mov_b64 s[42:43], 0
.LBB70_127:
	s_and_b64 vcc, exec, s[42:43]
	s_cbranch_vccz .LBB70_140
; %bb.128:
	v_mov_b32_e32 v17, 27
	v_cmp_lt_i16_sdwa s[42:43], s33, v17 src0_sel:BYTE_0 src1_sel:DWORD
	s_mov_b64 s[40:41], -1
	s_and_b64 vcc, exec, s[42:43]
	s_cbranch_vccnz .LBB70_134
; %bb.129:
	v_cmp_gt_i16_sdwa s[42:43], s33, v17 src0_sel:BYTE_0 src1_sel:DWORD
	s_and_b64 vcc, exec, s[42:43]
	s_cbranch_vccz .LBB70_131
; %bb.130:
	s_mov_b64 s[40:41], 0
	global_store_dword v[8:9], v14, off
.LBB70_131:
	s_andn2_b64 vcc, exec, s[40:41]
	s_cbranch_vccnz .LBB70_133
; %bb.132:
	global_store_short v[8:9], v14, off
.LBB70_133:
	s_mov_b64 s[40:41], 0
.LBB70_134:
	s_andn2_b64 vcc, exec, s[40:41]
	s_cbranch_vccnz .LBB70_139
; %bb.135:
	s_andn2_b64 vcc, exec, s[26:27]
	s_movk_i32 s40, 0x80
	s_cbranch_vccnz .LBB70_138
; %bb.136:
	s_or_b64 s[40:41], s[24:25], s[28:29]
	s_andn2_b64 vcc, exec, s[40:41]
	s_mov_b32 s40, 0
	s_cbranch_vccnz .LBB70_138
; %bb.137:
	s_and_b64 s[40:41], s[24:25], exec
	s_cselect_b32 s40, s63, s64
	s_or_b32 s40, s40, s53
.LBB70_138:
	v_mov_b32_e32 v17, s40
	global_store_byte v[8:9], v17, off
.LBB70_139:
	s_mov_b64 s[40:41], -1
.LBB70_140:
	s_mov_b64 s[42:43], 0
.LBB70_141:
	s_and_b64 vcc, exec, s[42:43]
	s_cbranch_vccz .LBB70_163
; %bb.142:
	v_mov_b32_e32 v17, 22
	v_cmp_gt_i16_sdwa s[44:45], s33, v17 src0_sel:BYTE_0 src1_sel:DWORD
	s_mov_b64 s[42:43], -1
	s_and_b64 vcc, exec, s[44:45]
	s_cbranch_vccz .LBB70_155
; %bb.143:
	v_mov_b32_e32 v17, 24
	v_cmp_lt_i16_sdwa s[42:43], s33, v17 src0_sel:BYTE_0 src1_sel:DWORD
	s_mov_b64 s[40:41], -1
	s_and_b64 vcc, exec, s[42:43]
	s_cbranch_vccnz .LBB70_152
; %bb.144:
	v_cmp_gt_i16_sdwa s[42:43], s33, v17 src0_sel:BYTE_0 src1_sel:DWORD
	s_and_b64 vcc, exec, s[42:43]
	s_cbranch_vccz .LBB70_149
; %bb.145:
	s_andn2_b64 vcc, exec, s[20:21]
	s_movk_i32 s40, 0x80
	s_cbranch_vccnz .LBB70_148
; %bb.146:
	s_or_b64 s[40:41], s[18:19], s[22:23]
	s_andn2_b64 vcc, exec, s[40:41]
	s_mov_b32 s40, 0
	s_cbranch_vccnz .LBB70_148
; %bb.147:
	s_and_b64 s[40:41], s[18:19], exec
	s_cselect_b32 s40, s60, s62
	s_or_b32 s40, s40, s53
.LBB70_148:
	v_mov_b32_e32 v17, s40
	s_mov_b64 s[40:41], 0
	global_store_byte v[8:9], v17, off
.LBB70_149:
	s_and_b64 vcc, exec, s[40:41]
	s_cbranch_vccz .LBB70_151
; %bb.150:
	s_and_b64 s[40:41], s[16:17], exec
	s_cselect_b32 s42, s59, s58
	s_and_b64 s[40:41], s[14:15], exec
	s_cselect_b32 s40, s61, s42
	s_or_b32 s40, s40, s53
	v_mov_b32_e32 v17, s40
	global_store_byte v[8:9], v17, off
.LBB70_151:
	s_mov_b64 s[40:41], 0
.LBB70_152:
	s_andn2_b64 vcc, exec, s[40:41]
	s_cbranch_vccnz .LBB70_154
; %bb.153:
	s_and_b64 s[40:41], s[12:13], exec
	s_cselect_b32 s42, s56, s55
	s_and_b64 s[40:41], s[10:11], exec
	s_cselect_b32 s40, s57, s42
	s_or_b32 s40, s40, s53
	v_mov_b32_e32 v17, s40
	global_store_byte v[8:9], v17, off
.LBB70_154:
	s_mov_b64 s[42:43], 0
	s_mov_b64 s[40:41], -1
.LBB70_155:
	s_andn2_b64 vcc, exec, s[42:43]
	s_cbranch_vccnz .LBB70_163
; %bb.156:
	v_mov_b32_e32 v17, 14
	v_cmp_gt_i16_sdwa s[44:45], s33, v17 src0_sel:BYTE_0 src1_sel:DWORD
	s_mov_b64 s[42:43], -1
	s_and_b64 vcc, exec, s[44:45]
	s_cbranch_vccz .LBB70_160
; %bb.157:
	v_mov_b32_e32 v17, 15
	v_cmp_eq_u16_sdwa s[42:43], s33, v17 src0_sel:BYTE_0 src1_sel:DWORD
	s_mov_b64 s[36:37], -1
	s_and_b64 vcc, exec, s[42:43]
	s_cbranch_vccz .LBB70_159
; %bb.158:
	v_mov_b32_e32 v17, s54
	global_store_short v[8:9], v17, off
	s_mov_b64 s[40:41], -1
	s_mov_b64 s[36:37], 0
.LBB70_159:
	s_mov_b64 s[42:43], 0
.LBB70_160:
	s_and_b64 vcc, exec, s[42:43]
	s_cbranch_vccz .LBB70_163
; %bb.161:
	v_mov_b32_e32 v17, 11
	v_cmp_eq_u16_sdwa s[42:43], s33, v17 src0_sel:BYTE_0 src1_sel:DWORD
	s_mov_b64 s[36:37], -1
	s_and_b64 vcc, exec, s[42:43]
	s_cbranch_vccz .LBB70_163
; %bb.162:
	s_mov_b64 s[40:41], -1
	s_mov_b64 s[36:37], 0
	global_store_byte v[8:9], v13, off
.LBB70_163:
	s_branch .LBB70_113
.LBB70_164:
	v_mov_b32_e32 v17, 5
	v_cmp_lt_i16_sdwa s[42:43], s33, v17 src0_sel:BYTE_0 src1_sel:DWORD
	s_mov_b64 s[40:41], -1
	s_and_b64 vcc, exec, s[42:43]
	s_cbranch_vccnz .LBB70_185
; %bb.165:
	v_mov_b32_e32 v17, 8
	v_cmp_lt_i16_sdwa s[42:43], s33, v17 src0_sel:BYTE_0 src1_sel:DWORD
	s_and_b64 vcc, exec, s[42:43]
	s_cbranch_vccnz .LBB70_175
; %bb.166:
	v_mov_b32_e32 v17, 9
	v_cmp_lt_i16_sdwa s[42:43], s33, v17 src0_sel:BYTE_0 src1_sel:DWORD
	s_and_b64 vcc, exec, s[42:43]
	s_cbranch_vccnz .LBB70_172
; %bb.167:
	v_cmp_gt_i16_sdwa s[42:43], s33, v17 src0_sel:BYTE_0 src1_sel:DWORD
	s_and_b64 vcc, exec, s[42:43]
	s_cbranch_vccz .LBB70_169
; %bb.168:
	s_mov_b64 s[40:41], 0
	global_store_dwordx4 v[8:9], v[0:3], off
.LBB70_169:
	s_andn2_b64 vcc, exec, s[40:41]
	s_cbranch_vccnz .LBB70_171
; %bb.170:
	v_pk_mov_b32 v[18:19], s[2:3], s[2:3] op_sel:[0,1]
	global_store_dwordx2 v[8:9], v[18:19], off
.LBB70_171:
	s_mov_b64 s[40:41], 0
.LBB70_172:
	s_andn2_b64 vcc, exec, s[40:41]
	s_cbranch_vccnz .LBB70_174
; %bb.173:
	global_store_dword v[8:9], v12, off
.LBB70_174:
	s_mov_b64 s[40:41], 0
.LBB70_175:
	s_andn2_b64 vcc, exec, s[40:41]
	s_cbranch_vccnz .LBB70_184
; %bb.176:
	v_mov_b32_e32 v17, 6
	v_cmp_lt_i16_sdwa s[42:43], s33, v17 src0_sel:BYTE_0 src1_sel:DWORD
	s_mov_b64 s[40:41], -1
	s_and_b64 vcc, exec, s[42:43]
	s_cbranch_vccnz .LBB70_182
; %bb.177:
	v_cmp_gt_i16_sdwa s[42:43], s33, v17 src0_sel:BYTE_0 src1_sel:DWORD
	s_and_b64 vcc, exec, s[42:43]
	s_cbranch_vccz .LBB70_179
; %bb.178:
	s_mov_b64 s[40:41], 0
	global_store_dwordx2 v[8:9], v[0:1], off
.LBB70_179:
	s_andn2_b64 vcc, exec, s[40:41]
	s_cbranch_vccnz .LBB70_181
; %bb.180:
	v_mov_b32_e32 v17, s2
	global_store_dword v[8:9], v17, off
.LBB70_181:
	s_mov_b64 s[40:41], 0
.LBB70_182:
	s_andn2_b64 vcc, exec, s[40:41]
	s_cbranch_vccnz .LBB70_184
; %bb.183:
	global_store_short v[8:9], v11, off
.LBB70_184:
	s_mov_b64 s[40:41], 0
.LBB70_185:
	s_andn2_b64 vcc, exec, s[40:41]
	s_cbranch_vccnz .LBB70_201
; %bb.186:
	v_mov_b32_e32 v17, 2
	v_cmp_lt_i16_sdwa s[42:43], s33, v17 src0_sel:BYTE_0 src1_sel:DWORD
	s_mov_b64 s[40:41], -1
	s_and_b64 vcc, exec, s[42:43]
	s_cbranch_vccnz .LBB70_196
; %bb.187:
	v_mov_b32_e32 v17, 3
	v_cmp_lt_i16_sdwa s[42:43], s33, v17 src0_sel:BYTE_0 src1_sel:DWORD
	s_and_b64 vcc, exec, s[42:43]
	s_cbranch_vccnz .LBB70_193
; %bb.188:
	v_cmp_gt_i16_sdwa s[42:43], s33, v17 src0_sel:BYTE_0 src1_sel:DWORD
	s_and_b64 vcc, exec, s[42:43]
	s_cbranch_vccz .LBB70_190
; %bb.189:
	s_mov_b64 s[40:41], 0
	global_store_dwordx2 v[8:9], v[4:5], off
.LBB70_190:
	s_andn2_b64 vcc, exec, s[40:41]
	s_cbranch_vccnz .LBB70_192
; %bb.191:
	global_store_dword v[8:9], v10, off
.LBB70_192:
	s_mov_b64 s[40:41], 0
.LBB70_193:
	s_andn2_b64 vcc, exec, s[40:41]
	s_cbranch_vccnz .LBB70_195
; %bb.194:
	global_store_short v[8:9], v10, off
.LBB70_195:
	s_mov_b64 s[40:41], 0
.LBB70_196:
	s_andn2_b64 vcc, exec, s[40:41]
	s_cbranch_vccnz .LBB70_201
; %bb.197:
	v_mov_b32_e32 v17, 0
	v_cmp_gt_i16_sdwa s[42:43], s33, v17 src0_sel:BYTE_0 src1_sel:DWORD
	s_mov_b64 s[40:41], -1
	s_and_b64 vcc, exec, s[42:43]
	s_cbranch_vccz .LBB70_199
; %bb.198:
	s_mov_b64 s[40:41], 0
	global_store_byte v[8:9], v10, off
.LBB70_199:
	s_andn2_b64 vcc, exec, s[40:41]
	s_cbranch_vccnz .LBB70_201
; %bb.200:
	global_store_byte v[8:9], v4, off
.LBB70_201:
	s_branch .LBB70_114
.LBB70_202:
	s_mov_b64 s[40:41], 0
                                        ; implicit-def: $vgpr16
.LBB70_203:
	s_andn2_b64 s[42:43], s[30:31], exec
	s_and_b64 s[36:37], s[36:37], exec
	s_or_b64 s[36:37], s[42:43], s[36:37]
	s_orn2_b64 s[42:43], s[40:41], exec
.LBB70_204:
	s_or_b64 exec, exec, s[38:39]
	s_mov_b64 s[44:45], 0
	s_mov_b64 s[40:41], 0
                                        ; implicit-def: $vgpr17
                                        ; implicit-def: $vgpr8_vgpr9
	s_and_saveexec_b64 s[38:39], s[42:43]
	s_cbranch_execz .LBB70_363
; %bb.205:
	v_cmp_gt_i32_e32 vcc, s48, v16
	s_mov_b64 s[46:47], -1
	s_mov_b64 s[42:43], s[36:37]
	s_and_saveexec_b64 s[40:41], vcc
	s_cbranch_execz .LBB70_306
; %bb.206:
	v_mul_lo_u32 v8, v16, s52
	v_ashrrev_i32_e32 v9, 31, v8
	v_mov_b32_e32 v17, s9
	v_add_co_u32_e32 v8, vcc, s8, v8
	v_addc_co_u32_e32 v9, vcc, v17, v9, vcc
	v_mov_b32_e32 v17, 11
	v_cmp_lt_i16_sdwa s[42:43], s33, v17 src0_sel:BYTE_0 src1_sel:DWORD
	s_and_b64 vcc, exec, s[42:43]
	s_cbranch_vccnz .LBB70_213
; %bb.207:
	v_mov_b32_e32 v17, 25
	v_cmp_gt_i16_sdwa s[42:43], s33, v17 src0_sel:BYTE_0 src1_sel:DWORD
	s_and_b64 vcc, exec, s[42:43]
	s_cbranch_vccz .LBB70_214
; %bb.208:
	v_mov_b32_e32 v17, 28
	v_cmp_gt_i16_sdwa s[42:43], s33, v17 src0_sel:BYTE_0 src1_sel:DWORD
	s_and_b64 vcc, exec, s[42:43]
	s_cbranch_vccz .LBB70_215
	;; [unrolled: 5-line block ×4, first 2 shown]
; %bb.211:
	v_mov_b32_e32 v17, 46
	v_cmp_eq_u16_sdwa s[44:45], s33, v17 src0_sel:BYTE_0 src1_sel:DWORD
	s_mov_b64 s[46:47], 0
	s_mov_b64 s[42:43], -1
	s_and_b64 vcc, exec, s[44:45]
	s_mov_b64 s[44:45], 0
	s_cbranch_vccz .LBB70_218
; %bb.212:
	v_mov_b32_e32 v17, s65
	global_store_dword v[8:9], v17, off
	s_mov_b64 s[44:45], -1
	s_mov_b64 s[42:43], 0
	s_branch .LBB70_218
.LBB70_213:
	s_mov_b64 s[42:43], s[36:37]
	s_branch .LBB70_263
.LBB70_214:
	s_mov_b64 s[42:43], s[36:37]
	s_branch .LBB70_240
.LBB70_215:
	s_mov_b64 s[42:43], s[36:37]
	s_branch .LBB70_226
.LBB70_216:
	s_mov_b64 s[42:43], s[36:37]
	s_branch .LBB70_222
.LBB70_217:
	s_mov_b64 s[42:43], s[36:37]
.LBB70_218:
	s_and_b64 vcc, exec, s[46:47]
	s_cbranch_vccz .LBB70_221
; %bb.219:
	v_mov_b32_e32 v17, 44
	v_cmp_eq_u16_sdwa s[46:47], s33, v17 src0_sel:BYTE_0 src1_sel:DWORD
	s_mov_b64 s[42:43], -1
	s_and_b64 vcc, exec, s[46:47]
	s_cbranch_vccz .LBB70_221
; %bb.220:
	v_mov_b32_e32 v17, 0xff
	v_cndmask_b32_e64 v17, v15, v17, s[0:1]
	s_mov_b64 s[44:45], -1
	s_mov_b64 s[42:43], 0
	global_store_byte v[8:9], v17, off
.LBB70_221:
	s_mov_b64 s[46:47], 0
.LBB70_222:
	s_and_b64 vcc, exec, s[46:47]
	s_cbranch_vccz .LBB70_225
; %bb.223:
	v_mov_b32_e32 v17, 29
	v_cmp_eq_u16_sdwa s[46:47], s33, v17 src0_sel:BYTE_0 src1_sel:DWORD
	s_mov_b64 s[42:43], -1
	s_and_b64 vcc, exec, s[46:47]
	s_cbranch_vccz .LBB70_225
; %bb.224:
	global_store_dwordx2 v[8:9], v[6:7], off
	s_mov_b64 s[44:45], -1
	s_mov_b64 s[42:43], 0
.LBB70_225:
	s_mov_b64 s[46:47], 0
.LBB70_226:
	s_and_b64 vcc, exec, s[46:47]
	s_cbranch_vccz .LBB70_239
; %bb.227:
	v_mov_b32_e32 v17, 27
	v_cmp_lt_i16_sdwa s[46:47], s33, v17 src0_sel:BYTE_0 src1_sel:DWORD
	s_mov_b64 s[44:45], -1
	s_and_b64 vcc, exec, s[46:47]
	s_cbranch_vccnz .LBB70_233
; %bb.228:
	v_cmp_gt_i16_sdwa s[46:47], s33, v17 src0_sel:BYTE_0 src1_sel:DWORD
	s_and_b64 vcc, exec, s[46:47]
	s_cbranch_vccz .LBB70_230
; %bb.229:
	s_mov_b64 s[44:45], 0
	global_store_dword v[8:9], v14, off
.LBB70_230:
	s_andn2_b64 vcc, exec, s[44:45]
	s_cbranch_vccnz .LBB70_232
; %bb.231:
	global_store_short v[8:9], v14, off
.LBB70_232:
	s_mov_b64 s[44:45], 0
.LBB70_233:
	s_andn2_b64 vcc, exec, s[44:45]
	s_cbranch_vccnz .LBB70_238
; %bb.234:
	s_andn2_b64 vcc, exec, s[26:27]
	s_movk_i32 s44, 0x80
	s_cbranch_vccnz .LBB70_237
; %bb.235:
	s_or_b64 s[44:45], s[24:25], s[28:29]
	s_andn2_b64 vcc, exec, s[44:45]
	s_mov_b32 s44, 0
	s_cbranch_vccnz .LBB70_237
; %bb.236:
	s_and_b64 s[44:45], s[24:25], exec
	s_cselect_b32 s44, s63, s64
	s_or_b32 s44, s44, s53
.LBB70_237:
	v_mov_b32_e32 v17, s44
	global_store_byte v[8:9], v17, off
.LBB70_238:
	s_mov_b64 s[44:45], -1
.LBB70_239:
	s_mov_b64 s[46:47], 0
.LBB70_240:
	s_and_b64 vcc, exec, s[46:47]
	s_cbranch_vccz .LBB70_262
; %bb.241:
	v_mov_b32_e32 v17, 22
	v_cmp_gt_i16_sdwa s[50:51], s33, v17 src0_sel:BYTE_0 src1_sel:DWORD
	s_mov_b64 s[46:47], -1
	s_and_b64 vcc, exec, s[50:51]
	s_cbranch_vccz .LBB70_254
; %bb.242:
	v_mov_b32_e32 v17, 24
	v_cmp_lt_i16_sdwa s[46:47], s33, v17 src0_sel:BYTE_0 src1_sel:DWORD
	s_mov_b64 s[44:45], -1
	s_and_b64 vcc, exec, s[46:47]
	s_cbranch_vccnz .LBB70_251
; %bb.243:
	v_cmp_gt_i16_sdwa s[46:47], s33, v17 src0_sel:BYTE_0 src1_sel:DWORD
	s_and_b64 vcc, exec, s[46:47]
	s_cbranch_vccz .LBB70_248
; %bb.244:
	s_andn2_b64 vcc, exec, s[20:21]
	s_movk_i32 s44, 0x80
	s_cbranch_vccnz .LBB70_247
; %bb.245:
	s_or_b64 s[44:45], s[18:19], s[22:23]
	s_andn2_b64 vcc, exec, s[44:45]
	s_mov_b32 s44, 0
	s_cbranch_vccnz .LBB70_247
; %bb.246:
	s_and_b64 s[44:45], s[18:19], exec
	s_cselect_b32 s44, s60, s62
	s_or_b32 s44, s44, s53
.LBB70_247:
	v_mov_b32_e32 v17, s44
	s_mov_b64 s[44:45], 0
	global_store_byte v[8:9], v17, off
.LBB70_248:
	s_and_b64 vcc, exec, s[44:45]
	s_cbranch_vccz .LBB70_250
; %bb.249:
	s_and_b64 s[44:45], s[16:17], exec
	s_cselect_b32 s46, s59, s58
	s_and_b64 s[44:45], s[14:15], exec
	s_cselect_b32 s44, s61, s46
	s_or_b32 s44, s44, s53
	v_mov_b32_e32 v17, s44
	global_store_byte v[8:9], v17, off
.LBB70_250:
	s_mov_b64 s[44:45], 0
.LBB70_251:
	s_andn2_b64 vcc, exec, s[44:45]
	s_cbranch_vccnz .LBB70_253
; %bb.252:
	s_and_b64 s[44:45], s[12:13], exec
	s_cselect_b32 s46, s56, s55
	s_and_b64 s[44:45], s[10:11], exec
	s_cselect_b32 s44, s57, s46
	s_or_b32 s44, s44, s53
	v_mov_b32_e32 v17, s44
	global_store_byte v[8:9], v17, off
.LBB70_253:
	s_mov_b64 s[46:47], 0
	s_mov_b64 s[44:45], -1
.LBB70_254:
	s_andn2_b64 vcc, exec, s[46:47]
	s_cbranch_vccnz .LBB70_262
; %bb.255:
	v_mov_b32_e32 v17, 14
	v_cmp_gt_i16_sdwa s[50:51], s33, v17 src0_sel:BYTE_0 src1_sel:DWORD
	s_mov_b64 s[46:47], -1
	s_and_b64 vcc, exec, s[50:51]
	s_cbranch_vccz .LBB70_259
; %bb.256:
	v_mov_b32_e32 v17, 15
	v_cmp_eq_u16_sdwa s[46:47], s33, v17 src0_sel:BYTE_0 src1_sel:DWORD
	s_mov_b64 s[42:43], -1
	s_and_b64 vcc, exec, s[46:47]
	s_cbranch_vccz .LBB70_258
; %bb.257:
	v_mov_b32_e32 v17, s54
	global_store_short v[8:9], v17, off
	s_mov_b64 s[44:45], -1
	s_mov_b64 s[42:43], 0
.LBB70_258:
	s_mov_b64 s[46:47], 0
.LBB70_259:
	s_and_b64 vcc, exec, s[46:47]
	s_cbranch_vccz .LBB70_262
; %bb.260:
	v_mov_b32_e32 v17, 11
	v_cmp_eq_u16_sdwa s[46:47], s33, v17 src0_sel:BYTE_0 src1_sel:DWORD
	s_mov_b64 s[42:43], -1
	s_and_b64 vcc, exec, s[46:47]
	s_cbranch_vccz .LBB70_262
; %bb.261:
	s_mov_b64 s[44:45], -1
	s_mov_b64 s[42:43], 0
	global_store_byte v[8:9], v13, off
.LBB70_262:
	s_mov_b64 s[46:47], 0
.LBB70_263:
	s_and_b64 vcc, exec, s[46:47]
	s_cbranch_vccz .LBB70_302
; %bb.264:
	v_mov_b32_e32 v17, 5
	v_cmp_lt_i16_sdwa s[46:47], s33, v17 src0_sel:BYTE_0 src1_sel:DWORD
	s_mov_b64 s[44:45], -1
	s_and_b64 vcc, exec, s[46:47]
	s_cbranch_vccnz .LBB70_285
; %bb.265:
	v_mov_b32_e32 v17, 8
	v_cmp_lt_i16_sdwa s[46:47], s33, v17 src0_sel:BYTE_0 src1_sel:DWORD
	s_and_b64 vcc, exec, s[46:47]
	s_cbranch_vccnz .LBB70_275
; %bb.266:
	v_mov_b32_e32 v17, 9
	v_cmp_lt_i16_sdwa s[46:47], s33, v17 src0_sel:BYTE_0 src1_sel:DWORD
	s_and_b64 vcc, exec, s[46:47]
	s_cbranch_vccnz .LBB70_272
; %bb.267:
	v_cmp_gt_i16_sdwa s[46:47], s33, v17 src0_sel:BYTE_0 src1_sel:DWORD
	s_and_b64 vcc, exec, s[46:47]
	s_cbranch_vccz .LBB70_269
; %bb.268:
	s_mov_b64 s[44:45], 0
	global_store_dwordx4 v[8:9], v[0:3], off
.LBB70_269:
	s_andn2_b64 vcc, exec, s[44:45]
	s_cbranch_vccnz .LBB70_271
; %bb.270:
	v_pk_mov_b32 v[18:19], s[2:3], s[2:3] op_sel:[0,1]
	global_store_dwordx2 v[8:9], v[18:19], off
.LBB70_271:
	s_mov_b64 s[44:45], 0
.LBB70_272:
	s_andn2_b64 vcc, exec, s[44:45]
	s_cbranch_vccnz .LBB70_274
; %bb.273:
	global_store_dword v[8:9], v12, off
.LBB70_274:
	s_mov_b64 s[44:45], 0
.LBB70_275:
	s_andn2_b64 vcc, exec, s[44:45]
	s_cbranch_vccnz .LBB70_284
; %bb.276:
	v_mov_b32_e32 v17, 6
	v_cmp_lt_i16_sdwa s[46:47], s33, v17 src0_sel:BYTE_0 src1_sel:DWORD
	s_mov_b64 s[44:45], -1
	s_and_b64 vcc, exec, s[46:47]
	s_cbranch_vccnz .LBB70_282
; %bb.277:
	v_cmp_gt_i16_sdwa s[46:47], s33, v17 src0_sel:BYTE_0 src1_sel:DWORD
	s_and_b64 vcc, exec, s[46:47]
	s_cbranch_vccz .LBB70_279
; %bb.278:
	s_mov_b64 s[44:45], 0
	global_store_dwordx2 v[8:9], v[0:1], off
.LBB70_279:
	s_andn2_b64 vcc, exec, s[44:45]
	s_cbranch_vccnz .LBB70_281
; %bb.280:
	v_mov_b32_e32 v17, s2
	global_store_dword v[8:9], v17, off
.LBB70_281:
	s_mov_b64 s[44:45], 0
.LBB70_282:
	s_andn2_b64 vcc, exec, s[44:45]
	s_cbranch_vccnz .LBB70_284
; %bb.283:
	global_store_short v[8:9], v11, off
.LBB70_284:
	s_mov_b64 s[44:45], 0
.LBB70_285:
	s_andn2_b64 vcc, exec, s[44:45]
	s_cbranch_vccnz .LBB70_301
; %bb.286:
	v_mov_b32_e32 v17, 2
	v_cmp_lt_i16_sdwa s[46:47], s33, v17 src0_sel:BYTE_0 src1_sel:DWORD
	s_mov_b64 s[44:45], -1
	s_and_b64 vcc, exec, s[46:47]
	s_cbranch_vccnz .LBB70_296
; %bb.287:
	v_mov_b32_e32 v17, 3
	v_cmp_lt_i16_sdwa s[46:47], s33, v17 src0_sel:BYTE_0 src1_sel:DWORD
	s_and_b64 vcc, exec, s[46:47]
	s_cbranch_vccnz .LBB70_293
; %bb.288:
	v_cmp_gt_i16_sdwa s[46:47], s33, v17 src0_sel:BYTE_0 src1_sel:DWORD
	s_and_b64 vcc, exec, s[46:47]
	s_cbranch_vccz .LBB70_290
; %bb.289:
	s_mov_b64 s[44:45], 0
	global_store_dwordx2 v[8:9], v[4:5], off
.LBB70_290:
	s_andn2_b64 vcc, exec, s[44:45]
	s_cbranch_vccnz .LBB70_292
; %bb.291:
	global_store_dword v[8:9], v10, off
.LBB70_292:
	s_mov_b64 s[44:45], 0
.LBB70_293:
	s_andn2_b64 vcc, exec, s[44:45]
	s_cbranch_vccnz .LBB70_295
; %bb.294:
	global_store_short v[8:9], v10, off
.LBB70_295:
	s_mov_b64 s[44:45], 0
.LBB70_296:
	s_andn2_b64 vcc, exec, s[44:45]
	s_cbranch_vccnz .LBB70_301
; %bb.297:
	v_mov_b32_e32 v17, 0
	v_cmp_gt_i16_sdwa s[46:47], s33, v17 src0_sel:BYTE_0 src1_sel:DWORD
	s_mov_b64 s[44:45], -1
	s_and_b64 vcc, exec, s[46:47]
	s_cbranch_vccz .LBB70_299
; %bb.298:
	s_mov_b64 s[44:45], 0
	global_store_byte v[8:9], v10, off
.LBB70_299:
	s_andn2_b64 vcc, exec, s[44:45]
	s_cbranch_vccnz .LBB70_301
; %bb.300:
	global_store_byte v[8:9], v4, off
.LBB70_301:
	s_mov_b64 s[44:45], -1
.LBB70_302:
	s_andn2_b64 vcc, exec, s[44:45]
	s_cbranch_vccnz .LBB70_304
; %bb.303:
	v_add_u32_e32 v16, 0x80, v16
	s_mov_b64 s[44:45], -1
	s_branch .LBB70_305
.LBB70_304:
	s_mov_b64 s[44:45], 0
                                        ; implicit-def: $vgpr16
.LBB70_305:
	s_andn2_b64 s[46:47], s[36:37], exec
	s_and_b64 s[42:43], s[42:43], exec
	s_or_b64 s[42:43], s[46:47], s[42:43]
	s_orn2_b64 s[46:47], s[44:45], exec
.LBB70_306:
	s_or_b64 exec, exec, s[40:41]
	s_mov_b64 s[44:45], 0
	s_mov_b64 s[50:51], 0
                                        ; implicit-def: $vgpr17
                                        ; implicit-def: $vgpr8_vgpr9
	s_and_saveexec_b64 s[40:41], s[46:47]
	s_cbranch_execz .LBB70_362
; %bb.307:
	v_cmp_gt_i32_e32 vcc, s48, v16
	s_mov_b64 s[48:49], 0
	s_mov_b64 s[46:47], s[42:43]
                                        ; implicit-def: $vgpr17
                                        ; implicit-def: $vgpr8_vgpr9
	s_and_saveexec_b64 s[44:45], vcc
	s_cbranch_execz .LBB70_361
; %bb.308:
	v_mul_lo_u32 v8, v16, s52
	v_ashrrev_i32_e32 v9, 31, v8
	v_mov_b32_e32 v16, s9
	v_add_co_u32_e32 v8, vcc, s8, v8
	v_addc_co_u32_e32 v9, vcc, v16, v9, vcc
	v_mov_b32_e32 v16, 0xff
	v_and_b32_e32 v17, s33, v16
	v_cmp_gt_i16_e32 vcc, 11, v17
	s_cbranch_vccnz .LBB70_358
; %bb.309:
	v_cmp_lt_i16_e32 vcc, 25, v17
	s_mov_b64 s[48:49], -1
	s_mov_b64 s[46:47], s[42:43]
	s_cbranch_vccz .LBB70_337
; %bb.310:
	v_cmp_lt_i16_e32 vcc, 28, v17
	s_mov_b64 s[46:47], s[42:43]
	s_cbranch_vccz .LBB70_324
; %bb.311:
	v_cmp_lt_i16_e32 vcc, 43, v17
	;; [unrolled: 4-line block ×3, first 2 shown]
	s_mov_b64 s[46:47], s[42:43]
	s_cbranch_vccz .LBB70_316
; %bb.313:
	v_cmp_eq_u16_e32 vcc, 46, v17
	s_mov_b64 s[46:47], -1
	s_cbranch_vccz .LBB70_315
; %bb.314:
	v_mov_b32_e32 v16, s65
	global_store_dword v[8:9], v16, off
	s_mov_b64 s[46:47], 0
.LBB70_315:
	s_mov_b64 s[48:49], 0
.LBB70_316:
	s_and_b64 vcc, exec, s[48:49]
	s_cbranch_vccz .LBB70_319
; %bb.317:
	v_cmp_eq_u16_e32 vcc, 44, v17
	s_mov_b64 s[46:47], -1
	s_cbranch_vccz .LBB70_319
; %bb.318:
	v_mov_b32_e32 v16, 0xff
	v_cndmask_b32_e64 v15, v15, v16, s[0:1]
	global_store_byte v[8:9], v15, off
	s_mov_b64 s[46:47], 0
.LBB70_319:
	s_mov_b64 s[48:49], 0
.LBB70_320:
	s_and_b64 vcc, exec, s[48:49]
	s_cbranch_vccz .LBB70_323
; %bb.321:
	v_cmp_eq_u16_e32 vcc, 29, v17
	s_mov_b64 s[46:47], -1
	s_cbranch_vccz .LBB70_323
; %bb.322:
	global_store_dwordx2 v[8:9], v[6:7], off
	s_mov_b64 s[46:47], 0
.LBB70_323:
	s_mov_b64 s[48:49], 0
.LBB70_324:
	s_and_b64 vcc, exec, s[48:49]
	s_cbranch_vccz .LBB70_336
; %bb.325:
	v_cmp_gt_i16_e32 vcc, 27, v17
	s_mov_b64 s[0:1], -1
	s_cbranch_vccnz .LBB70_331
; %bb.326:
	v_cmp_lt_i16_e32 vcc, 27, v17
	s_cbranch_vccz .LBB70_328
; %bb.327:
	s_mov_b64 s[0:1], 0
	global_store_dword v[8:9], v14, off
.LBB70_328:
	s_andn2_b64 vcc, exec, s[0:1]
	s_cbranch_vccnz .LBB70_330
; %bb.329:
	global_store_short v[8:9], v14, off
.LBB70_330:
	s_mov_b64 s[0:1], 0
.LBB70_331:
	s_andn2_b64 vcc, exec, s[0:1]
	s_cbranch_vccnz .LBB70_336
; %bb.332:
	s_andn2_b64 vcc, exec, s[26:27]
	s_movk_i32 s0, 0x80
	s_cbranch_vccnz .LBB70_335
; %bb.333:
	s_or_b64 s[0:1], s[24:25], s[28:29]
	s_andn2_b64 vcc, exec, s[0:1]
	s_mov_b32 s0, 0
	s_cbranch_vccnz .LBB70_335
; %bb.334:
	s_and_b64 s[0:1], s[24:25], exec
	s_cselect_b32 s0, s63, s64
	s_or_b32 s0, s0, s53
.LBB70_335:
	v_mov_b32_e32 v6, s0
	global_store_byte v[8:9], v6, off
.LBB70_336:
	s_mov_b64 s[48:49], 0
.LBB70_337:
	s_mov_b64 s[0:1], 0
	s_and_b64 vcc, exec, s[48:49]
	s_cbranch_vccz .LBB70_359
; %bb.338:
	v_cmp_lt_i16_e32 vcc, 22, v17
	s_mov_b64 s[24:25], -1
	s_cbranch_vccz .LBB70_351
; %bb.339:
	v_cmp_gt_i16_e32 vcc, 24, v17
	s_cbranch_vccnz .LBB70_348
; %bb.340:
	v_cmp_lt_i16_e32 vcc, 24, v17
	s_cbranch_vccz .LBB70_345
; %bb.341:
	s_andn2_b64 vcc, exec, s[20:21]
	s_movk_i32 s20, 0x80
	s_cbranch_vccnz .LBB70_344
; %bb.342:
	s_or_b64 s[20:21], s[18:19], s[22:23]
	s_andn2_b64 vcc, exec, s[20:21]
	s_mov_b32 s20, 0
	s_cbranch_vccnz .LBB70_344
; %bb.343:
	s_and_b64 s[18:19], s[18:19], exec
	s_cselect_b32 s18, s60, s62
	s_or_b32 s20, s18, s53
.LBB70_344:
	v_mov_b32_e32 v6, s20
	s_mov_b64 s[24:25], 0
	global_store_byte v[8:9], v6, off
.LBB70_345:
	s_and_b64 vcc, exec, s[24:25]
	s_cbranch_vccz .LBB70_347
; %bb.346:
	s_and_b64 s[16:17], s[16:17], exec
	s_cselect_b32 s16, s59, s58
	s_and_b64 s[14:15], s[14:15], exec
	s_cselect_b32 s14, s61, s16
	s_or_b32 s14, s14, s53
	v_mov_b32_e32 v6, s14
	global_store_byte v[8:9], v6, off
.LBB70_347:
	s_mov_b64 s[24:25], 0
.LBB70_348:
	s_andn2_b64 vcc, exec, s[24:25]
	s_cbranch_vccnz .LBB70_350
; %bb.349:
	s_and_b64 s[12:13], s[12:13], exec
	s_cselect_b32 s12, s56, s55
	s_and_b64 s[10:11], s[10:11], exec
	s_cselect_b32 s10, s57, s12
	s_or_b32 s10, s10, s53
	v_mov_b32_e32 v6, s10
	global_store_byte v[8:9], v6, off
.LBB70_350:
	s_mov_b64 s[24:25], 0
.LBB70_351:
	s_andn2_b64 vcc, exec, s[24:25]
	s_mov_b64 s[10:11], 0
	s_cbranch_vccnz .LBB70_360
; %bb.352:
	v_cmp_lt_i16_e32 vcc, 14, v17
	s_mov_b64 s[12:13], -1
	s_cbranch_vccz .LBB70_356
; %bb.353:
	v_cmp_eq_u16_e32 vcc, 15, v17
	s_mov_b64 s[46:47], -1
	s_cbranch_vccz .LBB70_355
; %bb.354:
	v_mov_b32_e32 v6, s54
	global_store_short v[8:9], v6, off
	s_mov_b64 s[46:47], 0
.LBB70_355:
	s_mov_b64 s[12:13], 0
.LBB70_356:
	s_and_b64 vcc, exec, s[12:13]
	s_cbranch_vccz .LBB70_360
; %bb.357:
	v_cmp_ne_u16_e32 vcc, 11, v17
	s_andn2_b64 s[12:13], s[46:47], exec
	s_and_b64 s[14:15], vcc, exec
	s_mov_b64 s[10:11], -1
	s_or_b64 s[46:47], s[12:13], s[14:15]
	s_branch .LBB70_360
.LBB70_358:
	s_mov_b64 s[10:11], 0
	s_mov_b64 s[0:1], -1
	s_mov_b64 s[46:47], s[42:43]
	s_branch .LBB70_360
.LBB70_359:
	s_mov_b64 s[10:11], 0
.LBB70_360:
	s_and_b64 s[50:51], s[0:1], exec
	s_and_b64 s[48:49], s[10:11], exec
	s_andn2_b64 s[0:1], s[42:43], exec
	s_and_b64 s[10:11], s[46:47], exec
	s_or_b64 s[46:47], s[0:1], s[10:11]
.LBB70_361:
	s_or_b64 exec, exec, s[44:45]
	s_andn2_b64 s[0:1], s[42:43], exec
	s_and_b64 s[10:11], s[46:47], exec
	s_and_b64 s[50:51], s[50:51], exec
	;; [unrolled: 1-line block ×3, first 2 shown]
	s_or_b64 s[42:43], s[0:1], s[10:11]
.LBB70_362:
	s_or_b64 exec, exec, s[40:41]
	s_andn2_b64 s[0:1], s[36:37], exec
	s_and_b64 s[10:11], s[42:43], exec
	s_and_b64 s[40:41], s[50:51], exec
	s_and_b64 s[44:45], s[44:45], exec
	s_or_b64 s[36:37], s[0:1], s[10:11]
.LBB70_363:
	s_or_b64 exec, exec, s[38:39]
	s_andn2_b64 s[0:1], s[30:31], exec
	s_and_b64 s[10:11], s[36:37], exec
	s_and_b64 s[40:41], s[40:41], exec
	;; [unrolled: 1-line block ×3, first 2 shown]
	s_or_b64 s[30:31], s[0:1], s[10:11]
	s_or_b64 exec, exec, s[34:35]
	s_mov_b64 s[0:1], 0
	s_and_saveexec_b64 s[10:11], s[30:31]
	s_cbranch_execz .LBB70_110
.LBB70_364:
	s_mov_b64 s[0:1], exec
	s_andn2_b64 s[38:39], s[38:39], exec
	s_trap 2
	s_or_b64 exec, exec, s[10:11]
	s_and_saveexec_b64 s[10:11], s[38:39]
	s_xor_b64 s[10:11], exec, s[10:11]
	s_cbranch_execnz .LBB70_111
.LBB70_365:
	s_or_b64 exec, exec, s[10:11]
	s_and_saveexec_b64 s[10:11], s[40:41]
	s_xor_b64 s[10:11], exec, s[10:11]
	s_cbranch_execz .LBB70_403
.LBB70_366:
	v_cmp_gt_i16_e32 vcc, 5, v17
	s_mov_b64 s[12:13], -1
	s_cbranch_vccnz .LBB70_387
; %bb.367:
	v_cmp_gt_i16_e32 vcc, 8, v17
	s_cbranch_vccnz .LBB70_377
; %bb.368:
	v_cmp_gt_i16_e32 vcc, 9, v17
	s_cbranch_vccnz .LBB70_374
; %bb.369:
	v_cmp_lt_i16_e32 vcc, 9, v17
	s_cbranch_vccz .LBB70_371
; %bb.370:
	s_mov_b64 s[12:13], 0
	global_store_dwordx4 v[8:9], v[0:3], off
.LBB70_371:
	s_andn2_b64 vcc, exec, s[12:13]
	s_cbranch_vccnz .LBB70_373
; %bb.372:
	v_pk_mov_b32 v[2:3], s[2:3], s[2:3] op_sel:[0,1]
	global_store_dwordx2 v[8:9], v[2:3], off
.LBB70_373:
	s_mov_b64 s[12:13], 0
.LBB70_374:
	s_andn2_b64 vcc, exec, s[12:13]
	s_cbranch_vccnz .LBB70_376
; %bb.375:
	global_store_dword v[8:9], v12, off
.LBB70_376:
	s_mov_b64 s[12:13], 0
.LBB70_377:
	s_andn2_b64 vcc, exec, s[12:13]
	s_cbranch_vccnz .LBB70_386
; %bb.378:
	v_cmp_gt_i16_e32 vcc, 6, v17
	s_mov_b64 s[12:13], -1
	s_cbranch_vccnz .LBB70_384
; %bb.379:
	v_cmp_lt_i16_e32 vcc, 6, v17
	s_cbranch_vccz .LBB70_381
; %bb.380:
	s_mov_b64 s[12:13], 0
	global_store_dwordx2 v[8:9], v[0:1], off
.LBB70_381:
	s_andn2_b64 vcc, exec, s[12:13]
	s_cbranch_vccnz .LBB70_383
; %bb.382:
	v_mov_b32_e32 v0, s2
	global_store_dword v[8:9], v0, off
.LBB70_383:
	s_mov_b64 s[12:13], 0
.LBB70_384:
	s_andn2_b64 vcc, exec, s[12:13]
	s_cbranch_vccnz .LBB70_386
; %bb.385:
	global_store_short v[8:9], v11, off
.LBB70_386:
	s_mov_b64 s[12:13], 0
.LBB70_387:
	s_andn2_b64 vcc, exec, s[12:13]
	s_cbranch_vccnz .LBB70_403
; %bb.388:
	v_cmp_gt_i16_e32 vcc, 2, v17
	s_mov_b64 s[12:13], -1
	s_cbranch_vccnz .LBB70_398
; %bb.389:
	v_cmp_gt_i16_e32 vcc, 3, v17
	s_cbranch_vccnz .LBB70_395
; %bb.390:
	v_cmp_lt_i16_e32 vcc, 3, v17
	s_cbranch_vccz .LBB70_392
; %bb.391:
	s_mov_b64 s[12:13], 0
	global_store_dwordx2 v[8:9], v[4:5], off
.LBB70_392:
	s_andn2_b64 vcc, exec, s[12:13]
	s_cbranch_vccnz .LBB70_394
; %bb.393:
	global_store_dword v[8:9], v10, off
.LBB70_394:
	s_mov_b64 s[12:13], 0
.LBB70_395:
	s_andn2_b64 vcc, exec, s[12:13]
	s_cbranch_vccnz .LBB70_397
; %bb.396:
	global_store_short v[8:9], v10, off
.LBB70_397:
	s_mov_b64 s[12:13], 0
.LBB70_398:
	s_andn2_b64 vcc, exec, s[12:13]
	s_cbranch_vccnz .LBB70_403
; %bb.399:
	v_cmp_lt_i16_e32 vcc, 0, v17
	s_mov_b64 s[12:13], -1
	s_cbranch_vccz .LBB70_401
; %bb.400:
	s_mov_b64 s[12:13], 0
	global_store_byte v[8:9], v10, off
.LBB70_401:
	s_andn2_b64 vcc, exec, s[12:13]
	s_cbranch_vccnz .LBB70_403
; %bb.402:
	global_store_byte v[8:9], v4, off
.LBB70_403:
	s_or_b64 exec, exec, s[10:11]
	s_and_b64 s[0:1], s[0:1], exec
                                        ; implicit-def: $vgpr16
.LBB70_404:
	s_or_saveexec_b64 s[4:5], s[4:5]
	s_mov_b64 s[12:13], 0
                                        ; implicit-def: $vgpr2
                                        ; implicit-def: $vgpr0_vgpr1
	s_xor_b64 exec, exec, s[4:5]
	s_cbranch_execz .LBB70_412
; %bb.405:
	v_mul_lo_u32 v2, s52, v16
	v_ashrrev_i32_e32 v1, 31, v2
	v_mov_b32_e32 v3, s9
	v_add_co_u32_e32 v0, vcc, s8, v2
	v_addc_co_u32_e32 v1, vcc, v3, v1, vcc
	v_mov_b32_e32 v3, 11
	v_cmp_lt_i16_sdwa s[6:7], s33, v3 src0_sel:BYTE_0 src1_sel:DWORD
	s_and_b64 vcc, exec, s[6:7]
	s_cbranch_vccnz .LBB70_415
; %bb.406:
	v_mov_b32_e32 v3, 25
	v_cmp_gt_i16_sdwa s[6:7], s33, v3 src0_sel:BYTE_0 src1_sel:DWORD
	s_mov_b64 s[10:11], -1
	s_and_b64 vcc, exec, s[6:7]
	s_mov_b64 s[14:15], 0
	s_mov_b64 s[6:7], 0
	s_cbranch_vccz .LBB70_448
; %bb.407:
	v_mov_b32_e32 v3, 28
	v_cmp_gt_i16_sdwa s[6:7], s33, v3 src0_sel:BYTE_0 src1_sel:DWORD
	s_and_b64 vcc, exec, s[6:7]
	s_cbranch_vccz .LBB70_417
; %bb.408:
	v_mov_b32_e32 v3, 43
	v_cmp_gt_i16_sdwa s[6:7], s33, v3 src0_sel:BYTE_0 src1_sel:DWORD
	s_and_b64 vcc, exec, s[6:7]
	;; [unrolled: 5-line block ×3, first 2 shown]
	s_cbranch_vccz .LBB70_419
; %bb.410:
	v_mov_b32_e32 v3, 46
	v_cmp_eq_u16_sdwa s[14:15], s33, v3 src0_sel:BYTE_0 src1_sel:DWORD
	s_mov_b64 s[6:7], -1
	s_mov_b64 s[10:11], 0
	s_and_b64 vcc, exec, s[14:15]
	s_mov_b64 s[14:15], 0
	s_cbranch_vccz .LBB70_420
; %bb.411:
	s_bfe_u32 s6, s2, 0x10010
	s_add_i32 s6, s2, s6
	s_addk_i32 s6, 0x7fff
	s_lshr_b32 s14, s6, 16
	s_bfe_u32 s6, s3, 0x10010
	s_add_i32 s6, s3, s6
	s_addk_i32 s6, 0x7fff
	s_and_b32 s15, s6, 0xffff0000
	v_cmp_o_f32_e64 s[6:7], s3, s3
	s_and_b64 s[6:7], s[6:7], exec
	v_cmp_o_f32_e64 s[6:7], s2, s2
	s_cselect_b32 s15, s15, 0x7fc00000
	s_and_b64 s[6:7], s[6:7], exec
	s_cselect_b32 s6, s14, 0x7fc0
	s_or_b32 s6, s15, s6
	v_mov_b32_e32 v3, s6
	global_store_dword v[0:1], v3, off
	s_mov_b64 s[6:7], 0
	s_mov_b64 s[14:15], -1
	s_branch .LBB70_420
.LBB70_412:
	s_or_b64 exec, exec, s[4:5]
	s_and_saveexec_b64 s[4:5], s[0:1]
	s_cbranch_execz .LBB70_842
.LBB70_413:
	; divergent unreachable
	s_or_b64 exec, exec, s[4:5]
	s_and_saveexec_b64 s[0:1], s[6:7]
	s_xor_b64 s[0:1], exec, s[0:1]
	s_cbranch_execnz .LBB70_843
.LBB70_414:
	s_or_b64 exec, exec, s[0:1]
	s_and_saveexec_b64 s[0:1], s[12:13]
	s_cbranch_execnz .LBB70_844
	s_branch .LBB70_881
.LBB70_415:
	s_mov_b64 s[14:15], 0
	s_mov_b64 s[10:11], s[0:1]
	s_cbranch_execnz .LBB70_498
.LBB70_416:
	s_andn2_b64 vcc, exec, s[14:15]
	s_cbranch_vccz .LBB70_536
	s_branch .LBB70_840
.LBB70_417:
	s_mov_b64 s[6:7], 0
	s_branch .LBB70_429
.LBB70_418:
	s_mov_b64 s[6:7], 0
	s_and_b64 vcc, exec, s[10:11]
	s_cbranch_vccnz .LBB70_426
	s_branch .LBB70_428
.LBB70_419:
	s_mov_b64 s[6:7], 0
.LBB70_420:
	s_and_b64 vcc, exec, s[10:11]
	s_cbranch_vccz .LBB70_425
; %bb.421:
	v_mov_b32_e32 v3, 44
	v_cmp_eq_u16_sdwa s[10:11], s33, v3 src0_sel:BYTE_0 src1_sel:DWORD
	s_mov_b64 s[6:7], -1
	s_and_b64 vcc, exec, s[10:11]
	s_cbranch_vccz .LBB70_425
; %bb.422:
	s_bfe_u32 s6, s2, 0x80017
	s_cmpk_eq_i32 s6, 0xff
	v_mov_b32_e32 v3, 0xff
	s_cbranch_scc1 .LBB70_424
; %bb.423:
	s_lshr_b32 s14, s2, 23
	s_bitcmp1_b32 s2, 22
	s_cselect_b64 s[10:11], -1, 0
	s_and_b32 s7, s2, 0x3fffff
	s_or_b32 s6, s6, s7
	s_cmp_lg_u32 s6, 0
	s_cselect_b64 s[6:7], -1, 0
	s_and_b64 s[6:7], s[10:11], s[6:7]
	v_cndmask_b32_e64 v3, 0, 1, s[6:7]
	v_add_u32_e32 v3, s14, v3
.LBB70_424:
	s_mov_b64 s[6:7], 0
	s_mov_b64 s[14:15], -1
	global_store_byte v[0:1], v3, off
.LBB70_425:
	s_branch .LBB70_428
.LBB70_426:
	v_mov_b32_e32 v3, 29
	v_cmp_eq_u16_sdwa s[10:11], s33, v3 src0_sel:BYTE_0 src1_sel:DWORD
	s_mov_b64 s[6:7], -1
	s_and_b64 vcc, exec, s[10:11]
	s_cbranch_vccz .LBB70_428
; %bb.427:
	v_trunc_f32_e32 v3, s2
	v_mul_f32_e32 v4, 0x2f800000, v3
	v_floor_f32_e32 v4, v4
	v_fmac_f32_e32 v3, 0xcf800000, v4
	v_cvt_u32_f32_e32 v5, v4
	v_cvt_u32_f32_e32 v4, v3
	s_mov_b64 s[6:7], 0
	s_mov_b64 s[14:15], -1
	s_mov_b64 s[10:11], 0
	global_store_dwordx2 v[0:1], v[4:5], off
	s_branch .LBB70_429
.LBB70_428:
	s_mov_b64 s[10:11], 0
.LBB70_429:
	s_and_b64 vcc, exec, s[10:11]
	s_cbranch_vccz .LBB70_447
; %bb.430:
	v_mov_b32_e32 v3, 27
	v_cmp_lt_i16_sdwa s[14:15], s33, v3 src0_sel:BYTE_0 src1_sel:DWORD
	s_mov_b64 s[10:11], -1
	s_and_b64 vcc, exec, s[14:15]
	s_cbranch_vccnz .LBB70_436
; %bb.431:
	v_cmp_gt_i16_sdwa s[14:15], s33, v3 src0_sel:BYTE_0 src1_sel:DWORD
	s_and_b64 vcc, exec, s[14:15]
	s_cbranch_vccz .LBB70_433
; %bb.432:
	v_cvt_u32_f32_e32 v3, s2
	s_mov_b64 s[10:11], 0
	global_store_dword v[0:1], v3, off
.LBB70_433:
	s_andn2_b64 vcc, exec, s[10:11]
	s_cbranch_vccnz .LBB70_435
; %bb.434:
	v_cvt_u32_f32_e32 v3, s2
	global_store_short v[0:1], v3, off
.LBB70_435:
	s_mov_b64 s[10:11], 0
.LBB70_436:
	s_andn2_b64 vcc, exec, s[10:11]
	s_cbranch_vccnz .LBB70_446
; %bb.437:
	s_and_b32 s10, s2, 0x7fffffff
	s_cmp_gt_u32 s10, 0x437fffff
	v_mov_b32_e32 v4, 0x80
	s_cbranch_scc1 .LBB70_445
; %bb.438:
	s_cmp_gt_u32 s10, 0x3bffffff
	s_cbranch_scc0 .LBB70_440
; %bb.439:
	s_bfe_u32 s10, s2, 0x10014
	s_add_i32 s10, s2, s10
	s_add_i32 s10, s10, 0x487ffff
	s_lshr_b32 s16, s10, 20
	s_mov_b64 s[14:15], 0
	s_mov_b64 s[10:11], -1
	s_branch .LBB70_441
.LBB70_440:
	s_mov_b64 s[14:15], -1
	s_mov_b64 s[10:11], 0
                                        ; implicit-def: $sgpr16
.LBB70_441:
	s_andn2_b64 vcc, exec, s[14:15]
	v_mov_b32_e32 v3, s16
                                        ; implicit-def: $sgpr14
	s_cbranch_vccnz .LBB70_443
; %bb.442:
	v_mov_b32_e32 v3, 0x46000000
	v_add_f32_e64 v3, |s2|, v3
	v_and_b32_e32 v3, 0xff, v3
	s_mov_b32 s14, 0
	v_cmp_ne_u32_e64 s[10:11], 0, v3
.LBB70_443:
	s_andn2_b64 vcc, exec, s[10:11]
	v_mov_b32_e32 v4, s14
	s_cbranch_vccnz .LBB70_445
; %bb.444:
	s_lshr_b32 s10, s2, 24
	s_and_b32 s10, s10, 0x80
	v_or_b32_e32 v4, s10, v3
.LBB70_445:
	global_store_byte v[0:1], v4, off
.LBB70_446:
	s_mov_b64 s[14:15], -1
.LBB70_447:
	s_mov_b64 s[10:11], 0
.LBB70_448:
	s_and_b64 vcc, exec, s[10:11]
	s_cbranch_vccz .LBB70_494
; %bb.449:
	v_mov_b32_e32 v3, 22
	v_cmp_gt_i16_sdwa s[12:13], s33, v3 src0_sel:BYTE_0 src1_sel:DWORD
	s_mov_b64 s[10:11], -1
	s_and_b64 vcc, exec, s[12:13]
	s_cbranch_vccz .LBB70_487
; %bb.450:
	v_mov_b32_e32 v3, 24
	v_cmp_lt_i16_sdwa s[12:13], s33, v3 src0_sel:BYTE_0 src1_sel:DWORD
	s_and_b64 vcc, exec, s[12:13]
	s_cbranch_vccnz .LBB70_474
; %bb.451:
	v_cmp_gt_i16_sdwa s[12:13], s33, v3 src0_sel:BYTE_0 src1_sel:DWORD
	s_and_b64 vcc, exec, s[12:13]
	s_cbranch_vccz .LBB70_461
; %bb.452:
	s_and_b32 s10, s2, 0x7fffffff
	s_cmp_gt_u32 s10, 0x477fffff
	v_mov_b32_e32 v4, 0x80
	s_cbranch_scc1 .LBB70_460
; %bb.453:
	s_cmp_gt_u32 s10, 0x37ffffff
	s_cbranch_scc0 .LBB70_455
; %bb.454:
	s_bfe_u32 s10, s2, 0x10015
	s_add_i32 s10, s2, s10
	s_add_i32 s10, s10, 0x88fffff
	s_lshr_b32 s14, s10, 21
	s_mov_b64 s[12:13], 0
	s_mov_b64 s[10:11], -1
	s_branch .LBB70_456
.LBB70_455:
	s_mov_b64 s[12:13], -1
	s_mov_b64 s[10:11], 0
                                        ; implicit-def: $sgpr14
.LBB70_456:
	s_andn2_b64 vcc, exec, s[12:13]
	v_mov_b32_e32 v3, s14
                                        ; implicit-def: $sgpr12
	s_cbranch_vccnz .LBB70_458
; %bb.457:
	v_mov_b32_e32 v3, 0x42800000
	v_add_f32_e64 v3, |s2|, v3
	v_and_b32_e32 v3, 0xff, v3
	s_mov_b32 s12, 0
	v_cmp_ne_u32_e64 s[10:11], 0, v3
.LBB70_458:
	s_andn2_b64 vcc, exec, s[10:11]
	v_mov_b32_e32 v4, s12
	s_cbranch_vccnz .LBB70_460
; %bb.459:
	s_lshr_b32 s10, s2, 24
	s_and_b32 s10, s10, 0x80
	v_or_b32_e32 v4, s10, v3
.LBB70_460:
	s_mov_b64 s[10:11], 0
	global_store_byte v[0:1], v4, off
.LBB70_461:
	s_and_b64 vcc, exec, s[10:11]
	s_cbranch_vccz .LBB70_473
; %bb.462:
	s_and_b32 s12, s2, 0x7fffffff
	s_cmp_lt_u32 s12, 0x43f00000
	s_cbranch_scc0 .LBB70_465
; %bb.463:
	s_cmp_gt_u32 s12, 0x3c7fffff
	s_cbranch_scc0 .LBB70_466
; %bb.464:
	s_bfe_u32 s10, s2, 0x10014
	s_add_i32 s10, s2, s10
	s_add_i32 s10, s10, 0x407ffff
	s_lshr_b32 s11, s10, 20
	s_and_b32 s10, s10, 0xff00000
	s_cmp_lg_u32 s10, 0x7f00000
	s_cselect_b32 s13, s11, 0x7e
	s_mov_b64 s[10:11], 0
	s_branch .LBB70_467
.LBB70_465:
	s_mov_b64 s[10:11], -1
                                        ; implicit-def: $vgpr3
	s_branch .LBB70_470
.LBB70_466:
	s_mov_b64 s[10:11], -1
                                        ; implicit-def: $sgpr13
.LBB70_467:
	s_andn2_b64 vcc, exec, s[10:11]
	v_mov_b32_e32 v3, s13
	s_cbranch_vccnz .LBB70_469
; %bb.468:
	v_mov_b32_e32 v3, 0x46800000
	v_add_f32_e64 v3, |s2|, v3
.LBB70_469:
	s_mov_b64 s[10:11], 0
.LBB70_470:
	s_andn2_b64 vcc, exec, s[10:11]
	s_cbranch_vccnz .LBB70_472
; %bb.471:
	s_cmp_gt_u32 s12, 0x7f800000
	s_movk_i32 s10, 0x7f
	s_cselect_b32 s10, s10, 0x7e
	v_mov_b32_e32 v3, s10
.LBB70_472:
	s_lshr_b32 s10, s2, 24
	s_and_b32 s10, s10, 0x80
	v_or_b32_e32 v3, s10, v3
	global_store_byte v[0:1], v3, off
.LBB70_473:
	s_mov_b64 s[10:11], 0
.LBB70_474:
	s_andn2_b64 vcc, exec, s[10:11]
	s_cbranch_vccnz .LBB70_486
; %bb.475:
	s_and_b32 s12, s2, 0x7fffffff
	s_cmp_lt_u32 s12, 0x47800000
	s_cbranch_scc0 .LBB70_478
; %bb.476:
	s_cmp_gt_u32 s12, 0x387fffff
	s_cbranch_scc0 .LBB70_479
; %bb.477:
	s_bfe_u32 s10, s2, 0x10015
	s_add_i32 s10, s2, s10
	s_add_i32 s10, s10, 0x80fffff
	s_lshr_b32 s13, s10, 21
	s_mov_b64 s[10:11], 0
	s_branch .LBB70_480
.LBB70_478:
	s_mov_b64 s[10:11], -1
                                        ; implicit-def: $vgpr3
	s_branch .LBB70_483
.LBB70_479:
	s_mov_b64 s[10:11], -1
                                        ; implicit-def: $sgpr13
.LBB70_480:
	s_andn2_b64 vcc, exec, s[10:11]
	v_mov_b32_e32 v3, s13
	s_cbranch_vccnz .LBB70_482
; %bb.481:
	v_mov_b32_e32 v3, 0x43000000
	v_add_f32_e64 v3, |s2|, v3
.LBB70_482:
	s_mov_b64 s[10:11], 0
.LBB70_483:
	s_andn2_b64 vcc, exec, s[10:11]
	s_cbranch_vccnz .LBB70_485
; %bb.484:
	s_cmp_gt_u32 s12, 0x7f800000
	s_movk_i32 s10, 0x7f
	s_cselect_b32 s10, s10, 0x7c
	v_mov_b32_e32 v3, s10
.LBB70_485:
	s_lshr_b32 s10, s2, 24
	s_and_b32 s10, s10, 0x80
	v_or_b32_e32 v3, s10, v3
	global_store_byte v[0:1], v3, off
.LBB70_486:
	s_mov_b64 s[10:11], 0
	s_mov_b64 s[14:15], -1
.LBB70_487:
	s_andn2_b64 vcc, exec, s[10:11]
	s_mov_b64 s[12:13], 0
	s_cbranch_vccnz .LBB70_494
; %bb.488:
	v_mov_b32_e32 v3, 14
	v_cmp_gt_i16_sdwa s[12:13], s33, v3 src0_sel:BYTE_0 src1_sel:DWORD
	s_mov_b64 s[10:11], -1
	s_and_b64 vcc, exec, s[12:13]
	s_cbranch_vccz .LBB70_492
; %bb.489:
	v_mov_b32_e32 v3, 15
	v_cmp_eq_u16_sdwa s[10:11], s33, v3 src0_sel:BYTE_0 src1_sel:DWORD
	s_mov_b64 s[6:7], -1
	s_and_b64 vcc, exec, s[10:11]
	s_cbranch_vccz .LBB70_491
; %bb.490:
	s_bfe_u32 s6, s2, 0x10010
	s_add_i32 s6, s2, s6
	s_addk_i32 s6, 0x7fff
	s_lshr_b32 s10, s6, 16
	v_cmp_o_f32_e64 s[6:7], s2, s2
	s_and_b64 s[6:7], s[6:7], exec
	s_cselect_b32 s6, s10, 0x7fc0
	v_mov_b32_e32 v3, s6
	global_store_short v[0:1], v3, off
	s_mov_b64 s[6:7], 0
	s_mov_b64 s[14:15], -1
.LBB70_491:
	s_mov_b64 s[10:11], 0
.LBB70_492:
	s_mov_b64 s[12:13], 0
	s_and_b64 vcc, exec, s[10:11]
	s_cbranch_vccz .LBB70_494
; %bb.493:
	v_mov_b32_e32 v3, 11
	v_cmp_ne_u16_sdwa s[6:7], s33, v3 src0_sel:BYTE_0 src1_sel:DWORD
	s_mov_b64 s[12:13], -1
.LBB70_494:
	s_and_b64 vcc, exec, s[6:7]
	s_mov_b64 s[10:11], s[0:1]
	s_cbranch_vccnz .LBB70_547
; %bb.495:
	s_andn2_b64 vcc, exec, s[12:13]
	s_cbranch_vccnz .LBB70_497
.LBB70_496:
	s_or_b32 s6, s2, s3
	s_bitset0_b32 s6, 31
	s_cmp_lg_u32 s6, 0
	s_cselect_b64 s[6:7], -1, 0
	v_cndmask_b32_e64 v3, 0, 1, s[6:7]
	s_mov_b64 s[14:15], -1
	global_store_byte v[0:1], v3, off
.LBB70_497:
	s_branch .LBB70_416
.LBB70_498:
	v_mov_b32_e32 v3, 5
	v_cmp_lt_i16_sdwa s[12:13], s33, v3 src0_sel:BYTE_0 src1_sel:DWORD
	s_mov_b64 s[6:7], -1
	s_and_b64 vcc, exec, s[12:13]
	s_cbranch_vccnz .LBB70_519
; %bb.499:
	v_mov_b32_e32 v3, 8
	v_cmp_lt_i16_sdwa s[12:13], s33, v3 src0_sel:BYTE_0 src1_sel:DWORD
	s_and_b64 vcc, exec, s[12:13]
	s_cbranch_vccnz .LBB70_509
; %bb.500:
	v_mov_b32_e32 v3, 9
	v_cmp_lt_i16_sdwa s[12:13], s33, v3 src0_sel:BYTE_0 src1_sel:DWORD
	s_and_b64 vcc, exec, s[12:13]
	s_cbranch_vccnz .LBB70_506
; %bb.501:
	v_cmp_gt_i16_sdwa s[12:13], s33, v3 src0_sel:BYTE_0 src1_sel:DWORD
	s_and_b64 vcc, exec, s[12:13]
	s_cbranch_vccz .LBB70_503
; %bb.502:
	v_cvt_f64_f32_e32 v[4:5], s2
	v_cvt_f64_f32_e32 v[6:7], s3
	global_store_dwordx4 v[0:1], v[4:7], off
	s_mov_b64 s[6:7], 0
.LBB70_503:
	s_andn2_b64 vcc, exec, s[6:7]
	s_cbranch_vccnz .LBB70_505
; %bb.504:
	v_pk_mov_b32 v[4:5], s[2:3], s[2:3] op_sel:[0,1]
	global_store_dwordx2 v[0:1], v[4:5], off
.LBB70_505:
	s_mov_b64 s[6:7], 0
.LBB70_506:
	s_andn2_b64 vcc, exec, s[6:7]
	s_cbranch_vccnz .LBB70_508
; %bb.507:
	v_cvt_f16_f32_e32 v3, s2
	v_cvt_f16_f32_sdwa v4, s3 dst_sel:WORD_1 dst_unused:UNUSED_PAD src0_sel:DWORD
	v_or_b32_e32 v3, v4, v3
	global_store_dword v[0:1], v3, off
.LBB70_508:
	s_mov_b64 s[6:7], 0
.LBB70_509:
	s_andn2_b64 vcc, exec, s[6:7]
	s_cbranch_vccnz .LBB70_518
; %bb.510:
	v_mov_b32_e32 v3, 6
	v_cmp_lt_i16_sdwa s[12:13], s33, v3 src0_sel:BYTE_0 src1_sel:DWORD
	s_mov_b64 s[6:7], -1
	s_and_b64 vcc, exec, s[12:13]
	s_cbranch_vccnz .LBB70_516
; %bb.511:
	v_cmp_gt_i16_sdwa s[12:13], s33, v3 src0_sel:BYTE_0 src1_sel:DWORD
	s_and_b64 vcc, exec, s[12:13]
	s_cbranch_vccz .LBB70_513
; %bb.512:
	v_cvt_f64_f32_e32 v[4:5], s2
	global_store_dwordx2 v[0:1], v[4:5], off
	s_mov_b64 s[6:7], 0
.LBB70_513:
	s_andn2_b64 vcc, exec, s[6:7]
	s_cbranch_vccnz .LBB70_515
; %bb.514:
	v_mov_b32_e32 v3, s2
	global_store_dword v[0:1], v3, off
.LBB70_515:
	s_mov_b64 s[6:7], 0
.LBB70_516:
	s_andn2_b64 vcc, exec, s[6:7]
	s_cbranch_vccnz .LBB70_518
; %bb.517:
	v_cvt_f16_f32_e32 v3, s2
	global_store_short v[0:1], v3, off
.LBB70_518:
	s_mov_b64 s[6:7], 0
.LBB70_519:
	s_andn2_b64 vcc, exec, s[6:7]
	s_cbranch_vccnz .LBB70_535
; %bb.520:
	v_mov_b32_e32 v3, 2
	v_cmp_lt_i16_sdwa s[12:13], s33, v3 src0_sel:BYTE_0 src1_sel:DWORD
	s_mov_b64 s[6:7], -1
	s_and_b64 vcc, exec, s[12:13]
	s_cbranch_vccnz .LBB70_530
; %bb.521:
	v_mov_b32_e32 v3, 3
	v_cmp_lt_i16_sdwa s[12:13], s33, v3 src0_sel:BYTE_0 src1_sel:DWORD
	s_and_b64 vcc, exec, s[12:13]
	s_cbranch_vccnz .LBB70_527
; %bb.522:
	v_cmp_gt_i16_sdwa s[12:13], s33, v3 src0_sel:BYTE_0 src1_sel:DWORD
	s_and_b64 vcc, exec, s[12:13]
	s_cbranch_vccz .LBB70_524
; %bb.523:
	v_trunc_f32_e32 v3, s2
	s_mov_b32 s6, 0x2f800000
	v_mul_f32_e64 v4, |v3|, s6
	v_floor_f32_e32 v4, v4
	s_mov_b32 s6, 0xcf800000
	v_fma_f32 v5, v4, s6, |v3|
	v_cvt_u32_f32_e32 v5, v5
	v_cvt_u32_f32_e32 v4, v4
	v_ashrrev_i32_e32 v3, 31, v3
	s_mov_b64 s[6:7], 0
	v_xor_b32_e32 v5, v5, v3
	v_xor_b32_e32 v6, v4, v3
	v_sub_co_u32_e32 v4, vcc, v5, v3
	v_subb_co_u32_e32 v5, vcc, v6, v3, vcc
	global_store_dwordx2 v[0:1], v[4:5], off
.LBB70_524:
	s_andn2_b64 vcc, exec, s[6:7]
	s_cbranch_vccnz .LBB70_526
; %bb.525:
	v_cvt_i32_f32_e32 v3, s2
	global_store_dword v[0:1], v3, off
.LBB70_526:
	s_mov_b64 s[6:7], 0
.LBB70_527:
	s_andn2_b64 vcc, exec, s[6:7]
	s_cbranch_vccnz .LBB70_529
; %bb.528:
	v_cvt_i32_f32_e32 v3, s2
	global_store_short v[0:1], v3, off
.LBB70_529:
	s_mov_b64 s[6:7], 0
.LBB70_530:
	s_andn2_b64 vcc, exec, s[6:7]
	s_cbranch_vccnz .LBB70_535
; %bb.531:
	v_mov_b32_e32 v3, 0
	v_cmp_gt_i16_sdwa s[12:13], s33, v3 src0_sel:BYTE_0 src1_sel:DWORD
	s_mov_b64 s[6:7], -1
	s_and_b64 vcc, exec, s[12:13]
	s_cbranch_vccz .LBB70_533
; %bb.532:
	v_cvt_i32_f32_e32 v3, s2
	s_mov_b64 s[6:7], 0
	global_store_byte v[0:1], v3, off
.LBB70_533:
	s_andn2_b64 vcc, exec, s[6:7]
	s_cbranch_vccnz .LBB70_535
; %bb.534:
	v_trunc_f32_e32 v3, s2
	s_mov_b32 s6, 0x2f800000
	v_mul_f32_e64 v4, |v3|, s6
	v_floor_f32_e32 v4, v4
	s_mov_b32 s6, 0xcf800000
	v_fma_f32 v4, v4, s6, |v3|
	v_cvt_u32_f32_e32 v4, v4
	v_ashrrev_i32_e32 v3, 31, v3
	v_xor_b32_e32 v4, v4, v3
	v_sub_u32_e32 v3, v4, v3
	global_store_byte v[0:1], v3, off
.LBB70_535:
.LBB70_536:
	s_lshl_b32 s18, s52, 7
	v_add_u32_e32 v2, s18, v2
	v_ashrrev_i32_e32 v1, 31, v2
	v_mov_b32_e32 v3, s9
	v_add_co_u32_e32 v0, vcc, s8, v2
	v_addc_co_u32_e32 v1, vcc, v3, v1, vcc
	v_mov_b32_e32 v3, 11
	v_cmp_lt_i16_sdwa s[6:7], s33, v3 src0_sel:BYTE_0 src1_sel:DWORD
	s_and_b64 vcc, exec, s[6:7]
	s_cbranch_vccnz .LBB70_543
; %bb.537:
	v_mov_b32_e32 v3, 25
	v_cmp_gt_i16_sdwa s[6:7], s33, v3 src0_sel:BYTE_0 src1_sel:DWORD
	s_mov_b64 s[16:17], -1
	s_mov_b64 s[12:13], 0
	s_and_b64 vcc, exec, s[6:7]
	s_mov_b64 s[14:15], 0
	s_mov_b64 s[6:7], 0
	s_cbranch_vccz .LBB70_578
; %bb.538:
	v_mov_b32_e32 v3, 28
	v_cmp_gt_i16_sdwa s[6:7], s33, v3 src0_sel:BYTE_0 src1_sel:DWORD
	s_and_b64 vcc, exec, s[6:7]
	s_cbranch_vccz .LBB70_545
; %bb.539:
	v_mov_b32_e32 v3, 43
	v_cmp_gt_i16_sdwa s[6:7], s33, v3 src0_sel:BYTE_0 src1_sel:DWORD
	s_and_b64 vcc, exec, s[6:7]
	;; [unrolled: 5-line block ×3, first 2 shown]
	s_cbranch_vccz .LBB70_548
; %bb.541:
	v_mov_b32_e32 v3, 46
	v_cmp_eq_u16_sdwa s[14:15], s33, v3 src0_sel:BYTE_0 src1_sel:DWORD
	s_mov_b64 s[6:7], -1
	s_mov_b64 s[16:17], 0
	s_and_b64 vcc, exec, s[14:15]
	s_mov_b64 s[14:15], 0
	s_cbranch_vccz .LBB70_549
; %bb.542:
	s_bfe_u32 s6, s2, 0x10010
	s_add_i32 s6, s2, s6
	s_addk_i32 s6, 0x7fff
	s_lshr_b32 s14, s6, 16
	s_bfe_u32 s6, s3, 0x10010
	s_add_i32 s6, s3, s6
	s_addk_i32 s6, 0x7fff
	s_and_b32 s15, s6, 0xffff0000
	v_cmp_o_f32_e64 s[6:7], s3, s3
	s_and_b64 s[6:7], s[6:7], exec
	v_cmp_o_f32_e64 s[6:7], s2, s2
	s_cselect_b32 s15, s15, 0x7fc00000
	s_and_b64 s[6:7], s[6:7], exec
	s_cselect_b32 s6, s14, 0x7fc0
	s_or_b32 s6, s15, s6
	v_mov_b32_e32 v3, s6
	global_store_dword v[0:1], v3, off
	s_mov_b64 s[6:7], 0
	s_mov_b64 s[14:15], -1
	s_branch .LBB70_549
.LBB70_543:
	s_mov_b64 s[14:15], 0
	s_cbranch_execnz .LBB70_628
.LBB70_544:
	s_andn2_b64 vcc, exec, s[14:15]
	s_cbranch_vccz .LBB70_666
	s_branch .LBB70_840
.LBB70_545:
	s_mov_b64 s[6:7], 0
	s_branch .LBB70_559
.LBB70_546:
	s_mov_b64 s[6:7], 0
	s_branch .LBB70_555
.LBB70_547:
	s_or_b64 s[10:11], s[0:1], exec
	s_trap 2
	s_cbranch_execz .LBB70_496
	s_branch .LBB70_497
.LBB70_548:
	s_mov_b64 s[6:7], 0
.LBB70_549:
	s_and_b64 vcc, exec, s[16:17]
	s_cbranch_vccz .LBB70_554
; %bb.550:
	v_mov_b32_e32 v3, 44
	v_cmp_eq_u16_sdwa s[16:17], s33, v3 src0_sel:BYTE_0 src1_sel:DWORD
	s_mov_b64 s[6:7], -1
	s_and_b64 vcc, exec, s[16:17]
	s_cbranch_vccz .LBB70_554
; %bb.551:
	s_bfe_u32 s6, s2, 0x80017
	s_cmpk_eq_i32 s6, 0xff
	v_mov_b32_e32 v3, 0xff
	s_cbranch_scc1 .LBB70_553
; %bb.552:
	s_lshr_b32 s16, s2, 23
	s_bitcmp1_b32 s2, 22
	s_cselect_b64 s[14:15], -1, 0
	s_and_b32 s7, s2, 0x3fffff
	s_or_b32 s6, s6, s7
	s_cmp_lg_u32 s6, 0
	s_cselect_b64 s[6:7], -1, 0
	s_and_b64 s[6:7], s[14:15], s[6:7]
	v_cndmask_b32_e64 v3, 0, 1, s[6:7]
	v_add_u32_e32 v3, s16, v3
.LBB70_553:
	s_mov_b64 s[6:7], 0
	s_mov_b64 s[14:15], -1
	global_store_byte v[0:1], v3, off
.LBB70_554:
	s_mov_b64 s[16:17], 0
.LBB70_555:
	s_and_b64 vcc, exec, s[16:17]
	s_cbranch_vccz .LBB70_558
; %bb.556:
	v_mov_b32_e32 v3, 29
	v_cmp_eq_u16_sdwa s[16:17], s33, v3 src0_sel:BYTE_0 src1_sel:DWORD
	s_mov_b64 s[6:7], -1
	s_and_b64 vcc, exec, s[16:17]
	s_cbranch_vccz .LBB70_558
; %bb.557:
	v_trunc_f32_e32 v3, s2
	v_mul_f32_e32 v4, 0x2f800000, v3
	v_floor_f32_e32 v4, v4
	v_fmac_f32_e32 v3, 0xcf800000, v4
	v_cvt_u32_f32_e32 v5, v4
	v_cvt_u32_f32_e32 v4, v3
	s_mov_b64 s[6:7], 0
	s_mov_b64 s[14:15], -1
	s_mov_b64 s[16:17], 0
	global_store_dwordx2 v[0:1], v[4:5], off
	s_branch .LBB70_559
.LBB70_558:
	s_mov_b64 s[16:17], 0
.LBB70_559:
	s_and_b64 vcc, exec, s[16:17]
	s_cbranch_vccz .LBB70_577
; %bb.560:
	v_mov_b32_e32 v3, 27
	v_cmp_lt_i16_sdwa s[16:17], s33, v3 src0_sel:BYTE_0 src1_sel:DWORD
	s_mov_b64 s[14:15], -1
	s_and_b64 vcc, exec, s[16:17]
	s_cbranch_vccnz .LBB70_566
; %bb.561:
	v_cmp_gt_i16_sdwa s[16:17], s33, v3 src0_sel:BYTE_0 src1_sel:DWORD
	s_and_b64 vcc, exec, s[16:17]
	s_cbranch_vccz .LBB70_563
; %bb.562:
	v_cvt_u32_f32_e32 v3, s2
	s_mov_b64 s[14:15], 0
	global_store_dword v[0:1], v3, off
.LBB70_563:
	s_andn2_b64 vcc, exec, s[14:15]
	s_cbranch_vccnz .LBB70_565
; %bb.564:
	v_cvt_u32_f32_e32 v3, s2
	global_store_short v[0:1], v3, off
.LBB70_565:
	s_mov_b64 s[14:15], 0
.LBB70_566:
	s_andn2_b64 vcc, exec, s[14:15]
	s_cbranch_vccnz .LBB70_576
; %bb.567:
	s_and_b32 s14, s2, 0x7fffffff
	s_cmp_gt_u32 s14, 0x437fffff
	v_mov_b32_e32 v4, 0x80
	s_cbranch_scc1 .LBB70_575
; %bb.568:
	s_cmp_gt_u32 s14, 0x3bffffff
	s_cbranch_scc0 .LBB70_570
; %bb.569:
	s_bfe_u32 s14, s2, 0x10014
	s_add_i32 s14, s2, s14
	s_add_i32 s14, s14, 0x487ffff
	s_lshr_b32 s19, s14, 20
	s_mov_b64 s[16:17], 0
	s_mov_b64 s[14:15], -1
	s_branch .LBB70_571
.LBB70_570:
	s_mov_b64 s[16:17], -1
	s_mov_b64 s[14:15], 0
                                        ; implicit-def: $sgpr19
.LBB70_571:
	s_andn2_b64 vcc, exec, s[16:17]
	v_mov_b32_e32 v3, s19
                                        ; implicit-def: $sgpr16
	s_cbranch_vccnz .LBB70_573
; %bb.572:
	v_mov_b32_e32 v3, 0x46000000
	v_add_f32_e64 v3, |s2|, v3
	v_and_b32_e32 v3, 0xff, v3
	s_mov_b32 s16, 0
	v_cmp_ne_u32_e64 s[14:15], 0, v3
.LBB70_573:
	s_andn2_b64 vcc, exec, s[14:15]
	v_mov_b32_e32 v4, s16
	s_cbranch_vccnz .LBB70_575
; %bb.574:
	s_lshr_b32 s14, s2, 24
	s_and_b32 s14, s14, 0x80
	v_or_b32_e32 v4, s14, v3
.LBB70_575:
	global_store_byte v[0:1], v4, off
.LBB70_576:
	s_mov_b64 s[14:15], -1
.LBB70_577:
	s_mov_b64 s[16:17], 0
.LBB70_578:
	s_and_b64 vcc, exec, s[16:17]
	s_cbranch_vccz .LBB70_624
; %bb.579:
	v_mov_b32_e32 v3, 22
	v_cmp_gt_i16_sdwa s[16:17], s33, v3 src0_sel:BYTE_0 src1_sel:DWORD
	s_mov_b64 s[12:13], -1
	s_and_b64 vcc, exec, s[16:17]
	s_cbranch_vccz .LBB70_617
; %bb.580:
	v_mov_b32_e32 v3, 24
	v_cmp_lt_i16_sdwa s[14:15], s33, v3 src0_sel:BYTE_0 src1_sel:DWORD
	s_and_b64 vcc, exec, s[14:15]
	s_cbranch_vccnz .LBB70_604
; %bb.581:
	v_cmp_gt_i16_sdwa s[14:15], s33, v3 src0_sel:BYTE_0 src1_sel:DWORD
	s_and_b64 vcc, exec, s[14:15]
	s_cbranch_vccz .LBB70_591
; %bb.582:
	s_and_b32 s12, s2, 0x7fffffff
	s_cmp_gt_u32 s12, 0x477fffff
	v_mov_b32_e32 v4, 0x80
	s_cbranch_scc1 .LBB70_590
; %bb.583:
	s_cmp_gt_u32 s12, 0x37ffffff
	s_cbranch_scc0 .LBB70_585
; %bb.584:
	s_bfe_u32 s12, s2, 0x10015
	s_add_i32 s12, s2, s12
	s_add_i32 s12, s12, 0x88fffff
	s_lshr_b32 s16, s12, 21
	s_mov_b64 s[14:15], 0
	s_mov_b64 s[12:13], -1
	s_branch .LBB70_586
.LBB70_585:
	s_mov_b64 s[14:15], -1
	s_mov_b64 s[12:13], 0
                                        ; implicit-def: $sgpr16
.LBB70_586:
	s_andn2_b64 vcc, exec, s[14:15]
	v_mov_b32_e32 v3, s16
                                        ; implicit-def: $sgpr14
	s_cbranch_vccnz .LBB70_588
; %bb.587:
	v_mov_b32_e32 v3, 0x42800000
	v_add_f32_e64 v3, |s2|, v3
	v_and_b32_e32 v3, 0xff, v3
	s_mov_b32 s14, 0
	v_cmp_ne_u32_e64 s[12:13], 0, v3
.LBB70_588:
	s_andn2_b64 vcc, exec, s[12:13]
	v_mov_b32_e32 v4, s14
	s_cbranch_vccnz .LBB70_590
; %bb.589:
	s_lshr_b32 s12, s2, 24
	s_and_b32 s12, s12, 0x80
	v_or_b32_e32 v4, s12, v3
.LBB70_590:
	s_mov_b64 s[12:13], 0
	global_store_byte v[0:1], v4, off
.LBB70_591:
	s_and_b64 vcc, exec, s[12:13]
	s_cbranch_vccz .LBB70_603
; %bb.592:
	s_and_b32 s14, s2, 0x7fffffff
	s_cmp_lt_u32 s14, 0x43f00000
	s_cbranch_scc0 .LBB70_595
; %bb.593:
	s_cmp_gt_u32 s14, 0x3c7fffff
	s_cbranch_scc0 .LBB70_596
; %bb.594:
	s_bfe_u32 s12, s2, 0x10014
	s_add_i32 s12, s2, s12
	s_add_i32 s12, s12, 0x407ffff
	s_lshr_b32 s13, s12, 20
	s_and_b32 s12, s12, 0xff00000
	s_cmp_lg_u32 s12, 0x7f00000
	s_cselect_b32 s15, s13, 0x7e
	s_mov_b64 s[12:13], 0
	s_branch .LBB70_597
.LBB70_595:
	s_mov_b64 s[12:13], -1
                                        ; implicit-def: $vgpr3
	s_branch .LBB70_600
.LBB70_596:
	s_mov_b64 s[12:13], -1
                                        ; implicit-def: $sgpr15
.LBB70_597:
	s_andn2_b64 vcc, exec, s[12:13]
	v_mov_b32_e32 v3, s15
	s_cbranch_vccnz .LBB70_599
; %bb.598:
	v_mov_b32_e32 v3, 0x46800000
	v_add_f32_e64 v3, |s2|, v3
.LBB70_599:
	s_mov_b64 s[12:13], 0
.LBB70_600:
	s_andn2_b64 vcc, exec, s[12:13]
	s_cbranch_vccnz .LBB70_602
; %bb.601:
	s_cmp_gt_u32 s14, 0x7f800000
	s_movk_i32 s12, 0x7f
	s_cselect_b32 s12, s12, 0x7e
	v_mov_b32_e32 v3, s12
.LBB70_602:
	s_lshr_b32 s12, s2, 24
	s_and_b32 s12, s12, 0x80
	v_or_b32_e32 v3, s12, v3
	global_store_byte v[0:1], v3, off
.LBB70_603:
	s_mov_b64 s[12:13], 0
.LBB70_604:
	s_andn2_b64 vcc, exec, s[12:13]
	s_cbranch_vccnz .LBB70_616
; %bb.605:
	s_and_b32 s14, s2, 0x7fffffff
	s_cmp_lt_u32 s14, 0x47800000
	s_cbranch_scc0 .LBB70_608
; %bb.606:
	s_cmp_gt_u32 s14, 0x387fffff
	s_cbranch_scc0 .LBB70_609
; %bb.607:
	s_bfe_u32 s12, s2, 0x10015
	s_add_i32 s12, s2, s12
	s_add_i32 s12, s12, 0x80fffff
	s_lshr_b32 s15, s12, 21
	s_mov_b64 s[12:13], 0
	s_branch .LBB70_610
.LBB70_608:
	s_mov_b64 s[12:13], -1
                                        ; implicit-def: $vgpr3
	s_branch .LBB70_613
.LBB70_609:
	s_mov_b64 s[12:13], -1
                                        ; implicit-def: $sgpr15
.LBB70_610:
	s_andn2_b64 vcc, exec, s[12:13]
	v_mov_b32_e32 v3, s15
	s_cbranch_vccnz .LBB70_612
; %bb.611:
	v_mov_b32_e32 v3, 0x43000000
	v_add_f32_e64 v3, |s2|, v3
.LBB70_612:
	s_mov_b64 s[12:13], 0
.LBB70_613:
	s_andn2_b64 vcc, exec, s[12:13]
	s_cbranch_vccnz .LBB70_615
; %bb.614:
	s_cmp_gt_u32 s14, 0x7f800000
	s_movk_i32 s12, 0x7f
	s_cselect_b32 s12, s12, 0x7c
	v_mov_b32_e32 v3, s12
.LBB70_615:
	s_lshr_b32 s12, s2, 24
	s_and_b32 s12, s12, 0x80
	v_or_b32_e32 v3, s12, v3
	global_store_byte v[0:1], v3, off
.LBB70_616:
	s_mov_b64 s[12:13], 0
	s_mov_b64 s[14:15], -1
.LBB70_617:
	s_andn2_b64 vcc, exec, s[12:13]
	s_mov_b64 s[12:13], 0
	s_cbranch_vccnz .LBB70_624
; %bb.618:
	v_mov_b32_e32 v3, 14
	v_cmp_gt_i16_sdwa s[12:13], s33, v3 src0_sel:BYTE_0 src1_sel:DWORD
	s_mov_b64 s[16:17], -1
	s_and_b64 vcc, exec, s[12:13]
	s_cbranch_vccz .LBB70_622
; %bb.619:
	v_mov_b32_e32 v3, 15
	v_cmp_eq_u16_sdwa s[12:13], s33, v3 src0_sel:BYTE_0 src1_sel:DWORD
	s_mov_b64 s[6:7], -1
	s_and_b64 vcc, exec, s[12:13]
	s_cbranch_vccz .LBB70_621
; %bb.620:
	s_bfe_u32 s6, s2, 0x10010
	s_add_i32 s6, s2, s6
	s_addk_i32 s6, 0x7fff
	s_lshr_b32 s12, s6, 16
	v_cmp_o_f32_e64 s[6:7], s2, s2
	s_and_b64 s[6:7], s[6:7], exec
	s_cselect_b32 s6, s12, 0x7fc0
	v_mov_b32_e32 v3, s6
	global_store_short v[0:1], v3, off
	s_mov_b64 s[6:7], 0
	s_mov_b64 s[14:15], -1
.LBB70_621:
	s_mov_b64 s[16:17], 0
.LBB70_622:
	s_mov_b64 s[12:13], 0
	s_and_b64 vcc, exec, s[16:17]
	s_cbranch_vccz .LBB70_624
; %bb.623:
	v_mov_b32_e32 v3, 11
	v_cmp_ne_u16_sdwa s[6:7], s33, v3 src0_sel:BYTE_0 src1_sel:DWORD
	s_mov_b64 s[12:13], -1
.LBB70_624:
	s_and_b64 vcc, exec, s[6:7]
	s_cbranch_vccnz .LBB70_707
; %bb.625:
	s_andn2_b64 vcc, exec, s[12:13]
	s_cbranch_vccnz .LBB70_627
.LBB70_626:
	s_or_b32 s6, s2, s3
	s_bitset0_b32 s6, 31
	s_cmp_lg_u32 s6, 0
	s_cselect_b64 s[6:7], -1, 0
	v_cndmask_b32_e64 v3, 0, 1, s[6:7]
	s_mov_b64 s[14:15], -1
	global_store_byte v[0:1], v3, off
.LBB70_627:
	s_branch .LBB70_544
.LBB70_628:
	v_mov_b32_e32 v3, 5
	v_cmp_lt_i16_sdwa s[12:13], s33, v3 src0_sel:BYTE_0 src1_sel:DWORD
	s_mov_b64 s[6:7], -1
	s_and_b64 vcc, exec, s[12:13]
	s_cbranch_vccnz .LBB70_649
; %bb.629:
	v_mov_b32_e32 v3, 8
	v_cmp_lt_i16_sdwa s[12:13], s33, v3 src0_sel:BYTE_0 src1_sel:DWORD
	s_and_b64 vcc, exec, s[12:13]
	s_cbranch_vccnz .LBB70_639
; %bb.630:
	v_mov_b32_e32 v3, 9
	v_cmp_lt_i16_sdwa s[12:13], s33, v3 src0_sel:BYTE_0 src1_sel:DWORD
	s_and_b64 vcc, exec, s[12:13]
	s_cbranch_vccnz .LBB70_636
; %bb.631:
	v_cmp_gt_i16_sdwa s[12:13], s33, v3 src0_sel:BYTE_0 src1_sel:DWORD
	s_and_b64 vcc, exec, s[12:13]
	s_cbranch_vccz .LBB70_633
; %bb.632:
	v_cvt_f64_f32_e32 v[4:5], s2
	v_cvt_f64_f32_e32 v[6:7], s3
	global_store_dwordx4 v[0:1], v[4:7], off
	s_mov_b64 s[6:7], 0
.LBB70_633:
	s_andn2_b64 vcc, exec, s[6:7]
	s_cbranch_vccnz .LBB70_635
; %bb.634:
	v_pk_mov_b32 v[4:5], s[2:3], s[2:3] op_sel:[0,1]
	global_store_dwordx2 v[0:1], v[4:5], off
.LBB70_635:
	s_mov_b64 s[6:7], 0
.LBB70_636:
	s_andn2_b64 vcc, exec, s[6:7]
	s_cbranch_vccnz .LBB70_638
; %bb.637:
	v_cvt_f16_f32_e32 v3, s2
	v_cvt_f16_f32_sdwa v4, s3 dst_sel:WORD_1 dst_unused:UNUSED_PAD src0_sel:DWORD
	v_or_b32_e32 v3, v4, v3
	global_store_dword v[0:1], v3, off
.LBB70_638:
	s_mov_b64 s[6:7], 0
.LBB70_639:
	s_andn2_b64 vcc, exec, s[6:7]
	s_cbranch_vccnz .LBB70_648
; %bb.640:
	v_mov_b32_e32 v3, 6
	v_cmp_lt_i16_sdwa s[12:13], s33, v3 src0_sel:BYTE_0 src1_sel:DWORD
	s_mov_b64 s[6:7], -1
	s_and_b64 vcc, exec, s[12:13]
	s_cbranch_vccnz .LBB70_646
; %bb.641:
	v_cmp_gt_i16_sdwa s[12:13], s33, v3 src0_sel:BYTE_0 src1_sel:DWORD
	s_and_b64 vcc, exec, s[12:13]
	s_cbranch_vccz .LBB70_643
; %bb.642:
	v_cvt_f64_f32_e32 v[4:5], s2
	global_store_dwordx2 v[0:1], v[4:5], off
	s_mov_b64 s[6:7], 0
.LBB70_643:
	s_andn2_b64 vcc, exec, s[6:7]
	s_cbranch_vccnz .LBB70_645
; %bb.644:
	v_mov_b32_e32 v3, s2
	global_store_dword v[0:1], v3, off
.LBB70_645:
	s_mov_b64 s[6:7], 0
.LBB70_646:
	s_andn2_b64 vcc, exec, s[6:7]
	s_cbranch_vccnz .LBB70_648
; %bb.647:
	v_cvt_f16_f32_e32 v3, s2
	global_store_short v[0:1], v3, off
.LBB70_648:
	s_mov_b64 s[6:7], 0
.LBB70_649:
	s_andn2_b64 vcc, exec, s[6:7]
	s_cbranch_vccnz .LBB70_665
; %bb.650:
	v_mov_b32_e32 v3, 2
	v_cmp_lt_i16_sdwa s[12:13], s33, v3 src0_sel:BYTE_0 src1_sel:DWORD
	s_mov_b64 s[6:7], -1
	s_and_b64 vcc, exec, s[12:13]
	s_cbranch_vccnz .LBB70_660
; %bb.651:
	v_mov_b32_e32 v3, 3
	v_cmp_lt_i16_sdwa s[12:13], s33, v3 src0_sel:BYTE_0 src1_sel:DWORD
	s_and_b64 vcc, exec, s[12:13]
	s_cbranch_vccnz .LBB70_657
; %bb.652:
	v_cmp_gt_i16_sdwa s[12:13], s33, v3 src0_sel:BYTE_0 src1_sel:DWORD
	s_and_b64 vcc, exec, s[12:13]
	s_cbranch_vccz .LBB70_654
; %bb.653:
	v_trunc_f32_e32 v3, s2
	s_mov_b32 s6, 0x2f800000
	v_mul_f32_e64 v4, |v3|, s6
	v_floor_f32_e32 v4, v4
	s_mov_b32 s6, 0xcf800000
	v_fma_f32 v5, v4, s6, |v3|
	v_cvt_u32_f32_e32 v5, v5
	v_cvt_u32_f32_e32 v4, v4
	v_ashrrev_i32_e32 v3, 31, v3
	s_mov_b64 s[6:7], 0
	v_xor_b32_e32 v5, v5, v3
	v_xor_b32_e32 v6, v4, v3
	v_sub_co_u32_e32 v4, vcc, v5, v3
	v_subb_co_u32_e32 v5, vcc, v6, v3, vcc
	global_store_dwordx2 v[0:1], v[4:5], off
.LBB70_654:
	s_andn2_b64 vcc, exec, s[6:7]
	s_cbranch_vccnz .LBB70_656
; %bb.655:
	v_cvt_i32_f32_e32 v3, s2
	global_store_dword v[0:1], v3, off
.LBB70_656:
	s_mov_b64 s[6:7], 0
.LBB70_657:
	s_andn2_b64 vcc, exec, s[6:7]
	s_cbranch_vccnz .LBB70_659
; %bb.658:
	v_cvt_i32_f32_e32 v3, s2
	global_store_short v[0:1], v3, off
.LBB70_659:
	s_mov_b64 s[6:7], 0
.LBB70_660:
	s_andn2_b64 vcc, exec, s[6:7]
	s_cbranch_vccnz .LBB70_665
; %bb.661:
	v_mov_b32_e32 v3, 0
	v_cmp_gt_i16_sdwa s[12:13], s33, v3 src0_sel:BYTE_0 src1_sel:DWORD
	s_mov_b64 s[6:7], -1
	s_and_b64 vcc, exec, s[12:13]
	s_cbranch_vccz .LBB70_663
; %bb.662:
	v_cvt_i32_f32_e32 v3, s2
	s_mov_b64 s[6:7], 0
	global_store_byte v[0:1], v3, off
.LBB70_663:
	s_andn2_b64 vcc, exec, s[6:7]
	s_cbranch_vccnz .LBB70_665
; %bb.664:
	v_trunc_f32_e32 v3, s2
	s_mov_b32 s6, 0x2f800000
	v_mul_f32_e64 v4, |v3|, s6
	v_floor_f32_e32 v4, v4
	s_mov_b32 s6, 0xcf800000
	v_fma_f32 v4, v4, s6, |v3|
	v_cvt_u32_f32_e32 v4, v4
	v_ashrrev_i32_e32 v3, 31, v3
	v_xor_b32_e32 v4, v4, v3
	v_sub_u32_e32 v3, v4, v3
	global_store_byte v[0:1], v3, off
.LBB70_665:
.LBB70_666:
	v_add_u32_e32 v2, s18, v2
	v_ashrrev_i32_e32 v1, 31, v2
	v_mov_b32_e32 v3, s9
	v_add_co_u32_e32 v0, vcc, s8, v2
	v_addc_co_u32_e32 v1, vcc, v3, v1, vcc
	v_mov_b32_e32 v3, 11
	v_cmp_lt_i16_sdwa s[6:7], s33, v3 src0_sel:BYTE_0 src1_sel:DWORD
	s_and_b64 vcc, exec, s[6:7]
	s_cbranch_vccnz .LBB70_673
; %bb.667:
	v_mov_b32_e32 v3, 25
	v_cmp_gt_i16_sdwa s[6:7], s33, v3 src0_sel:BYTE_0 src1_sel:DWORD
	s_mov_b64 s[16:17], -1
	s_mov_b64 s[12:13], 0
	s_and_b64 vcc, exec, s[6:7]
	s_mov_b64 s[14:15], 0
	s_mov_b64 s[6:7], 0
	s_cbranch_vccz .LBB70_738
; %bb.668:
	v_mov_b32_e32 v3, 28
	v_cmp_gt_i16_sdwa s[6:7], s33, v3 src0_sel:BYTE_0 src1_sel:DWORD
	s_and_b64 vcc, exec, s[6:7]
	s_cbranch_vccz .LBB70_705
; %bb.669:
	v_mov_b32_e32 v3, 43
	v_cmp_gt_i16_sdwa s[6:7], s33, v3 src0_sel:BYTE_0 src1_sel:DWORD
	s_and_b64 vcc, exec, s[6:7]
	;; [unrolled: 5-line block ×3, first 2 shown]
	s_cbranch_vccz .LBB70_708
; %bb.671:
	v_mov_b32_e32 v3, 46
	v_cmp_eq_u16_sdwa s[14:15], s33, v3 src0_sel:BYTE_0 src1_sel:DWORD
	s_mov_b64 s[6:7], -1
	s_mov_b64 s[16:17], 0
	s_and_b64 vcc, exec, s[14:15]
	s_mov_b64 s[14:15], 0
	s_cbranch_vccz .LBB70_709
; %bb.672:
	s_bfe_u32 s6, s2, 0x10010
	s_add_i32 s6, s2, s6
	s_addk_i32 s6, 0x7fff
	s_lshr_b32 s14, s6, 16
	s_bfe_u32 s6, s3, 0x10010
	s_add_i32 s6, s3, s6
	s_addk_i32 s6, 0x7fff
	s_and_b32 s15, s6, 0xffff0000
	v_cmp_o_f32_e64 s[6:7], s3, s3
	s_and_b64 s[6:7], s[6:7], exec
	v_cmp_o_f32_e64 s[6:7], s2, s2
	s_cselect_b32 s15, s15, 0x7fc00000
	s_and_b64 s[6:7], s[6:7], exec
	s_cselect_b32 s6, s14, 0x7fc0
	s_or_b32 s6, s15, s6
	v_mov_b32_e32 v3, s6
	global_store_dword v[0:1], v3, off
	s_mov_b64 s[6:7], 0
	s_mov_b64 s[14:15], -1
	s_branch .LBB70_709
.LBB70_673:
	s_mov_b64 s[14:15], 0
	s_cbranch_execnz .LBB70_802
.LBB70_674:
	s_andn2_b64 vcc, exec, s[14:15]
	s_cbranch_vccnz .LBB70_840
.LBB70_675:
	v_add_u32_e32 v0, s18, v2
	v_ashrrev_i32_e32 v1, 31, v0
	v_mov_b32_e32 v2, s9
	v_add_co_u32_e32 v0, vcc, s8, v0
	v_addc_co_u32_e32 v1, vcc, v2, v1, vcc
	v_mov_b32_e32 v2, 0xff
	v_and_b32_e32 v2, s33, v2
	v_cmp_gt_i16_e32 vcc, 11, v2
	s_cbranch_vccnz .LBB70_704
; %bb.676:
	v_cmp_lt_i16_e32 vcc, 25, v2
	s_mov_b64 s[12:13], -1
	s_mov_b64 s[8:9], 0
	s_mov_b64 s[6:7], 0
	s_cbranch_vccz .LBB70_752
; %bb.677:
	v_cmp_lt_i16_e32 vcc, 28, v2
	s_cbranch_vccz .LBB70_693
; %bb.678:
	v_cmp_lt_i16_e32 vcc, 43, v2
	;; [unrolled: 3-line block ×3, first 2 shown]
	s_cbranch_vccz .LBB70_683
; %bb.680:
	v_cmp_eq_u16_e32 vcc, 46, v2
	s_mov_b64 s[6:7], -1
	s_cbranch_vccz .LBB70_682
; %bb.681:
	s_bfe_u32 s6, s3, 0x10010
	s_bfe_u32 s7, s2, 0x10010
	s_add_i32 s6, s3, s6
	s_add_i32 s7, s2, s7
	s_addk_i32 s7, 0x7fff
	s_addk_i32 s6, 0x7fff
	s_and_b32 s12, s6, 0xffff0000
	s_lshr_b32 s13, s7, 16
	v_cmp_o_f32_e64 s[6:7], s2, s2
	s_and_b64 s[6:7], s[6:7], exec
	v_cmp_o_f32_e64 s[6:7], s3, s3
	s_cselect_b32 s13, s13, 0x7fc0
	s_and_b64 s[6:7], s[6:7], exec
	s_cselect_b32 s6, s12, 0x7fc00000
	s_or_b32 s6, s6, s13
	v_mov_b32_e32 v3, s6
	global_store_dword v[0:1], v3, off
	s_mov_b64 s[6:7], 0
.LBB70_682:
	s_mov_b64 s[12:13], 0
.LBB70_683:
	s_and_b64 vcc, exec, s[12:13]
	s_cbranch_vccz .LBB70_688
; %bb.684:
	v_cmp_eq_u16_e32 vcc, 44, v2
	s_mov_b64 s[6:7], -1
	s_cbranch_vccz .LBB70_688
; %bb.685:
	s_bfe_u32 s6, s2, 0x80017
	s_cmpk_eq_i32 s6, 0xff
	v_mov_b32_e32 v3, 0xff
	s_cbranch_scc1 .LBB70_687
; %bb.686:
	s_lshr_b32 s14, s2, 23
	s_bitcmp1_b32 s2, 22
	s_cselect_b64 s[12:13], -1, 0
	s_and_b32 s7, s2, 0x3fffff
	s_or_b32 s6, s6, s7
	s_cmp_lg_u32 s6, 0
	s_cselect_b64 s[6:7], -1, 0
	s_and_b64 s[6:7], s[12:13], s[6:7]
	v_cndmask_b32_e64 v3, 0, 1, s[6:7]
	v_add_u32_e32 v3, s14, v3
.LBB70_687:
	s_mov_b64 s[6:7], 0
	global_store_byte v[0:1], v3, off
.LBB70_688:
	s_mov_b64 s[12:13], 0
.LBB70_689:
	s_and_b64 vcc, exec, s[12:13]
	s_cbranch_vccz .LBB70_692
; %bb.690:
	v_cmp_eq_u16_e32 vcc, 29, v2
	s_mov_b64 s[6:7], -1
	s_cbranch_vccz .LBB70_692
; %bb.691:
	v_trunc_f32_e32 v3, s2
	v_mul_f32_e32 v4, 0x2f800000, v3
	v_floor_f32_e32 v4, v4
	v_fmac_f32_e32 v3, 0xcf800000, v4
	v_cvt_u32_f32_e32 v5, v4
	v_cvt_u32_f32_e32 v4, v3
	s_mov_b64 s[6:7], 0
	global_store_dwordx2 v[0:1], v[4:5], off
.LBB70_692:
	s_mov_b64 s[12:13], 0
.LBB70_693:
	s_and_b64 vcc, exec, s[12:13]
	s_cbranch_vccz .LBB70_751
; %bb.694:
	v_cmp_gt_i16_e32 vcc, 27, v2
	s_mov_b64 s[12:13], -1
	s_cbranch_vccnz .LBB70_700
; %bb.695:
	v_cvt_u32_f32_e32 v3, s2
	v_cmp_lt_i16_e32 vcc, 27, v2
	s_cbranch_vccz .LBB70_697
; %bb.696:
	global_store_dword v[0:1], v3, off
	s_mov_b64 s[12:13], 0
.LBB70_697:
	s_andn2_b64 vcc, exec, s[12:13]
	s_cbranch_vccnz .LBB70_699
; %bb.698:
	global_store_short v[0:1], v3, off
.LBB70_699:
	s_mov_b64 s[12:13], 0
.LBB70_700:
	s_andn2_b64 vcc, exec, s[12:13]
	s_cbranch_vccnz .LBB70_751
; %bb.701:
	s_and_b32 s12, s2, 0x7fffffff
	s_cmp_gt_u32 s12, 0x437fffff
	v_mov_b32_e32 v4, 0x80
	s_cbranch_scc1 .LBB70_750
; %bb.702:
	s_cmp_gt_u32 s12, 0x3bffffff
	s_cbranch_scc0 .LBB70_745
; %bb.703:
	s_bfe_u32 s12, s2, 0x10014
	s_add_i32 s12, s2, s12
	s_add_i32 s12, s12, 0x487ffff
	s_lshr_b32 s16, s12, 20
	s_mov_b64 s[14:15], 0
	s_mov_b64 s[12:13], -1
	s_branch .LBB70_746
.LBB70_704:
	s_mov_b64 s[8:9], 0
	s_mov_b64 s[6:7], -1
	s_branch .LBB70_841
.LBB70_705:
	s_mov_b64 s[6:7], 0
	s_branch .LBB70_719
.LBB70_706:
	s_mov_b64 s[6:7], 0
	s_branch .LBB70_715
.LBB70_707:
	s_trap 2
	s_or_b64 s[10:11], s[10:11], exec
	s_cbranch_execz .LBB70_626
	s_branch .LBB70_627
.LBB70_708:
	s_mov_b64 s[6:7], 0
.LBB70_709:
	s_and_b64 vcc, exec, s[16:17]
	s_cbranch_vccz .LBB70_714
; %bb.710:
	v_mov_b32_e32 v3, 44
	v_cmp_eq_u16_sdwa s[16:17], s33, v3 src0_sel:BYTE_0 src1_sel:DWORD
	s_mov_b64 s[6:7], -1
	s_and_b64 vcc, exec, s[16:17]
	s_cbranch_vccz .LBB70_714
; %bb.711:
	s_bfe_u32 s6, s2, 0x80017
	s_cmpk_eq_i32 s6, 0xff
	v_mov_b32_e32 v3, 0xff
	s_cbranch_scc1 .LBB70_713
; %bb.712:
	s_lshr_b32 s16, s2, 23
	s_bitcmp1_b32 s2, 22
	s_cselect_b64 s[14:15], -1, 0
	s_and_b32 s7, s2, 0x3fffff
	s_or_b32 s6, s6, s7
	s_cmp_lg_u32 s6, 0
	s_cselect_b64 s[6:7], -1, 0
	s_and_b64 s[6:7], s[14:15], s[6:7]
	v_cndmask_b32_e64 v3, 0, 1, s[6:7]
	v_add_u32_e32 v3, s16, v3
.LBB70_713:
	s_mov_b64 s[6:7], 0
	s_mov_b64 s[14:15], -1
	global_store_byte v[0:1], v3, off
.LBB70_714:
	s_mov_b64 s[16:17], 0
.LBB70_715:
	s_and_b64 vcc, exec, s[16:17]
	s_cbranch_vccz .LBB70_718
; %bb.716:
	v_mov_b32_e32 v3, 29
	v_cmp_eq_u16_sdwa s[16:17], s33, v3 src0_sel:BYTE_0 src1_sel:DWORD
	s_mov_b64 s[6:7], -1
	s_and_b64 vcc, exec, s[16:17]
	s_cbranch_vccz .LBB70_718
; %bb.717:
	v_trunc_f32_e32 v3, s2
	v_mul_f32_e32 v4, 0x2f800000, v3
	v_floor_f32_e32 v4, v4
	v_fmac_f32_e32 v3, 0xcf800000, v4
	v_cvt_u32_f32_e32 v5, v4
	v_cvt_u32_f32_e32 v4, v3
	s_mov_b64 s[6:7], 0
	s_mov_b64 s[14:15], -1
	s_mov_b64 s[16:17], 0
	global_store_dwordx2 v[0:1], v[4:5], off
	s_branch .LBB70_719
.LBB70_718:
	s_mov_b64 s[16:17], 0
.LBB70_719:
	s_and_b64 vcc, exec, s[16:17]
	s_cbranch_vccz .LBB70_737
; %bb.720:
	v_mov_b32_e32 v3, 27
	v_cmp_lt_i16_sdwa s[16:17], s33, v3 src0_sel:BYTE_0 src1_sel:DWORD
	s_mov_b64 s[14:15], -1
	s_and_b64 vcc, exec, s[16:17]
	s_cbranch_vccnz .LBB70_726
; %bb.721:
	v_cmp_gt_i16_sdwa s[16:17], s33, v3 src0_sel:BYTE_0 src1_sel:DWORD
	s_and_b64 vcc, exec, s[16:17]
	s_cbranch_vccz .LBB70_723
; %bb.722:
	v_cvt_u32_f32_e32 v3, s2
	s_mov_b64 s[14:15], 0
	global_store_dword v[0:1], v3, off
.LBB70_723:
	s_andn2_b64 vcc, exec, s[14:15]
	s_cbranch_vccnz .LBB70_725
; %bb.724:
	v_cvt_u32_f32_e32 v3, s2
	global_store_short v[0:1], v3, off
.LBB70_725:
	s_mov_b64 s[14:15], 0
.LBB70_726:
	s_andn2_b64 vcc, exec, s[14:15]
	s_cbranch_vccnz .LBB70_736
; %bb.727:
	s_and_b32 s14, s2, 0x7fffffff
	s_cmp_gt_u32 s14, 0x437fffff
	v_mov_b32_e32 v4, 0x80
	s_cbranch_scc1 .LBB70_735
; %bb.728:
	s_cmp_gt_u32 s14, 0x3bffffff
	s_cbranch_scc0 .LBB70_730
; %bb.729:
	s_bfe_u32 s14, s2, 0x10014
	s_add_i32 s14, s2, s14
	s_add_i32 s14, s14, 0x487ffff
	s_lshr_b32 s19, s14, 20
	s_mov_b64 s[16:17], 0
	s_mov_b64 s[14:15], -1
	s_branch .LBB70_731
.LBB70_730:
	s_mov_b64 s[16:17], -1
	s_mov_b64 s[14:15], 0
                                        ; implicit-def: $sgpr19
.LBB70_731:
	s_andn2_b64 vcc, exec, s[16:17]
	v_mov_b32_e32 v3, s19
                                        ; implicit-def: $sgpr16
	s_cbranch_vccnz .LBB70_733
; %bb.732:
	v_mov_b32_e32 v3, 0x46000000
	v_add_f32_e64 v3, |s2|, v3
	v_and_b32_e32 v3, 0xff, v3
	s_mov_b32 s16, 0
	v_cmp_ne_u32_e64 s[14:15], 0, v3
.LBB70_733:
	s_andn2_b64 vcc, exec, s[14:15]
	v_mov_b32_e32 v4, s16
	s_cbranch_vccnz .LBB70_735
; %bb.734:
	s_lshr_b32 s14, s2, 24
	s_and_b32 s14, s14, 0x80
	v_or_b32_e32 v4, s14, v3
.LBB70_735:
	global_store_byte v[0:1], v4, off
.LBB70_736:
	s_mov_b64 s[14:15], -1
.LBB70_737:
	s_mov_b64 s[16:17], 0
.LBB70_738:
	s_and_b64 vcc, exec, s[16:17]
	s_cbranch_vccz .LBB70_798
; %bb.739:
	v_mov_b32_e32 v3, 22
	v_cmp_gt_i16_sdwa s[16:17], s33, v3 src0_sel:BYTE_0 src1_sel:DWORD
	s_mov_b64 s[12:13], -1
	s_and_b64 vcc, exec, s[16:17]
	s_cbranch_vccz .LBB70_791
; %bb.740:
	v_mov_b32_e32 v3, 24
	v_cmp_lt_i16_sdwa s[14:15], s33, v3 src0_sel:BYTE_0 src1_sel:DWORD
	s_and_b64 vcc, exec, s[14:15]
	s_cbranch_vccnz .LBB70_778
; %bb.741:
	v_cmp_gt_i16_sdwa s[14:15], s33, v3 src0_sel:BYTE_0 src1_sel:DWORD
	s_and_b64 vcc, exec, s[14:15]
	s_cbranch_vccz .LBB70_765
; %bb.742:
	s_and_b32 s12, s2, 0x7fffffff
	s_cmp_gt_u32 s12, 0x477fffff
	v_mov_b32_e32 v4, 0x80
	s_cbranch_scc1 .LBB70_764
; %bb.743:
	s_cmp_gt_u32 s12, 0x37ffffff
	s_cbranch_scc0 .LBB70_759
; %bb.744:
	s_bfe_u32 s12, s2, 0x10015
	s_add_i32 s12, s2, s12
	s_add_i32 s12, s12, 0x88fffff
	s_lshr_b32 s16, s12, 21
	s_mov_b64 s[14:15], 0
	s_mov_b64 s[12:13], -1
	s_branch .LBB70_760
.LBB70_745:
	s_mov_b64 s[14:15], -1
	s_mov_b64 s[12:13], 0
                                        ; implicit-def: $sgpr16
.LBB70_746:
	s_andn2_b64 vcc, exec, s[14:15]
	v_mov_b32_e32 v3, s16
                                        ; implicit-def: $sgpr14
	s_cbranch_vccnz .LBB70_748
; %bb.747:
	v_mov_b32_e32 v3, 0x46000000
	v_add_f32_e64 v3, |s2|, v3
	v_and_b32_e32 v3, 0xff, v3
	s_mov_b32 s14, 0
	v_cmp_ne_u32_e64 s[12:13], 0, v3
.LBB70_748:
	s_andn2_b64 vcc, exec, s[12:13]
	v_mov_b32_e32 v4, s14
	s_cbranch_vccnz .LBB70_750
; %bb.749:
	s_lshr_b32 s12, s2, 24
	s_and_b32 s12, s12, 0x80
	v_or_b32_e32 v4, s12, v3
.LBB70_750:
	global_store_byte v[0:1], v4, off
.LBB70_751:
	s_mov_b64 s[12:13], 0
.LBB70_752:
	s_and_b64 vcc, exec, s[12:13]
	s_cbranch_vccz .LBB70_922
; %bb.753:
	v_cmp_lt_i16_e32 vcc, 22, v2
	s_mov_b64 s[8:9], -1
	s_cbranch_vccz .LBB70_915
; %bb.754:
	v_cmp_gt_i16_e32 vcc, 24, v2
	s_cbranch_vccnz .LBB70_902
; %bb.755:
	v_cmp_lt_i16_e32 vcc, 24, v2
	s_cbranch_vccz .LBB70_889
; %bb.756:
	s_and_b32 s8, s2, 0x7fffffff
	s_cmp_gt_u32 s8, 0x477fffff
	v_mov_b32_e32 v4, 0x80
	s_cbranch_scc1 .LBB70_888
; %bb.757:
	s_cmp_gt_u32 s8, 0x37ffffff
	s_cbranch_scc0 .LBB70_883
; %bb.758:
	s_bfe_u32 s8, s2, 0x10015
	s_add_i32 s8, s2, s8
	s_add_i32 s8, s8, 0x88fffff
	s_lshr_b32 s14, s8, 21
	s_mov_b64 s[12:13], 0
	s_mov_b64 s[8:9], -1
	s_branch .LBB70_884
.LBB70_759:
	s_mov_b64 s[14:15], -1
	s_mov_b64 s[12:13], 0
                                        ; implicit-def: $sgpr16
.LBB70_760:
	s_andn2_b64 vcc, exec, s[14:15]
	v_mov_b32_e32 v3, s16
                                        ; implicit-def: $sgpr14
	s_cbranch_vccnz .LBB70_762
; %bb.761:
	v_mov_b32_e32 v3, 0x42800000
	v_add_f32_e64 v3, |s2|, v3
	v_and_b32_e32 v3, 0xff, v3
	s_mov_b32 s14, 0
	v_cmp_ne_u32_e64 s[12:13], 0, v3
.LBB70_762:
	s_andn2_b64 vcc, exec, s[12:13]
	v_mov_b32_e32 v4, s14
	s_cbranch_vccnz .LBB70_764
; %bb.763:
	s_lshr_b32 s12, s2, 24
	s_and_b32 s12, s12, 0x80
	v_or_b32_e32 v4, s12, v3
.LBB70_764:
	s_mov_b64 s[12:13], 0
	global_store_byte v[0:1], v4, off
.LBB70_765:
	s_and_b64 vcc, exec, s[12:13]
	s_cbranch_vccz .LBB70_777
; %bb.766:
	s_and_b32 s14, s2, 0x7fffffff
	s_cmp_lt_u32 s14, 0x43f00000
	s_cbranch_scc0 .LBB70_769
; %bb.767:
	s_cmp_gt_u32 s14, 0x3c7fffff
	s_cbranch_scc0 .LBB70_770
; %bb.768:
	s_bfe_u32 s12, s2, 0x10014
	s_add_i32 s12, s2, s12
	s_add_i32 s12, s12, 0x407ffff
	s_lshr_b32 s13, s12, 20
	s_and_b32 s12, s12, 0xff00000
	s_cmp_lg_u32 s12, 0x7f00000
	s_cselect_b32 s15, s13, 0x7e
	s_mov_b64 s[12:13], 0
	s_branch .LBB70_771
.LBB70_769:
	s_mov_b64 s[12:13], -1
                                        ; implicit-def: $vgpr3
	s_branch .LBB70_774
.LBB70_770:
	s_mov_b64 s[12:13], -1
                                        ; implicit-def: $sgpr15
.LBB70_771:
	s_andn2_b64 vcc, exec, s[12:13]
	v_mov_b32_e32 v3, s15
	s_cbranch_vccnz .LBB70_773
; %bb.772:
	v_mov_b32_e32 v3, 0x46800000
	v_add_f32_e64 v3, |s2|, v3
.LBB70_773:
	s_mov_b64 s[12:13], 0
.LBB70_774:
	s_andn2_b64 vcc, exec, s[12:13]
	s_cbranch_vccnz .LBB70_776
; %bb.775:
	s_cmp_gt_u32 s14, 0x7f800000
	s_movk_i32 s12, 0x7f
	s_cselect_b32 s12, s12, 0x7e
	v_mov_b32_e32 v3, s12
.LBB70_776:
	s_lshr_b32 s12, s2, 24
	s_and_b32 s12, s12, 0x80
	v_or_b32_e32 v3, s12, v3
	global_store_byte v[0:1], v3, off
.LBB70_777:
	s_mov_b64 s[12:13], 0
.LBB70_778:
	s_andn2_b64 vcc, exec, s[12:13]
	s_cbranch_vccnz .LBB70_790
; %bb.779:
	s_and_b32 s14, s2, 0x7fffffff
	s_cmp_lt_u32 s14, 0x47800000
	s_cbranch_scc0 .LBB70_782
; %bb.780:
	s_cmp_gt_u32 s14, 0x387fffff
	s_cbranch_scc0 .LBB70_783
; %bb.781:
	s_bfe_u32 s12, s2, 0x10015
	s_add_i32 s12, s2, s12
	s_add_i32 s12, s12, 0x80fffff
	s_lshr_b32 s15, s12, 21
	s_mov_b64 s[12:13], 0
	s_branch .LBB70_784
.LBB70_782:
	s_mov_b64 s[12:13], -1
                                        ; implicit-def: $vgpr3
	s_branch .LBB70_787
.LBB70_783:
	s_mov_b64 s[12:13], -1
                                        ; implicit-def: $sgpr15
.LBB70_784:
	s_andn2_b64 vcc, exec, s[12:13]
	v_mov_b32_e32 v3, s15
	s_cbranch_vccnz .LBB70_786
; %bb.785:
	v_mov_b32_e32 v3, 0x43000000
	v_add_f32_e64 v3, |s2|, v3
.LBB70_786:
	s_mov_b64 s[12:13], 0
.LBB70_787:
	s_andn2_b64 vcc, exec, s[12:13]
	s_cbranch_vccnz .LBB70_789
; %bb.788:
	s_cmp_gt_u32 s14, 0x7f800000
	s_movk_i32 s12, 0x7f
	s_cselect_b32 s12, s12, 0x7c
	v_mov_b32_e32 v3, s12
.LBB70_789:
	s_lshr_b32 s12, s2, 24
	s_and_b32 s12, s12, 0x80
	v_or_b32_e32 v3, s12, v3
	global_store_byte v[0:1], v3, off
.LBB70_790:
	s_mov_b64 s[12:13], 0
	s_mov_b64 s[14:15], -1
.LBB70_791:
	s_andn2_b64 vcc, exec, s[12:13]
	s_mov_b64 s[12:13], 0
	s_cbranch_vccnz .LBB70_798
; %bb.792:
	v_mov_b32_e32 v3, 14
	v_cmp_gt_i16_sdwa s[12:13], s33, v3 src0_sel:BYTE_0 src1_sel:DWORD
	s_mov_b64 s[16:17], -1
	s_and_b64 vcc, exec, s[12:13]
	s_cbranch_vccz .LBB70_796
; %bb.793:
	v_mov_b32_e32 v3, 15
	v_cmp_eq_u16_sdwa s[12:13], s33, v3 src0_sel:BYTE_0 src1_sel:DWORD
	s_mov_b64 s[6:7], -1
	s_and_b64 vcc, exec, s[12:13]
	s_cbranch_vccz .LBB70_795
; %bb.794:
	s_bfe_u32 s6, s2, 0x10010
	s_add_i32 s6, s2, s6
	s_addk_i32 s6, 0x7fff
	s_lshr_b32 s12, s6, 16
	v_cmp_o_f32_e64 s[6:7], s2, s2
	s_and_b64 s[6:7], s[6:7], exec
	s_cselect_b32 s6, s12, 0x7fc0
	v_mov_b32_e32 v3, s6
	global_store_short v[0:1], v3, off
	s_mov_b64 s[6:7], 0
	s_mov_b64 s[14:15], -1
.LBB70_795:
	s_mov_b64 s[16:17], 0
.LBB70_796:
	s_mov_b64 s[12:13], 0
	s_and_b64 vcc, exec, s[16:17]
	s_cbranch_vccz .LBB70_798
; %bb.797:
	v_mov_b32_e32 v3, 11
	v_cmp_ne_u16_sdwa s[6:7], s33, v3 src0_sel:BYTE_0 src1_sel:DWORD
	s_mov_b64 s[12:13], -1
.LBB70_798:
	s_and_b64 vcc, exec, s[6:7]
	s_cbranch_vccnz .LBB70_882
; %bb.799:
	s_andn2_b64 vcc, exec, s[12:13]
	s_cbranch_vccnz .LBB70_801
.LBB70_800:
	s_or_b32 s6, s2, s3
	s_bitset0_b32 s6, 31
	s_cmp_lg_u32 s6, 0
	s_cselect_b64 s[6:7], -1, 0
	v_cndmask_b32_e64 v3, 0, 1, s[6:7]
	s_mov_b64 s[14:15], -1
	global_store_byte v[0:1], v3, off
.LBB70_801:
	s_branch .LBB70_674
.LBB70_802:
	v_mov_b32_e32 v3, 5
	v_cmp_lt_i16_sdwa s[12:13], s33, v3 src0_sel:BYTE_0 src1_sel:DWORD
	s_mov_b64 s[6:7], -1
	s_and_b64 vcc, exec, s[12:13]
	s_cbranch_vccnz .LBB70_823
; %bb.803:
	v_mov_b32_e32 v3, 8
	v_cmp_lt_i16_sdwa s[12:13], s33, v3 src0_sel:BYTE_0 src1_sel:DWORD
	s_and_b64 vcc, exec, s[12:13]
	s_cbranch_vccnz .LBB70_813
; %bb.804:
	v_mov_b32_e32 v3, 9
	v_cmp_lt_i16_sdwa s[12:13], s33, v3 src0_sel:BYTE_0 src1_sel:DWORD
	s_and_b64 vcc, exec, s[12:13]
	s_cbranch_vccnz .LBB70_810
; %bb.805:
	v_cmp_gt_i16_sdwa s[12:13], s33, v3 src0_sel:BYTE_0 src1_sel:DWORD
	s_and_b64 vcc, exec, s[12:13]
	s_cbranch_vccz .LBB70_807
; %bb.806:
	v_cvt_f64_f32_e32 v[4:5], s2
	v_cvt_f64_f32_e32 v[6:7], s3
	global_store_dwordx4 v[0:1], v[4:7], off
	s_mov_b64 s[6:7], 0
.LBB70_807:
	s_andn2_b64 vcc, exec, s[6:7]
	s_cbranch_vccnz .LBB70_809
; %bb.808:
	v_pk_mov_b32 v[4:5], s[2:3], s[2:3] op_sel:[0,1]
	global_store_dwordx2 v[0:1], v[4:5], off
.LBB70_809:
	s_mov_b64 s[6:7], 0
.LBB70_810:
	s_andn2_b64 vcc, exec, s[6:7]
	s_cbranch_vccnz .LBB70_812
; %bb.811:
	v_cvt_f16_f32_e32 v3, s2
	v_cvt_f16_f32_sdwa v4, s3 dst_sel:WORD_1 dst_unused:UNUSED_PAD src0_sel:DWORD
	v_or_b32_e32 v3, v4, v3
	global_store_dword v[0:1], v3, off
.LBB70_812:
	s_mov_b64 s[6:7], 0
.LBB70_813:
	s_andn2_b64 vcc, exec, s[6:7]
	s_cbranch_vccnz .LBB70_822
; %bb.814:
	v_mov_b32_e32 v3, 6
	v_cmp_lt_i16_sdwa s[12:13], s33, v3 src0_sel:BYTE_0 src1_sel:DWORD
	s_mov_b64 s[6:7], -1
	s_and_b64 vcc, exec, s[12:13]
	s_cbranch_vccnz .LBB70_820
; %bb.815:
	v_cmp_gt_i16_sdwa s[12:13], s33, v3 src0_sel:BYTE_0 src1_sel:DWORD
	s_and_b64 vcc, exec, s[12:13]
	s_cbranch_vccz .LBB70_817
; %bb.816:
	v_cvt_f64_f32_e32 v[4:5], s2
	global_store_dwordx2 v[0:1], v[4:5], off
	s_mov_b64 s[6:7], 0
.LBB70_817:
	s_andn2_b64 vcc, exec, s[6:7]
	s_cbranch_vccnz .LBB70_819
; %bb.818:
	v_mov_b32_e32 v3, s2
	global_store_dword v[0:1], v3, off
.LBB70_819:
	s_mov_b64 s[6:7], 0
.LBB70_820:
	s_andn2_b64 vcc, exec, s[6:7]
	s_cbranch_vccnz .LBB70_822
; %bb.821:
	v_cvt_f16_f32_e32 v3, s2
	global_store_short v[0:1], v3, off
.LBB70_822:
	s_mov_b64 s[6:7], 0
.LBB70_823:
	s_andn2_b64 vcc, exec, s[6:7]
	s_cbranch_vccnz .LBB70_839
; %bb.824:
	v_mov_b32_e32 v3, 2
	v_cmp_lt_i16_sdwa s[12:13], s33, v3 src0_sel:BYTE_0 src1_sel:DWORD
	s_mov_b64 s[6:7], -1
	s_and_b64 vcc, exec, s[12:13]
	s_cbranch_vccnz .LBB70_834
; %bb.825:
	v_mov_b32_e32 v3, 3
	v_cmp_lt_i16_sdwa s[12:13], s33, v3 src0_sel:BYTE_0 src1_sel:DWORD
	s_and_b64 vcc, exec, s[12:13]
	s_cbranch_vccnz .LBB70_831
; %bb.826:
	v_cmp_gt_i16_sdwa s[12:13], s33, v3 src0_sel:BYTE_0 src1_sel:DWORD
	s_and_b64 vcc, exec, s[12:13]
	s_cbranch_vccz .LBB70_828
; %bb.827:
	v_trunc_f32_e32 v3, s2
	s_mov_b32 s6, 0x2f800000
	v_mul_f32_e64 v4, |v3|, s6
	v_floor_f32_e32 v4, v4
	s_mov_b32 s6, 0xcf800000
	v_fma_f32 v5, v4, s6, |v3|
	v_cvt_u32_f32_e32 v5, v5
	v_cvt_u32_f32_e32 v4, v4
	v_ashrrev_i32_e32 v3, 31, v3
	s_mov_b64 s[6:7], 0
	v_xor_b32_e32 v5, v5, v3
	v_xor_b32_e32 v6, v4, v3
	v_sub_co_u32_e32 v4, vcc, v5, v3
	v_subb_co_u32_e32 v5, vcc, v6, v3, vcc
	global_store_dwordx2 v[0:1], v[4:5], off
.LBB70_828:
	s_andn2_b64 vcc, exec, s[6:7]
	s_cbranch_vccnz .LBB70_830
; %bb.829:
	v_cvt_i32_f32_e32 v3, s2
	global_store_dword v[0:1], v3, off
.LBB70_830:
	s_mov_b64 s[6:7], 0
.LBB70_831:
	s_andn2_b64 vcc, exec, s[6:7]
	s_cbranch_vccnz .LBB70_833
; %bb.832:
	v_cvt_i32_f32_e32 v3, s2
	global_store_short v[0:1], v3, off
.LBB70_833:
	s_mov_b64 s[6:7], 0
.LBB70_834:
	s_andn2_b64 vcc, exec, s[6:7]
	s_cbranch_vccnz .LBB70_839
; %bb.835:
	v_mov_b32_e32 v3, 0
	v_cmp_gt_i16_sdwa s[12:13], s33, v3 src0_sel:BYTE_0 src1_sel:DWORD
	s_mov_b64 s[6:7], -1
	s_and_b64 vcc, exec, s[12:13]
	s_cbranch_vccz .LBB70_837
; %bb.836:
	v_cvt_i32_f32_e32 v3, s2
	s_mov_b64 s[6:7], 0
	global_store_byte v[0:1], v3, off
.LBB70_837:
	s_andn2_b64 vcc, exec, s[6:7]
	s_cbranch_vccnz .LBB70_839
; %bb.838:
	v_trunc_f32_e32 v3, s2
	s_mov_b32 s6, 0x2f800000
	v_mul_f32_e64 v4, |v3|, s6
	v_floor_f32_e32 v4, v4
	s_mov_b32 s6, 0xcf800000
	v_fma_f32 v4, v4, s6, |v3|
	v_cvt_u32_f32_e32 v4, v4
	v_ashrrev_i32_e32 v3, 31, v3
	v_xor_b32_e32 v4, v4, v3
	v_sub_u32_e32 v3, v4, v3
	global_store_byte v[0:1], v3, off
.LBB70_839:
	s_branch .LBB70_675
.LBB70_840:
	s_mov_b64 s[6:7], 0
	s_mov_b64 s[8:9], 0
                                        ; implicit-def: $vgpr2
                                        ; implicit-def: $vgpr0_vgpr1
.LBB70_841:
	s_and_b64 s[12:13], s[6:7], exec
	s_and_b64 s[6:7], s[8:9], exec
	s_andn2_b64 s[0:1], s[0:1], exec
	s_and_b64 s[8:9], s[10:11], exec
	s_or_b64 s[0:1], s[0:1], s[8:9]
	s_or_b64 exec, exec, s[4:5]
	s_and_saveexec_b64 s[4:5], s[0:1]
	s_cbranch_execnz .LBB70_413
.LBB70_842:
	s_or_b64 exec, exec, s[4:5]
	s_and_saveexec_b64 s[0:1], s[6:7]
	s_xor_b64 s[0:1], exec, s[0:1]
	s_cbranch_execz .LBB70_414
.LBB70_843:
	s_or_b32 s4, s2, s3
	s_bitset0_b32 s4, 31
	s_cmp_lg_u32 s4, 0
	s_cselect_b64 s[4:5], -1, 0
	v_cndmask_b32_e64 v3, 0, 1, s[4:5]
	global_store_byte v[0:1], v3, off
	s_or_b64 exec, exec, s[0:1]
	s_and_saveexec_b64 s[0:1], s[12:13]
	s_cbranch_execz .LBB70_881
.LBB70_844:
	v_cmp_gt_i16_e32 vcc, 5, v2
	s_mov_b64 s[0:1], -1
	s_cbranch_vccnz .LBB70_865
; %bb.845:
	v_cmp_gt_i16_e32 vcc, 8, v2
	s_cbranch_vccnz .LBB70_855
; %bb.846:
	v_cmp_gt_i16_e32 vcc, 9, v2
	s_cbranch_vccnz .LBB70_852
; %bb.847:
	v_cmp_lt_i16_e32 vcc, 9, v2
	s_cbranch_vccz .LBB70_849
; %bb.848:
	v_cvt_f64_f32_e32 v[4:5], s2
	v_cvt_f64_f32_e32 v[6:7], s3
	global_store_dwordx4 v[0:1], v[4:7], off
	s_mov_b64 s[0:1], 0
.LBB70_849:
	s_andn2_b64 vcc, exec, s[0:1]
	s_cbranch_vccnz .LBB70_851
; %bb.850:
	v_pk_mov_b32 v[4:5], s[2:3], s[2:3] op_sel:[0,1]
	global_store_dwordx2 v[0:1], v[4:5], off
.LBB70_851:
	s_mov_b64 s[0:1], 0
.LBB70_852:
	s_andn2_b64 vcc, exec, s[0:1]
	s_cbranch_vccnz .LBB70_854
; %bb.853:
	v_cvt_f16_f32_e32 v3, s2
	v_cvt_f16_f32_sdwa v4, s3 dst_sel:WORD_1 dst_unused:UNUSED_PAD src0_sel:DWORD
	v_or_b32_e32 v3, v4, v3
	global_store_dword v[0:1], v3, off
.LBB70_854:
	s_mov_b64 s[0:1], 0
.LBB70_855:
	s_andn2_b64 vcc, exec, s[0:1]
	s_cbranch_vccnz .LBB70_864
; %bb.856:
	v_cmp_gt_i16_e32 vcc, 6, v2
	s_mov_b64 s[0:1], -1
	s_cbranch_vccnz .LBB70_862
; %bb.857:
	v_cmp_lt_i16_e32 vcc, 6, v2
	s_cbranch_vccz .LBB70_859
; %bb.858:
	v_cvt_f64_f32_e32 v[4:5], s2
	global_store_dwordx2 v[0:1], v[4:5], off
	s_mov_b64 s[0:1], 0
.LBB70_859:
	s_andn2_b64 vcc, exec, s[0:1]
	s_cbranch_vccnz .LBB70_861
; %bb.860:
	v_mov_b32_e32 v3, s2
	global_store_dword v[0:1], v3, off
.LBB70_861:
	s_mov_b64 s[0:1], 0
.LBB70_862:
	s_andn2_b64 vcc, exec, s[0:1]
	s_cbranch_vccnz .LBB70_864
; %bb.863:
	v_cvt_f16_f32_e32 v3, s2
	global_store_short v[0:1], v3, off
.LBB70_864:
	s_mov_b64 s[0:1], 0
.LBB70_865:
	s_andn2_b64 vcc, exec, s[0:1]
	s_cbranch_vccnz .LBB70_881
; %bb.866:
	v_cmp_gt_i16_e32 vcc, 2, v2
	s_mov_b64 s[0:1], -1
	s_cbranch_vccnz .LBB70_876
; %bb.867:
	v_cmp_gt_i16_e32 vcc, 3, v2
	s_cbranch_vccnz .LBB70_873
; %bb.868:
	v_cmp_lt_i16_e32 vcc, 3, v2
	s_cbranch_vccz .LBB70_870
; %bb.869:
	v_trunc_f32_e32 v3, s2
	s_mov_b32 s0, 0x2f800000
	v_mul_f32_e64 v4, |v3|, s0
	v_floor_f32_e32 v4, v4
	s_mov_b32 s0, 0xcf800000
	v_fma_f32 v5, v4, s0, |v3|
	v_cvt_u32_f32_e32 v5, v5
	v_cvt_u32_f32_e32 v4, v4
	v_ashrrev_i32_e32 v3, 31, v3
	s_mov_b64 s[0:1], 0
	v_xor_b32_e32 v5, v5, v3
	v_xor_b32_e32 v6, v4, v3
	v_sub_co_u32_e32 v4, vcc, v5, v3
	v_subb_co_u32_e32 v5, vcc, v6, v3, vcc
	global_store_dwordx2 v[0:1], v[4:5], off
.LBB70_870:
	s_andn2_b64 vcc, exec, s[0:1]
	s_cbranch_vccnz .LBB70_872
; %bb.871:
	v_cvt_i32_f32_e32 v3, s2
	global_store_dword v[0:1], v3, off
.LBB70_872:
	s_mov_b64 s[0:1], 0
.LBB70_873:
	s_andn2_b64 vcc, exec, s[0:1]
	s_cbranch_vccnz .LBB70_875
; %bb.874:
	v_cvt_i32_f32_e32 v3, s2
	global_store_short v[0:1], v3, off
.LBB70_875:
	s_mov_b64 s[0:1], 0
.LBB70_876:
	s_andn2_b64 vcc, exec, s[0:1]
	s_cbranch_vccnz .LBB70_881
; %bb.877:
	v_cmp_lt_i16_e32 vcc, 0, v2
	s_mov_b64 s[0:1], -1
	s_cbranch_vccz .LBB70_879
; %bb.878:
	v_cvt_i32_f32_e32 v2, s2
	s_mov_b64 s[0:1], 0
	global_store_byte v[0:1], v2, off
.LBB70_879:
	s_andn2_b64 vcc, exec, s[0:1]
	s_cbranch_vccnz .LBB70_881
; %bb.880:
	v_trunc_f32_e32 v2, s2
	s_mov_b32 s0, 0x2f800000
	v_mul_f32_e64 v3, |v2|, s0
	v_floor_f32_e32 v3, v3
	s_mov_b32 s0, 0xcf800000
	v_fma_f32 v3, v3, s0, |v2|
	v_cvt_u32_f32_e32 v3, v3
	v_ashrrev_i32_e32 v2, 31, v2
	v_xor_b32_e32 v3, v3, v2
	v_sub_u32_e32 v2, v3, v2
	global_store_byte v[0:1], v2, off
	s_endpgm
.LBB70_881:
	s_endpgm
.LBB70_882:
	s_trap 2
	s_or_b64 s[10:11], s[10:11], exec
	s_cbranch_execz .LBB70_800
	s_branch .LBB70_801
.LBB70_883:
	s_mov_b64 s[12:13], -1
	s_mov_b64 s[8:9], 0
                                        ; implicit-def: $sgpr14
.LBB70_884:
	s_andn2_b64 vcc, exec, s[12:13]
	v_mov_b32_e32 v3, s14
                                        ; implicit-def: $sgpr12
	s_cbranch_vccnz .LBB70_886
; %bb.885:
	v_mov_b32_e32 v3, 0x42800000
	v_add_f32_e64 v3, |s2|, v3
	v_and_b32_e32 v3, 0xff, v3
	s_mov_b32 s12, 0
	v_cmp_ne_u32_e64 s[8:9], 0, v3
.LBB70_886:
	s_andn2_b64 vcc, exec, s[8:9]
	v_mov_b32_e32 v4, s12
	s_cbranch_vccnz .LBB70_888
; %bb.887:
	s_lshr_b32 s8, s2, 24
	s_and_b32 s8, s8, 0x80
	v_or_b32_e32 v4, s8, v3
.LBB70_888:
	s_mov_b64 s[8:9], 0
	global_store_byte v[0:1], v4, off
.LBB70_889:
	s_and_b64 vcc, exec, s[8:9]
	s_cbranch_vccz .LBB70_901
; %bb.890:
	s_and_b32 s12, s2, 0x7fffffff
	s_cmp_lt_u32 s12, 0x43f00000
	s_cbranch_scc0 .LBB70_893
; %bb.891:
	s_cmp_gt_u32 s12, 0x3c7fffff
	s_cbranch_scc0 .LBB70_894
; %bb.892:
	s_bfe_u32 s8, s2, 0x10014
	s_add_i32 s8, s2, s8
	s_add_i32 s8, s8, 0x407ffff
	s_lshr_b32 s9, s8, 20
	s_and_b32 s8, s8, 0xff00000
	s_cmp_lg_u32 s8, 0x7f00000
	s_cselect_b32 s13, s9, 0x7e
	s_mov_b64 s[8:9], 0
	s_branch .LBB70_895
.LBB70_893:
	s_mov_b64 s[8:9], -1
                                        ; implicit-def: $vgpr3
	s_branch .LBB70_898
.LBB70_894:
	s_mov_b64 s[8:9], -1
                                        ; implicit-def: $sgpr13
.LBB70_895:
	s_andn2_b64 vcc, exec, s[8:9]
	v_mov_b32_e32 v3, s13
	s_cbranch_vccnz .LBB70_897
; %bb.896:
	v_mov_b32_e32 v3, 0x46800000
	v_add_f32_e64 v3, |s2|, v3
.LBB70_897:
	s_mov_b64 s[8:9], 0
.LBB70_898:
	s_andn2_b64 vcc, exec, s[8:9]
	s_cbranch_vccnz .LBB70_900
; %bb.899:
	s_cmp_gt_u32 s12, 0x7f800000
	s_movk_i32 s8, 0x7f
	s_cselect_b32 s8, s8, 0x7e
	v_mov_b32_e32 v3, s8
.LBB70_900:
	s_lshr_b32 s8, s2, 24
	s_and_b32 s8, s8, 0x80
	v_or_b32_e32 v3, s8, v3
	global_store_byte v[0:1], v3, off
.LBB70_901:
	s_mov_b64 s[8:9], 0
.LBB70_902:
	s_andn2_b64 vcc, exec, s[8:9]
	s_cbranch_vccnz .LBB70_914
; %bb.903:
	s_and_b32 s12, s2, 0x7fffffff
	s_cmp_lt_u32 s12, 0x47800000
	s_cbranch_scc0 .LBB70_906
; %bb.904:
	s_cmp_gt_u32 s12, 0x387fffff
	s_cbranch_scc0 .LBB70_907
; %bb.905:
	s_bfe_u32 s8, s2, 0x10015
	s_add_i32 s8, s2, s8
	s_add_i32 s8, s8, 0x80fffff
	s_lshr_b32 s13, s8, 21
	s_mov_b64 s[8:9], 0
	s_branch .LBB70_908
.LBB70_906:
	s_mov_b64 s[8:9], -1
                                        ; implicit-def: $vgpr3
	s_branch .LBB70_911
.LBB70_907:
	s_mov_b64 s[8:9], -1
                                        ; implicit-def: $sgpr13
.LBB70_908:
	s_andn2_b64 vcc, exec, s[8:9]
	v_mov_b32_e32 v3, s13
	s_cbranch_vccnz .LBB70_910
; %bb.909:
	v_mov_b32_e32 v3, 0x43000000
	v_add_f32_e64 v3, |s2|, v3
.LBB70_910:
	s_mov_b64 s[8:9], 0
.LBB70_911:
	s_andn2_b64 vcc, exec, s[8:9]
	s_cbranch_vccnz .LBB70_913
; %bb.912:
	s_cmp_gt_u32 s12, 0x7f800000
	s_movk_i32 s8, 0x7f
	s_cselect_b32 s8, s8, 0x7c
	v_mov_b32_e32 v3, s8
.LBB70_913:
	s_lshr_b32 s8, s2, 24
	s_and_b32 s8, s8, 0x80
	v_or_b32_e32 v3, s8, v3
	global_store_byte v[0:1], v3, off
.LBB70_914:
	s_mov_b64 s[8:9], 0
.LBB70_915:
	s_andn2_b64 vcc, exec, s[8:9]
	s_mov_b64 s[8:9], 0
	s_cbranch_vccnz .LBB70_922
; %bb.916:
	v_cmp_lt_i16_e32 vcc, 14, v2
	s_mov_b64 s[12:13], -1
	s_cbranch_vccz .LBB70_920
; %bb.917:
	v_cmp_eq_u16_e32 vcc, 15, v2
	s_mov_b64 s[6:7], -1
	s_cbranch_vccz .LBB70_919
; %bb.918:
	s_bfe_u32 s6, s2, 0x10010
	s_add_i32 s6, s2, s6
	s_addk_i32 s6, 0x7fff
	s_lshr_b32 s8, s6, 16
	v_cmp_o_f32_e64 s[6:7], s2, s2
	s_and_b64 s[6:7], s[6:7], exec
	s_cselect_b32 s6, s8, 0x7fc0
	v_mov_b32_e32 v3, s6
	global_store_short v[0:1], v3, off
	s_mov_b64 s[6:7], 0
.LBB70_919:
	s_mov_b64 s[12:13], 0
.LBB70_920:
	s_mov_b64 s[8:9], 0
	s_and_b64 vcc, exec, s[12:13]
	s_cbranch_vccz .LBB70_922
; %bb.921:
	v_cmp_ne_u16_e64 s[6:7], 11, v2
	s_mov_b64 s[8:9], -1
.LBB70_922:
	s_and_b64 vcc, exec, s[6:7]
	s_cbranch_vccnz .LBB70_924
.LBB70_923:
	s_mov_b64 s[6:7], 0
	s_branch .LBB70_841
.LBB70_924:
	s_mov_b64 s[8:9], 0
	s_or_b64 s[10:11], s[10:11], exec
	s_trap 2
	s_branch .LBB70_923
	.section	.rodata,"a",@progbits
	.p2align	6, 0x0
	.amdhsa_kernel _ZN2at6native32elementwise_kernel_manual_unrollILi128ELi4EZNS0_15gpu_kernel_implINS0_11FillFunctorIN3c107complexIfEEEEEEvRNS_18TensorIteratorBaseERKT_EUlibE_EEviT1_
		.amdhsa_group_segment_fixed_size 0
		.amdhsa_private_segment_fixed_size 0
		.amdhsa_kernarg_size 40
		.amdhsa_user_sgpr_count 6
		.amdhsa_user_sgpr_private_segment_buffer 1
		.amdhsa_user_sgpr_dispatch_ptr 0
		.amdhsa_user_sgpr_queue_ptr 0
		.amdhsa_user_sgpr_kernarg_segment_ptr 1
		.amdhsa_user_sgpr_dispatch_id 0
		.amdhsa_user_sgpr_flat_scratch_init 0
		.amdhsa_user_sgpr_kernarg_preload_length 0
		.amdhsa_user_sgpr_kernarg_preload_offset 0
		.amdhsa_user_sgpr_private_segment_size 0
		.amdhsa_uses_dynamic_stack 0
		.amdhsa_system_sgpr_private_segment_wavefront_offset 0
		.amdhsa_system_sgpr_workgroup_id_x 1
		.amdhsa_system_sgpr_workgroup_id_y 0
		.amdhsa_system_sgpr_workgroup_id_z 0
		.amdhsa_system_sgpr_workgroup_info 0
		.amdhsa_system_vgpr_workitem_id 0
		.amdhsa_next_free_vgpr 20
		.amdhsa_next_free_sgpr 66
		.amdhsa_accum_offset 20
		.amdhsa_reserve_vcc 1
		.amdhsa_reserve_flat_scratch 0
		.amdhsa_float_round_mode_32 0
		.amdhsa_float_round_mode_16_64 0
		.amdhsa_float_denorm_mode_32 3
		.amdhsa_float_denorm_mode_16_64 3
		.amdhsa_dx10_clamp 1
		.amdhsa_ieee_mode 1
		.amdhsa_fp16_overflow 0
		.amdhsa_tg_split 0
		.amdhsa_exception_fp_ieee_invalid_op 0
		.amdhsa_exception_fp_denorm_src 0
		.amdhsa_exception_fp_ieee_div_zero 0
		.amdhsa_exception_fp_ieee_overflow 0
		.amdhsa_exception_fp_ieee_underflow 0
		.amdhsa_exception_fp_ieee_inexact 0
		.amdhsa_exception_int_div_zero 0
	.end_amdhsa_kernel
	.section	.text._ZN2at6native32elementwise_kernel_manual_unrollILi128ELi4EZNS0_15gpu_kernel_implINS0_11FillFunctorIN3c107complexIfEEEEEEvRNS_18TensorIteratorBaseERKT_EUlibE_EEviT1_,"axG",@progbits,_ZN2at6native32elementwise_kernel_manual_unrollILi128ELi4EZNS0_15gpu_kernel_implINS0_11FillFunctorIN3c107complexIfEEEEEEvRNS_18TensorIteratorBaseERKT_EUlibE_EEviT1_,comdat
.Lfunc_end70:
	.size	_ZN2at6native32elementwise_kernel_manual_unrollILi128ELi4EZNS0_15gpu_kernel_implINS0_11FillFunctorIN3c107complexIfEEEEEEvRNS_18TensorIteratorBaseERKT_EUlibE_EEviT1_, .Lfunc_end70-_ZN2at6native32elementwise_kernel_manual_unrollILi128ELi4EZNS0_15gpu_kernel_implINS0_11FillFunctorIN3c107complexIfEEEEEEvRNS_18TensorIteratorBaseERKT_EUlibE_EEviT1_
                                        ; -- End function
	.section	.AMDGPU.csdata,"",@progbits
; Kernel info:
; codeLenInByte = 14780
; NumSgprs: 70
; NumVgprs: 20
; NumAgprs: 0
; TotalNumVgprs: 20
; ScratchSize: 0
; MemoryBound: 0
; FloatMode: 240
; IeeeMode: 1
; LDSByteSize: 0 bytes/workgroup (compile time only)
; SGPRBlocks: 8
; VGPRBlocks: 2
; NumSGPRsForWavesPerEU: 70
; NumVGPRsForWavesPerEU: 20
; AccumOffset: 20
; Occupancy: 8
; WaveLimiterHint : 0
; COMPUTE_PGM_RSRC2:SCRATCH_EN: 0
; COMPUTE_PGM_RSRC2:USER_SGPR: 6
; COMPUTE_PGM_RSRC2:TRAP_HANDLER: 0
; COMPUTE_PGM_RSRC2:TGID_X_EN: 1
; COMPUTE_PGM_RSRC2:TGID_Y_EN: 0
; COMPUTE_PGM_RSRC2:TGID_Z_EN: 0
; COMPUTE_PGM_RSRC2:TIDIG_COMP_CNT: 0
; COMPUTE_PGM_RSRC3_GFX90A:ACCUM_OFFSET: 4
; COMPUTE_PGM_RSRC3_GFX90A:TG_SPLIT: 0
	.section	.text._ZN2at6native32elementwise_kernel_manual_unrollILi128ELi4EZNS0_15gpu_kernel_implINS0_11FillFunctorIN3c107complexIfEEEEEEvRNS_18TensorIteratorBaseERKT_EUlibE0_EEviT1_,"axG",@progbits,_ZN2at6native32elementwise_kernel_manual_unrollILi128ELi4EZNS0_15gpu_kernel_implINS0_11FillFunctorIN3c107complexIfEEEEEEvRNS_18TensorIteratorBaseERKT_EUlibE0_EEviT1_,comdat
	.protected	_ZN2at6native32elementwise_kernel_manual_unrollILi128ELi4EZNS0_15gpu_kernel_implINS0_11FillFunctorIN3c107complexIfEEEEEEvRNS_18TensorIteratorBaseERKT_EUlibE0_EEviT1_ ; -- Begin function _ZN2at6native32elementwise_kernel_manual_unrollILi128ELi4EZNS0_15gpu_kernel_implINS0_11FillFunctorIN3c107complexIfEEEEEEvRNS_18TensorIteratorBaseERKT_EUlibE0_EEviT1_
	.globl	_ZN2at6native32elementwise_kernel_manual_unrollILi128ELi4EZNS0_15gpu_kernel_implINS0_11FillFunctorIN3c107complexIfEEEEEEvRNS_18TensorIteratorBaseERKT_EUlibE0_EEviT1_
	.p2align	8
	.type	_ZN2at6native32elementwise_kernel_manual_unrollILi128ELi4EZNS0_15gpu_kernel_implINS0_11FillFunctorIN3c107complexIfEEEEEEvRNS_18TensorIteratorBaseERKT_EUlibE0_EEviT1_,@function
_ZN2at6native32elementwise_kernel_manual_unrollILi128ELi4EZNS0_15gpu_kernel_implINS0_11FillFunctorIN3c107complexIfEEEEEEvRNS_18TensorIteratorBaseERKT_EUlibE0_EEviT1_: ; @_ZN2at6native32elementwise_kernel_manual_unrollILi128ELi4EZNS0_15gpu_kernel_implINS0_11FillFunctorIN3c107complexIfEEEEEEvRNS_18TensorIteratorBaseERKT_EUlibE0_EEviT1_
; %bb.0:
	s_load_dword s95, s[4:5], 0x0
	s_load_dword s33, s[4:5], 0x8
	s_or_b32 s4, s4, 8
	v_lshl_or_b32 v12, s6, 9, v0
	v_or_b32_e32 v8, 0x180, v12
	s_waitcnt lgkmcnt(0)
	v_cmp_le_i32_e32 vcc, s95, v8
	s_add_i32 s80, s33, -1
	s_cmp_gt_u32 s80, 1
	s_cselect_b64 s[36:37], -1, 0
	s_mov_b64 s[34:35], 0
	s_mov_b64 s[6:7], 0
	s_and_saveexec_b64 s[0:1], vcc
	s_xor_b64 s[2:3], exec, s[0:1]
	s_cbranch_execz .LBB71_463
; %bb.1:
	s_cmp_lg_u32 s33, 0
	s_cselect_b64 s[64:65], -1, 0
	s_add_u32 s62, s4, 0xc4
	s_load_dwordx2 s[56:57], s[4:5], 0xc4
	s_load_dwordx4 s[16:19], s[4:5], 0x108
	s_load_dwordx4 s[20:23], s[4:5], 0x4
	s_load_dwordx2 s[78:79], s[4:5], 0x14
	s_addc_u32 s63, s5, 0
	s_min_u32 s58, s80, 15
	s_cmp_gt_u32 s33, 1
	s_cselect_b64 s[60:61], -1, 0
	s_waitcnt lgkmcnt(0)
	s_lshr_b32 s12, s18, 23
	s_bfe_u32 s8, s18, 0x80017
	s_cmpk_eq_i32 s8, 0xff
	s_cselect_b64 s[0:1], -1, 0
	s_bitcmp1_b32 s18, 22
	s_cselect_b64 s[6:7], -1, 0
	s_and_b32 s9, s18, 0x3fffff
	s_or_b32 s8, s8, s9
	s_cmp_lg_u32 s8, 0
	v_trunc_f32_e32 v4, s18
	s_cselect_b64 s[8:9], -1, 0
	v_mul_f32_e32 v0, 0x2f800000, v4
	s_and_b64 s[6:7], s[6:7], s[8:9]
	s_and_b32 s8, s18, 0x7fffffff
	v_floor_f32_e32 v0, v0
	v_mov_b32_e32 v1, v4
	s_cmp_lt_u32 s8, 0x43800000
	v_cvt_u32_f32_e32 v7, v0
	v_fmac_f32_e32 v1, 0xcf800000, v0
	v_cndmask_b32_e64 v0, 0, 1, s[6:7]
	s_cselect_b64 s[52:53], -1, 0
	s_cmp_gt_u32 s8, 0x3bffffff
	v_add_u32_e32 v16, s12, v0
	s_cselect_b64 s[50:51], -1, 0
	s_bfe_u32 s6, s18, 0x10014
	v_mov_b32_e32 v0, 0x46000000
	s_add_i32 s9, s18, s6
	v_add_f32_e64 v0, |s18|, v0
	s_add_i32 s6, s9, 0x487ffff
	v_readfirstlane_b32 s92, v0
	s_lshr_b32 s91, s6, 20
	s_and_b32 s6, s92, 0xff
	s_cmp_lg_u32 s6, 0
	s_cselect_b64 s[54:55], -1, 0
	s_lshr_b32 s6, s18, 24
	s_and_b32 s81, s6, 0x80
	s_cmp_gt_u32 s8, 0x477fffff
	s_cselect_b64 s[6:7], -1, 0
	s_cmp_lt_u32 s8, 0x47800000
	s_cselect_b64 s[46:47], -1, 0
	s_cmp_gt_u32 s8, 0x37ffffff
	s_cselect_b64 s[44:45], -1, 0
	s_bfe_u32 s12, s18, 0x10015
	v_mov_b32_e32 v0, 0x42800000
	s_add_i32 s12, s18, s12
	v_add_f32_e64 v0, |s18|, v0
	s_add_i32 s13, s12, 0x88fffff
	v_readfirstlane_b32 s90, v0
	s_lshr_b32 s88, s13, 21
	s_and_b32 s13, s90, 0xff
	s_cmp_lg_u32 s13, 0
	s_cselect_b64 s[48:49], -1, 0
	s_cmp_gt_u32 s8, 0x43efffff
	s_cselect_b64 s[40:41], -1, 0
	s_cmp_lt_u32 s8, 0x3c800000
	s_cselect_b64 s[42:43], -1, 0
	s_add_i32 s9, s9, 0x407ffff
	s_lshr_b32 s13, s9, 20
	s_and_b32 s9, s9, 0xff00000
	s_cmp_lg_u32 s9, 0x7f00000
	s_cselect_b32 s86, s13, 0x7e
	s_cmp_lt_u32 s8, 0x38800000
	s_cselect_b64 s[38:39], -1, 0
	s_add_i32 s12, s12, 0x80fffff
	s_lshr_b32 s83, s12, 21
	s_cmp_gt_u32 s8, 0x7f800000
	s_movk_i32 s8, 0x7f
	s_cselect_b32 s89, s8, 0x7e
	s_movk_i32 s8, 0x7c
	s_cselect_b32 s85, 0x7f, s8
	s_bfe_u32 s8, s18, 0x10010
	s_add_i32 s8, s18, s8
	s_addk_i32 s8, 0x7fff
	s_lshr_b32 s12, s8, 16
	v_cmp_o_f32_e64 s[8:9], s18, s18
	s_mov_b32 s10, 0x2f800000
	s_and_b64 s[8:9], s[8:9], exec
	s_cselect_b32 s82, s12, 0x7fc0
	s_or_b32 s8, s18, s19
	v_mul_f32_e64 v8, |v4|, s10
	s_mov_b32 s11, 0xcf800000
	s_bitset0_b32 s8, 31
	v_floor_f32_e32 v8, v8
	s_cmp_lg_u32 s8, 0
	v_cvt_f16_f32_e32 v11, s18
	v_cvt_f16_f32_sdwa v5, s19 dst_sel:WORD_1 dst_unused:UNUSED_PAD src0_sel:DWORD
	v_fma_f32 v9, v8, s11, |v4|
	s_cselect_b64 s[8:9], -1, 0
	v_cvt_u32_f32_e32 v9, v9
	v_cndmask_b32_e64 v14, 0, 1, s[8:9]
	s_bfe_u32 s8, s19, 0x10010
	v_cvt_u32_f32_e32 v8, v8
	s_add_i32 s8, s19, s8
	s_load_dword s93, s[4:5], 0x118
	v_mov_b32_e32 v0, 0x46800000
	s_addk_i32 s8, 0x7fff
	v_or_b32_e32 v13, v5, v11
	v_ashrrev_i32_e32 v5, 31, v4
	v_cvt_u32_f32_e32 v6, v1
	v_cvt_u32_f32_e32 v15, s18
	v_add_f32_e64 v0, |s18|, v0
	s_and_b32 s12, s8, 0xffff0000
	v_cmp_o_f32_e64 s[8:9], s19, s19
	v_xor_b32_e32 v4, v9, v5
	v_cvt_i32_f32_e32 v10, s18
	v_readfirstlane_b32 s87, v0
	v_mov_b32_e32 v0, 0x43000000
	s_and_b64 s[8:9], s[8:9], exec
	v_xor_b32_e32 v8, v8, v5
	v_sub_co_u32_e32 v4, vcc, v4, v5
	v_add_f32_e64 v0, |s18|, v0
	s_cselect_b32 s8, s12, 0x7fc00000
	v_subb_co_u32_e32 v5, vcc, v8, v5, vcc
	v_readfirstlane_b32 s84, v0
	v_cvt_f64_f32_e32 v[0:1], s18
	v_cvt_f64_f32_e32 v[2:3], s19
	s_or_b32 s94, s8, s82
	v_cmp_gt_i32_e32 vcc, s95, v12
	s_mov_b64 s[10:11], -1
	s_mov_b64 s[72:73], 0
	s_mov_b64 s[66:67], 0
	s_and_saveexec_b64 s[68:69], vcc
	s_cbranch_execz .LBB71_114
; %bb.2:
	s_andn2_b64 vcc, exec, s[36:37]
	s_cbranch_vccnz .LBB71_7
; %bb.3:
	s_andn2_b64 vcc, exec, s[64:65]
	s_cbranch_vccnz .LBB71_8
; %bb.4:
	s_add_i32 s74, s58, 1
	s_mov_b32 s59, 0
	s_cmp_eq_u32 s80, 2
	v_mov_b32_e32 v8, 0
	s_cbranch_scc1 .LBB71_9
; %bb.5:
	s_and_b32 s59, s74, 28
	s_mov_b32 s75, 0
	v_mov_b32_e32 v8, 0
	s_mov_b64 s[66:67], s[4:5]
	s_mov_b64 s[70:71], s[62:63]
	v_mov_b32_e32 v17, v12
.LBB71_6:                               ; =>This Inner Loop Header: Depth=1
	s_load_dwordx8 s[8:15], s[66:67], 0x4
	s_load_dwordx4 s[24:27], s[66:67], 0x24
	s_load_dwordx4 s[28:31], s[70:71], 0x0
	s_add_u32 s66, s66, 48
	s_addc_u32 s67, s67, 0
	s_waitcnt lgkmcnt(0)
	v_mul_hi_u32 v9, s9, v17
	v_add_u32_e32 v9, v17, v9
	v_lshrrev_b32_e32 v9, s10, v9
	v_mul_lo_u32 v18, v9, s8
	v_mul_hi_u32 v19, s12, v9
	v_sub_u32_e32 v17, v17, v18
	v_add_u32_e32 v18, v9, v19
	v_lshrrev_b32_e32 v18, s13, v18
	v_mul_lo_u32 v19, v18, s11
	v_mul_hi_u32 v20, s15, v18
	v_sub_u32_e32 v9, v9, v19
	v_add_u32_e32 v19, v18, v20
	v_mul_lo_u32 v17, v17, s28
	v_mul_lo_u32 v9, v9, s29
	v_lshrrev_b32_e32 v19, s24, v19
	v_add3_u32 v8, v17, v8, v9
	v_mul_hi_u32 v17, s26, v19
	v_add_u32_e32 v17, v19, v17
	v_mul_lo_u32 v9, v19, s14
	v_lshrrev_b32_e32 v17, s27, v17
	s_add_i32 s75, s75, 4
	v_sub_u32_e32 v9, v18, v9
	v_mul_lo_u32 v18, v17, s25
	s_add_u32 s70, s70, 16
	v_sub_u32_e32 v18, v19, v18
	s_addc_u32 s71, s71, 0
	v_mul_lo_u32 v9, v9, s30
	v_mul_lo_u32 v18, v18, s31
	s_cmp_lg_u32 s59, s75
	v_add3_u32 v8, v9, v8, v18
	s_cbranch_scc1 .LBB71_6
	s_branch .LBB71_10
.LBB71_7:
                                        ; implicit-def: $vgpr8
	s_branch .LBB71_14
.LBB71_8:
	v_mov_b32_e32 v8, 0
	s_branch .LBB71_13
.LBB71_9:
	v_mov_b32_e32 v17, v12
.LBB71_10:
	s_and_b32 s12, s74, 3
	s_cmp_eq_u32 s12, 0
	s_cbranch_scc1 .LBB71_13
; %bb.11:
	s_lshl_b32 s8, s59, 2
	s_add_u32 s8, s8, s4
	s_addc_u32 s9, s5, 0
	s_add_u32 s8, s8, 0xc4
	s_addc_u32 s9, s9, 0
	s_mul_i32 s10, s59, 12
	s_add_u32 s10, s4, s10
	s_addc_u32 s11, s5, 0
.LBB71_12:                              ; =>This Inner Loop Header: Depth=1
	s_load_dwordx2 s[14:15], s[10:11], 0x4
	s_load_dword s13, s[10:11], 0xc
	s_load_dword s24, s[8:9], 0x0
	s_add_u32 s10, s10, 12
	s_addc_u32 s11, s11, 0
	s_waitcnt lgkmcnt(0)
	v_mul_hi_u32 v9, s15, v17
	v_add_u32_e32 v9, v17, v9
	v_lshrrev_b32_e32 v9, s13, v9
	s_add_u32 s8, s8, 4
	v_mul_lo_u32 v18, v9, s14
	s_addc_u32 s9, s9, 0
	s_add_i32 s12, s12, -1
	v_sub_u32_e32 v18, v17, v18
	s_cmp_lg_u32 s12, 0
	v_mov_b32_e32 v17, v9
	v_mad_u64_u32 v[8:9], s[14:15], v18, s24, v[8:9]
	s_cbranch_scc1 .LBB71_12
.LBB71_13:
	s_cbranch_execnz .LBB71_16
.LBB71_14:
	v_mul_hi_u32 v8, s21, v12
	v_add_u32_e32 v8, v12, v8
	v_lshrrev_b32_e32 v9, s22, v8
	v_mul_lo_u32 v8, v9, s20
	v_sub_u32_e32 v8, v12, v8
	s_andn2_b64 vcc, exec, s[60:61]
	v_mul_lo_u32 v8, v8, s56
	s_cbranch_vccnz .LBB71_16
; %bb.15:
	v_mul_hi_u32 v17, s78, v9
	v_add_u32_e32 v17, v9, v17
	v_lshrrev_b32_e32 v17, s79, v17
	v_mul_lo_u32 v17, v17, s23
	v_sub_u32_e32 v9, v9, v17
	v_mad_u64_u32 v[8:9], s[8:9], v9, s57, v[8:9]
.LBB71_16:
	v_mov_b32_e32 v9, s17
	v_add_co_u32_e32 v8, vcc, s16, v8
	v_mov_b32_e32 v17, 11
	v_addc_co_u32_e32 v9, vcc, 0, v9, vcc
	s_waitcnt lgkmcnt(0)
	v_cmp_lt_i16_sdwa s[8:9], s93, v17 src0_sel:BYTE_0 src1_sel:DWORD
	s_and_b64 vcc, exec, s[8:9]
	s_cbranch_vccnz .LBB71_23
; %bb.17:
	v_mov_b32_e32 v17, 25
	v_cmp_gt_i16_sdwa s[8:9], s93, v17 src0_sel:BYTE_0 src1_sel:DWORD
	s_and_b64 vcc, exec, s[8:9]
	s_cbranch_vccz .LBB71_26
; %bb.18:
	v_mov_b32_e32 v17, 28
	v_cmp_gt_i16_sdwa s[8:9], s93, v17 src0_sel:BYTE_0 src1_sel:DWORD
	s_and_b64 vcc, exec, s[8:9]
	s_cbranch_vccz .LBB71_27
	;; [unrolled: 5-line block ×4, first 2 shown]
; %bb.21:
	v_mov_b32_e32 v17, 46
	v_cmp_eq_u16_sdwa s[10:11], s93, v17 src0_sel:BYTE_0 src1_sel:DWORD
	s_mov_b64 s[12:13], 0
	s_mov_b64 s[8:9], -1
	s_and_b64 vcc, exec, s[10:11]
	s_mov_b64 s[10:11], 0
	s_cbranch_vccz .LBB71_30
; %bb.22:
	v_mov_b32_e32 v17, s94
	global_store_dword v[8:9], v17, off
	s_mov_b64 s[10:11], -1
	s_mov_b64 s[8:9], 0
	s_branch .LBB71_30
.LBB71_23:
	s_mov_b64 s[8:9], 0
	s_mov_b64 s[10:11], 0
	s_cbranch_execnz .LBB71_74
.LBB71_24:
	s_andn2_b64 vcc, exec, s[10:11]
	s_cbranch_vccnz .LBB71_112
.LBB71_25:
	v_add_u32_e32 v12, 0x80, v12
	s_mov_b64 s[10:11], -1
	s_branch .LBB71_113
.LBB71_26:
	s_mov_b64 s[8:9], 0
	s_mov_b64 s[10:11], 0
	s_cbranch_execnz .LBB71_52
	s_branch .LBB71_73
.LBB71_27:
	s_mov_b64 s[12:13], -1
	s_mov_b64 s[8:9], 0
	s_mov_b64 s[10:11], 0
	s_branch .LBB71_38
.LBB71_28:
	s_mov_b64 s[12:13], -1
	s_mov_b64 s[8:9], 0
	s_mov_b64 s[10:11], 0
	s_branch .LBB71_34
.LBB71_29:
	s_mov_b64 s[12:13], -1
	s_mov_b64 s[8:9], 0
	s_mov_b64 s[10:11], 0
.LBB71_30:
	s_and_b64 vcc, exec, s[12:13]
	s_cbranch_vccz .LBB71_33
; %bb.31:
	v_mov_b32_e32 v17, 44
	v_cmp_eq_u16_sdwa s[12:13], s93, v17 src0_sel:BYTE_0 src1_sel:DWORD
	s_mov_b64 s[8:9], -1
	s_and_b64 vcc, exec, s[12:13]
	s_cbranch_vccz .LBB71_33
; %bb.32:
	v_mov_b32_e32 v17, 0xff
	v_cndmask_b32_e64 v17, v16, v17, s[0:1]
	global_store_byte v[8:9], v17, off
	s_mov_b64 s[10:11], -1
	s_mov_b64 s[8:9], 0
.LBB71_33:
	s_mov_b64 s[12:13], 0
.LBB71_34:
	s_and_b64 vcc, exec, s[12:13]
	s_cbranch_vccz .LBB71_37
; %bb.35:
	v_mov_b32_e32 v17, 29
	v_cmp_eq_u16_sdwa s[12:13], s93, v17 src0_sel:BYTE_0 src1_sel:DWORD
	s_mov_b64 s[8:9], -1
	s_and_b64 vcc, exec, s[12:13]
	s_cbranch_vccz .LBB71_37
; %bb.36:
	global_store_dwordx2 v[8:9], v[6:7], off
	s_mov_b64 s[10:11], -1
	s_mov_b64 s[8:9], 0
.LBB71_37:
	s_mov_b64 s[12:13], 0
.LBB71_38:
	s_and_b64 vcc, exec, s[12:13]
	s_cbranch_vccz .LBB71_51
; %bb.39:
	v_mov_b32_e32 v17, 27
	v_cmp_lt_i16_sdwa s[12:13], s93, v17 src0_sel:BYTE_0 src1_sel:DWORD
	s_mov_b64 s[10:11], -1
	s_and_b64 vcc, exec, s[12:13]
	s_cbranch_vccnz .LBB71_45
; %bb.40:
	v_cmp_gt_i16_sdwa s[12:13], s93, v17 src0_sel:BYTE_0 src1_sel:DWORD
	s_and_b64 vcc, exec, s[12:13]
	s_cbranch_vccz .LBB71_42
; %bb.41:
	s_mov_b64 s[10:11], 0
	global_store_dword v[8:9], v15, off
.LBB71_42:
	s_andn2_b64 vcc, exec, s[10:11]
	s_cbranch_vccnz .LBB71_44
; %bb.43:
	global_store_short v[8:9], v15, off
.LBB71_44:
	s_mov_b64 s[10:11], 0
.LBB71_45:
	s_andn2_b64 vcc, exec, s[10:11]
	s_cbranch_vccnz .LBB71_50
; %bb.46:
	s_andn2_b64 vcc, exec, s[52:53]
	s_movk_i32 s10, 0x80
	s_cbranch_vccnz .LBB71_49
; %bb.47:
	s_or_b64 s[10:11], s[50:51], s[54:55]
	s_andn2_b64 vcc, exec, s[10:11]
	s_mov_b32 s10, 0
	s_cbranch_vccnz .LBB71_49
; %bb.48:
	s_and_b64 s[10:11], s[50:51], exec
	s_cselect_b32 s10, s91, s92
	s_or_b32 s10, s10, s81
.LBB71_49:
	v_mov_b32_e32 v17, s10
	global_store_byte v[8:9], v17, off
.LBB71_50:
	s_mov_b64 s[10:11], -1
.LBB71_51:
	s_branch .LBB71_73
.LBB71_52:
	v_mov_b32_e32 v17, 22
	v_cmp_gt_i16_sdwa s[14:15], s93, v17 src0_sel:BYTE_0 src1_sel:DWORD
	s_mov_b64 s[12:13], -1
	s_and_b64 vcc, exec, s[14:15]
	s_cbranch_vccz .LBB71_65
; %bb.53:
	v_mov_b32_e32 v17, 24
	v_cmp_lt_i16_sdwa s[12:13], s93, v17 src0_sel:BYTE_0 src1_sel:DWORD
	s_mov_b64 s[10:11], -1
	s_and_b64 vcc, exec, s[12:13]
	s_cbranch_vccnz .LBB71_62
; %bb.54:
	v_cmp_gt_i16_sdwa s[12:13], s93, v17 src0_sel:BYTE_0 src1_sel:DWORD
	s_and_b64 vcc, exec, s[12:13]
	s_cbranch_vccz .LBB71_59
; %bb.55:
	s_andn2_b64 vcc, exec, s[46:47]
	s_movk_i32 s10, 0x80
	s_cbranch_vccnz .LBB71_58
; %bb.56:
	s_or_b64 s[10:11], s[44:45], s[48:49]
	s_andn2_b64 vcc, exec, s[10:11]
	s_mov_b32 s10, 0
	s_cbranch_vccnz .LBB71_58
; %bb.57:
	s_and_b64 s[10:11], s[44:45], exec
	s_cselect_b32 s10, s88, s90
	s_or_b32 s10, s10, s81
.LBB71_58:
	v_mov_b32_e32 v17, s10
	s_mov_b64 s[10:11], 0
	global_store_byte v[8:9], v17, off
.LBB71_59:
	s_and_b64 vcc, exec, s[10:11]
	s_cbranch_vccz .LBB71_61
; %bb.60:
	s_and_b64 s[10:11], s[42:43], exec
	s_cselect_b32 s12, s87, s86
	s_and_b64 s[10:11], s[40:41], exec
	s_cselect_b32 s10, s89, s12
	s_or_b32 s10, s10, s81
	v_mov_b32_e32 v17, s10
	global_store_byte v[8:9], v17, off
.LBB71_61:
	s_mov_b64 s[10:11], 0
.LBB71_62:
	s_andn2_b64 vcc, exec, s[10:11]
	s_cbranch_vccnz .LBB71_64
; %bb.63:
	s_and_b64 s[10:11], s[38:39], exec
	s_cselect_b32 s12, s84, s83
	s_and_b64 s[10:11], s[6:7], exec
	s_cselect_b32 s10, s85, s12
	s_or_b32 s10, s10, s81
	v_mov_b32_e32 v17, s10
	global_store_byte v[8:9], v17, off
.LBB71_64:
	s_mov_b64 s[12:13], 0
	s_mov_b64 s[10:11], -1
.LBB71_65:
	s_andn2_b64 vcc, exec, s[12:13]
	s_cbranch_vccnz .LBB71_73
; %bb.66:
	v_mov_b32_e32 v17, 14
	v_cmp_gt_i16_sdwa s[14:15], s93, v17 src0_sel:BYTE_0 src1_sel:DWORD
	s_mov_b64 s[12:13], -1
	s_and_b64 vcc, exec, s[14:15]
	s_cbranch_vccz .LBB71_70
; %bb.67:
	v_mov_b32_e32 v17, 15
	v_cmp_eq_u16_sdwa s[12:13], s93, v17 src0_sel:BYTE_0 src1_sel:DWORD
	s_mov_b64 s[8:9], -1
	s_and_b64 vcc, exec, s[12:13]
	s_cbranch_vccz .LBB71_69
; %bb.68:
	v_mov_b32_e32 v17, s82
	global_store_short v[8:9], v17, off
	s_mov_b64 s[10:11], -1
	s_mov_b64 s[8:9], 0
.LBB71_69:
	s_mov_b64 s[12:13], 0
.LBB71_70:
	s_and_b64 vcc, exec, s[12:13]
	s_cbranch_vccz .LBB71_73
; %bb.71:
	v_mov_b32_e32 v17, 11
	v_cmp_eq_u16_sdwa s[12:13], s93, v17 src0_sel:BYTE_0 src1_sel:DWORD
	s_mov_b64 s[8:9], -1
	s_and_b64 vcc, exec, s[12:13]
	s_cbranch_vccz .LBB71_73
; %bb.72:
	s_mov_b64 s[10:11], -1
	s_mov_b64 s[8:9], 0
	global_store_byte v[8:9], v14, off
.LBB71_73:
	s_branch .LBB71_24
.LBB71_74:
	v_mov_b32_e32 v17, 5
	v_cmp_lt_i16_sdwa s[12:13], s93, v17 src0_sel:BYTE_0 src1_sel:DWORD
	s_mov_b64 s[10:11], -1
	s_and_b64 vcc, exec, s[12:13]
	s_cbranch_vccnz .LBB71_95
; %bb.75:
	v_mov_b32_e32 v17, 8
	v_cmp_lt_i16_sdwa s[12:13], s93, v17 src0_sel:BYTE_0 src1_sel:DWORD
	s_and_b64 vcc, exec, s[12:13]
	s_cbranch_vccnz .LBB71_85
; %bb.76:
	v_mov_b32_e32 v17, 9
	v_cmp_lt_i16_sdwa s[12:13], s93, v17 src0_sel:BYTE_0 src1_sel:DWORD
	s_and_b64 vcc, exec, s[12:13]
	s_cbranch_vccnz .LBB71_82
; %bb.77:
	v_cmp_gt_i16_sdwa s[12:13], s93, v17 src0_sel:BYTE_0 src1_sel:DWORD
	s_and_b64 vcc, exec, s[12:13]
	s_cbranch_vccz .LBB71_79
; %bb.78:
	global_store_dwordx4 v[8:9], v[0:3], off
	s_mov_b64 s[10:11], 0
.LBB71_79:
	s_andn2_b64 vcc, exec, s[10:11]
	s_cbranch_vccnz .LBB71_81
; %bb.80:
	v_pk_mov_b32 v[18:19], s[18:19], s[18:19] op_sel:[0,1]
	global_store_dwordx2 v[8:9], v[18:19], off
.LBB71_81:
	s_mov_b64 s[10:11], 0
.LBB71_82:
	s_andn2_b64 vcc, exec, s[10:11]
	s_cbranch_vccnz .LBB71_84
; %bb.83:
	global_store_dword v[8:9], v13, off
.LBB71_84:
	s_mov_b64 s[10:11], 0
.LBB71_85:
	s_andn2_b64 vcc, exec, s[10:11]
	s_cbranch_vccnz .LBB71_94
; %bb.86:
	v_mov_b32_e32 v17, 6
	v_cmp_lt_i16_sdwa s[12:13], s93, v17 src0_sel:BYTE_0 src1_sel:DWORD
	s_mov_b64 s[10:11], -1
	s_and_b64 vcc, exec, s[12:13]
	s_cbranch_vccnz .LBB71_92
; %bb.87:
	v_cmp_gt_i16_sdwa s[12:13], s93, v17 src0_sel:BYTE_0 src1_sel:DWORD
	s_and_b64 vcc, exec, s[12:13]
	s_cbranch_vccz .LBB71_89
; %bb.88:
	global_store_dwordx2 v[8:9], v[0:1], off
	s_mov_b64 s[10:11], 0
.LBB71_89:
	s_andn2_b64 vcc, exec, s[10:11]
	s_cbranch_vccnz .LBB71_91
; %bb.90:
	v_mov_b32_e32 v17, s18
	global_store_dword v[8:9], v17, off
.LBB71_91:
	s_mov_b64 s[10:11], 0
.LBB71_92:
	s_andn2_b64 vcc, exec, s[10:11]
	s_cbranch_vccnz .LBB71_94
; %bb.93:
	global_store_short v[8:9], v11, off
.LBB71_94:
	s_mov_b64 s[10:11], 0
.LBB71_95:
	s_andn2_b64 vcc, exec, s[10:11]
	s_cbranch_vccnz .LBB71_111
; %bb.96:
	v_mov_b32_e32 v17, 2
	v_cmp_lt_i16_sdwa s[12:13], s93, v17 src0_sel:BYTE_0 src1_sel:DWORD
	s_mov_b64 s[10:11], -1
	s_and_b64 vcc, exec, s[12:13]
	s_cbranch_vccnz .LBB71_106
; %bb.97:
	v_mov_b32_e32 v17, 3
	v_cmp_lt_i16_sdwa s[12:13], s93, v17 src0_sel:BYTE_0 src1_sel:DWORD
	s_and_b64 vcc, exec, s[12:13]
	s_cbranch_vccnz .LBB71_103
; %bb.98:
	v_cmp_gt_i16_sdwa s[12:13], s93, v17 src0_sel:BYTE_0 src1_sel:DWORD
	s_and_b64 vcc, exec, s[12:13]
	s_cbranch_vccz .LBB71_100
; %bb.99:
	global_store_dwordx2 v[8:9], v[4:5], off
	s_mov_b64 s[10:11], 0
.LBB71_100:
	s_andn2_b64 vcc, exec, s[10:11]
	s_cbranch_vccnz .LBB71_102
; %bb.101:
	global_store_dword v[8:9], v10, off
.LBB71_102:
	s_mov_b64 s[10:11], 0
.LBB71_103:
	s_andn2_b64 vcc, exec, s[10:11]
	s_cbranch_vccnz .LBB71_105
; %bb.104:
	global_store_short v[8:9], v10, off
.LBB71_105:
	s_mov_b64 s[10:11], 0
.LBB71_106:
	s_andn2_b64 vcc, exec, s[10:11]
	s_cbranch_vccnz .LBB71_111
; %bb.107:
	v_mov_b32_e32 v17, 0
	v_cmp_gt_i16_sdwa s[12:13], s93, v17 src0_sel:BYTE_0 src1_sel:DWORD
	s_mov_b64 s[10:11], -1
	s_and_b64 vcc, exec, s[12:13]
	s_cbranch_vccz .LBB71_109
; %bb.108:
	global_store_byte v[8:9], v10, off
	s_mov_b64 s[10:11], 0
.LBB71_109:
	s_andn2_b64 vcc, exec, s[10:11]
	s_cbranch_vccnz .LBB71_111
; %bb.110:
	global_store_byte v[8:9], v4, off
.LBB71_111:
	s_branch .LBB71_25
.LBB71_112:
	s_mov_b64 s[10:11], 0
                                        ; implicit-def: $vgpr12
.LBB71_113:
	s_and_b64 s[66:67], s[8:9], exec
	s_orn2_b64 s[10:11], s[10:11], exec
.LBB71_114:
	s_or_b64 exec, exec, s[68:69]
	s_mov_b64 s[8:9], 0
                                        ; implicit-def: $vgpr17
                                        ; implicit-def: $vgpr8_vgpr9
	s_and_saveexec_b64 s[68:69], s[10:11]
	s_cbranch_execz .LBB71_121
; %bb.115:
	v_cmp_gt_i32_e32 vcc, s95, v12
	s_mov_b64 s[8:9], -1
	s_mov_b64 s[70:71], s[66:67]
	s_and_saveexec_b64 s[72:73], vcc
	s_cbranch_execz .LBB71_232
; %bb.116:
	s_andn2_b64 vcc, exec, s[36:37]
	s_cbranch_vccnz .LBB71_124
; %bb.117:
	s_andn2_b64 vcc, exec, s[64:65]
	s_cbranch_vccnz .LBB71_125
; %bb.118:
	s_add_i32 s76, s58, 1
	s_mov_b32 s59, 0
	s_cmp_eq_u32 s80, 2
	v_mov_b32_e32 v8, 0
	s_cbranch_scc1 .LBB71_126
; %bb.119:
	s_and_b32 s59, s76, 28
	s_mov_b32 s77, 0
	v_mov_b32_e32 v8, 0
	s_mov_b64 s[70:71], s[4:5]
	s_mov_b64 s[74:75], s[62:63]
	v_mov_b32_e32 v17, v12
.LBB71_120:                             ; =>This Inner Loop Header: Depth=1
	s_load_dwordx8 s[8:15], s[70:71], 0x4
	s_load_dwordx4 s[24:27], s[70:71], 0x24
	s_load_dwordx4 s[28:31], s[74:75], 0x0
	s_add_u32 s70, s70, 48
	s_addc_u32 s71, s71, 0
	s_waitcnt lgkmcnt(0)
	v_mul_hi_u32 v9, s9, v17
	v_add_u32_e32 v9, v17, v9
	v_lshrrev_b32_e32 v9, s10, v9
	v_mul_lo_u32 v18, v9, s8
	v_mul_hi_u32 v19, s12, v9
	v_sub_u32_e32 v17, v17, v18
	v_add_u32_e32 v18, v9, v19
	v_lshrrev_b32_e32 v18, s13, v18
	v_mul_lo_u32 v19, v18, s11
	v_mul_hi_u32 v20, s15, v18
	v_sub_u32_e32 v9, v9, v19
	v_add_u32_e32 v19, v18, v20
	v_mul_lo_u32 v17, v17, s28
	v_mul_lo_u32 v9, v9, s29
	v_lshrrev_b32_e32 v19, s24, v19
	v_add3_u32 v8, v17, v8, v9
	v_mul_hi_u32 v17, s26, v19
	v_add_u32_e32 v17, v19, v17
	v_mul_lo_u32 v9, v19, s14
	v_lshrrev_b32_e32 v17, s27, v17
	s_add_i32 s77, s77, 4
	v_sub_u32_e32 v9, v18, v9
	v_mul_lo_u32 v18, v17, s25
	s_add_u32 s74, s74, 16
	v_sub_u32_e32 v18, v19, v18
	s_addc_u32 s75, s75, 0
	v_mul_lo_u32 v9, v9, s30
	v_mul_lo_u32 v18, v18, s31
	s_cmp_eq_u32 s59, s77
	v_add3_u32 v8, v9, v8, v18
	s_cbranch_scc0 .LBB71_120
	s_branch .LBB71_127
.LBB71_121:
	s_or_b64 exec, exec, s[68:69]
	s_mov_b64 s[0:1], 0
	s_and_saveexec_b64 s[6:7], s[66:67]
	s_cbranch_execnz .LBB71_423
.LBB71_122:
	s_or_b64 exec, exec, s[6:7]
	s_and_saveexec_b64 s[6:7], s[72:73]
	s_xor_b64 s[6:7], exec, s[6:7]
	s_cbranch_execz .LBB71_424
.LBB71_123:
	global_store_byte v[8:9], v14, off
	s_or_b64 exec, exec, s[6:7]
	s_and_saveexec_b64 s[6:7], s[8:9]
	s_xor_b64 s[6:7], exec, s[6:7]
	s_cbranch_execz .LBB71_462
	s_branch .LBB71_425
.LBB71_124:
                                        ; implicit-def: $vgpr8
	s_andn2_b64 vcc, exec, s[8:9]
	s_cbranch_vccz .LBB71_131
	s_branch .LBB71_133
.LBB71_125:
	v_mov_b32_e32 v8, 0
	s_branch .LBB71_130
.LBB71_126:
	v_mov_b32_e32 v17, v12
.LBB71_127:
	s_and_b32 s12, s76, 3
	s_cmp_eq_u32 s12, 0
	s_cbranch_scc1 .LBB71_130
; %bb.128:
	s_lshl_b32 s8, s59, 2
	s_add_u32 s8, s8, s4
	s_addc_u32 s9, s5, 0
	s_add_u32 s8, s8, 0xc4
	s_addc_u32 s9, s9, 0
	s_mul_i32 s10, s59, 12
	s_add_u32 s10, s4, s10
	s_addc_u32 s11, s5, 0
.LBB71_129:                             ; =>This Inner Loop Header: Depth=1
	s_load_dwordx2 s[14:15], s[10:11], 0x4
	s_load_dword s13, s[10:11], 0xc
	s_load_dword s24, s[8:9], 0x0
	s_add_u32 s10, s10, 12
	s_addc_u32 s11, s11, 0
	s_waitcnt lgkmcnt(0)
	v_mul_hi_u32 v9, s15, v17
	v_add_u32_e32 v9, v17, v9
	v_lshrrev_b32_e32 v9, s13, v9
	s_add_u32 s8, s8, 4
	v_mul_lo_u32 v18, v9, s14
	s_addc_u32 s9, s9, 0
	s_add_i32 s12, s12, -1
	v_sub_u32_e32 v18, v17, v18
	s_cmp_lg_u32 s12, 0
	v_mov_b32_e32 v17, v9
	v_mad_u64_u32 v[8:9], s[14:15], v18, s24, v[8:9]
	s_cbranch_scc1 .LBB71_129
.LBB71_130:
	s_cbranch_execnz .LBB71_133
.LBB71_131:
	v_mul_hi_u32 v8, s21, v12
	v_add_u32_e32 v8, v12, v8
	v_lshrrev_b32_e32 v9, s22, v8
	v_mul_lo_u32 v8, v9, s20
	v_sub_u32_e32 v8, v12, v8
	s_andn2_b64 vcc, exec, s[60:61]
	v_mul_lo_u32 v8, v8, s56
	s_cbranch_vccnz .LBB71_133
; %bb.132:
	v_mul_hi_u32 v17, s78, v9
	v_add_u32_e32 v17, v9, v17
	v_lshrrev_b32_e32 v17, s79, v17
	v_mul_lo_u32 v17, v17, s23
	v_sub_u32_e32 v9, v9, v17
	v_mad_u64_u32 v[8:9], s[8:9], v9, s57, v[8:9]
.LBB71_133:
	v_mov_b32_e32 v9, s17
	v_add_co_u32_e32 v8, vcc, s16, v8
	v_mov_b32_e32 v17, 11
	v_addc_co_u32_e32 v9, vcc, 0, v9, vcc
	s_waitcnt lgkmcnt(0)
	v_cmp_lt_i16_sdwa s[8:9], s93, v17 src0_sel:BYTE_0 src1_sel:DWORD
	s_and_b64 vcc, exec, s[8:9]
	s_cbranch_vccnz .LBB71_140
; %bb.134:
	v_mov_b32_e32 v17, 25
	v_cmp_gt_i16_sdwa s[8:9], s93, v17 src0_sel:BYTE_0 src1_sel:DWORD
	s_and_b64 vcc, exec, s[8:9]
	s_cbranch_vccz .LBB71_143
; %bb.135:
	v_mov_b32_e32 v17, 28
	v_cmp_gt_i16_sdwa s[8:9], s93, v17 src0_sel:BYTE_0 src1_sel:DWORD
	s_and_b64 vcc, exec, s[8:9]
	s_cbranch_vccz .LBB71_144
; %bb.136:
	v_mov_b32_e32 v17, 43
	v_cmp_gt_i16_sdwa s[8:9], s93, v17 src0_sel:BYTE_0 src1_sel:DWORD
	s_and_b64 vcc, exec, s[8:9]
	s_cbranch_vccz .LBB71_145
; %bb.137:
	v_mov_b32_e32 v17, 45
	v_cmp_gt_i16_sdwa s[8:9], s93, v17 src0_sel:BYTE_0 src1_sel:DWORD
	s_and_b64 vcc, exec, s[8:9]
	s_cbranch_vccz .LBB71_146
; %bb.138:
	v_mov_b32_e32 v17, 46
	v_cmp_eq_u16_sdwa s[10:11], s93, v17 src0_sel:BYTE_0 src1_sel:DWORD
	s_mov_b64 s[12:13], 0
	s_mov_b64 s[8:9], -1
	s_and_b64 vcc, exec, s[10:11]
	s_mov_b64 s[10:11], 0
	s_cbranch_vccz .LBB71_147
; %bb.139:
	v_mov_b32_e32 v17, s94
	global_store_dword v[8:9], v17, off
	s_mov_b64 s[10:11], -1
	s_mov_b64 s[8:9], 0
	s_branch .LBB71_147
.LBB71_140:
	s_mov_b64 s[10:11], 0
	s_mov_b64 s[8:9], s[66:67]
	s_cbranch_execnz .LBB71_192
.LBB71_141:
	s_andn2_b64 vcc, exec, s[10:11]
	s_cbranch_vccnz .LBB71_230
.LBB71_142:
	v_add_u32_e32 v12, 0x80, v12
	s_mov_b64 s[10:11], -1
	s_branch .LBB71_231
.LBB71_143:
	s_mov_b64 s[12:13], -1
	s_mov_b64 s[10:11], 0
	s_mov_b64 s[8:9], s[66:67]
	s_branch .LBB71_169
.LBB71_144:
	s_mov_b64 s[12:13], -1
	s_mov_b64 s[10:11], 0
	s_mov_b64 s[8:9], s[66:67]
	s_branch .LBB71_155
.LBB71_145:
	s_mov_b64 s[12:13], -1
	s_mov_b64 s[10:11], 0
	s_mov_b64 s[8:9], s[66:67]
	s_branch .LBB71_151
.LBB71_146:
	s_mov_b64 s[12:13], -1
	s_mov_b64 s[10:11], 0
	s_mov_b64 s[8:9], s[66:67]
.LBB71_147:
	s_and_b64 vcc, exec, s[12:13]
	s_cbranch_vccz .LBB71_150
; %bb.148:
	v_mov_b32_e32 v17, 44
	v_cmp_eq_u16_sdwa s[12:13], s93, v17 src0_sel:BYTE_0 src1_sel:DWORD
	s_mov_b64 s[8:9], -1
	s_and_b64 vcc, exec, s[12:13]
	s_cbranch_vccz .LBB71_150
; %bb.149:
	v_mov_b32_e32 v17, 0xff
	v_cndmask_b32_e64 v17, v16, v17, s[0:1]
	s_mov_b64 s[10:11], -1
	s_mov_b64 s[8:9], 0
	global_store_byte v[8:9], v17, off
.LBB71_150:
	s_mov_b64 s[12:13], 0
.LBB71_151:
	s_and_b64 vcc, exec, s[12:13]
	s_cbranch_vccz .LBB71_154
; %bb.152:
	v_mov_b32_e32 v17, 29
	v_cmp_eq_u16_sdwa s[12:13], s93, v17 src0_sel:BYTE_0 src1_sel:DWORD
	s_mov_b64 s[8:9], -1
	s_and_b64 vcc, exec, s[12:13]
	s_cbranch_vccz .LBB71_154
; %bb.153:
	global_store_dwordx2 v[8:9], v[6:7], off
	s_mov_b64 s[10:11], -1
	s_mov_b64 s[8:9], 0
.LBB71_154:
	s_mov_b64 s[12:13], 0
.LBB71_155:
	s_and_b64 vcc, exec, s[12:13]
	s_cbranch_vccz .LBB71_168
; %bb.156:
	v_mov_b32_e32 v17, 27
	v_cmp_lt_i16_sdwa s[12:13], s93, v17 src0_sel:BYTE_0 src1_sel:DWORD
	s_mov_b64 s[10:11], -1
	s_and_b64 vcc, exec, s[12:13]
	s_cbranch_vccnz .LBB71_162
; %bb.157:
	v_cmp_gt_i16_sdwa s[12:13], s93, v17 src0_sel:BYTE_0 src1_sel:DWORD
	s_and_b64 vcc, exec, s[12:13]
	s_cbranch_vccz .LBB71_159
; %bb.158:
	s_mov_b64 s[10:11], 0
	global_store_dword v[8:9], v15, off
.LBB71_159:
	s_andn2_b64 vcc, exec, s[10:11]
	s_cbranch_vccnz .LBB71_161
; %bb.160:
	global_store_short v[8:9], v15, off
.LBB71_161:
	s_mov_b64 s[10:11], 0
.LBB71_162:
	s_andn2_b64 vcc, exec, s[10:11]
	s_cbranch_vccnz .LBB71_167
; %bb.163:
	s_andn2_b64 vcc, exec, s[52:53]
	s_movk_i32 s10, 0x80
	s_cbranch_vccnz .LBB71_166
; %bb.164:
	s_or_b64 s[10:11], s[50:51], s[54:55]
	s_andn2_b64 vcc, exec, s[10:11]
	s_mov_b32 s10, 0
	s_cbranch_vccnz .LBB71_166
; %bb.165:
	s_and_b64 s[10:11], s[50:51], exec
	s_cselect_b32 s10, s91, s92
	s_or_b32 s10, s10, s81
.LBB71_166:
	v_mov_b32_e32 v17, s10
	global_store_byte v[8:9], v17, off
.LBB71_167:
	s_mov_b64 s[10:11], -1
.LBB71_168:
	s_mov_b64 s[12:13], 0
.LBB71_169:
	s_and_b64 vcc, exec, s[12:13]
	s_cbranch_vccz .LBB71_191
; %bb.170:
	v_mov_b32_e32 v17, 22
	v_cmp_gt_i16_sdwa s[14:15], s93, v17 src0_sel:BYTE_0 src1_sel:DWORD
	s_mov_b64 s[12:13], -1
	s_and_b64 vcc, exec, s[14:15]
	s_cbranch_vccz .LBB71_183
; %bb.171:
	v_mov_b32_e32 v17, 24
	v_cmp_lt_i16_sdwa s[12:13], s93, v17 src0_sel:BYTE_0 src1_sel:DWORD
	s_mov_b64 s[10:11], -1
	s_and_b64 vcc, exec, s[12:13]
	s_cbranch_vccnz .LBB71_180
; %bb.172:
	v_cmp_gt_i16_sdwa s[12:13], s93, v17 src0_sel:BYTE_0 src1_sel:DWORD
	s_and_b64 vcc, exec, s[12:13]
	s_cbranch_vccz .LBB71_177
; %bb.173:
	s_andn2_b64 vcc, exec, s[46:47]
	s_movk_i32 s10, 0x80
	s_cbranch_vccnz .LBB71_176
; %bb.174:
	s_or_b64 s[10:11], s[44:45], s[48:49]
	s_andn2_b64 vcc, exec, s[10:11]
	s_mov_b32 s10, 0
	s_cbranch_vccnz .LBB71_176
; %bb.175:
	s_and_b64 s[10:11], s[44:45], exec
	s_cselect_b32 s10, s88, s90
	s_or_b32 s10, s10, s81
.LBB71_176:
	v_mov_b32_e32 v17, s10
	s_mov_b64 s[10:11], 0
	global_store_byte v[8:9], v17, off
.LBB71_177:
	s_and_b64 vcc, exec, s[10:11]
	s_cbranch_vccz .LBB71_179
; %bb.178:
	s_and_b64 s[10:11], s[42:43], exec
	s_cselect_b32 s12, s87, s86
	s_and_b64 s[10:11], s[40:41], exec
	s_cselect_b32 s10, s89, s12
	s_or_b32 s10, s10, s81
	v_mov_b32_e32 v17, s10
	global_store_byte v[8:9], v17, off
.LBB71_179:
	s_mov_b64 s[10:11], 0
.LBB71_180:
	s_andn2_b64 vcc, exec, s[10:11]
	s_cbranch_vccnz .LBB71_182
; %bb.181:
	s_and_b64 s[10:11], s[38:39], exec
	s_cselect_b32 s12, s84, s83
	s_and_b64 s[10:11], s[6:7], exec
	s_cselect_b32 s10, s85, s12
	s_or_b32 s10, s10, s81
	v_mov_b32_e32 v17, s10
	global_store_byte v[8:9], v17, off
.LBB71_182:
	s_mov_b64 s[12:13], 0
	s_mov_b64 s[10:11], -1
.LBB71_183:
	s_andn2_b64 vcc, exec, s[12:13]
	s_cbranch_vccnz .LBB71_191
; %bb.184:
	v_mov_b32_e32 v17, 14
	v_cmp_gt_i16_sdwa s[14:15], s93, v17 src0_sel:BYTE_0 src1_sel:DWORD
	s_mov_b64 s[12:13], -1
	s_and_b64 vcc, exec, s[14:15]
	s_cbranch_vccz .LBB71_188
; %bb.185:
	v_mov_b32_e32 v17, 15
	v_cmp_eq_u16_sdwa s[12:13], s93, v17 src0_sel:BYTE_0 src1_sel:DWORD
	s_mov_b64 s[8:9], -1
	s_and_b64 vcc, exec, s[12:13]
	s_cbranch_vccz .LBB71_187
; %bb.186:
	v_mov_b32_e32 v17, s82
	global_store_short v[8:9], v17, off
	s_mov_b64 s[10:11], -1
	s_mov_b64 s[8:9], 0
.LBB71_187:
	s_mov_b64 s[12:13], 0
.LBB71_188:
	s_and_b64 vcc, exec, s[12:13]
	s_cbranch_vccz .LBB71_191
; %bb.189:
	v_mov_b32_e32 v17, 11
	v_cmp_eq_u16_sdwa s[12:13], s93, v17 src0_sel:BYTE_0 src1_sel:DWORD
	s_mov_b64 s[8:9], -1
	s_and_b64 vcc, exec, s[12:13]
	s_cbranch_vccz .LBB71_191
; %bb.190:
	s_mov_b64 s[10:11], -1
	s_mov_b64 s[8:9], 0
	global_store_byte v[8:9], v14, off
.LBB71_191:
	s_branch .LBB71_141
.LBB71_192:
	v_mov_b32_e32 v17, 5
	v_cmp_lt_i16_sdwa s[12:13], s93, v17 src0_sel:BYTE_0 src1_sel:DWORD
	s_mov_b64 s[10:11], -1
	s_and_b64 vcc, exec, s[12:13]
	s_cbranch_vccnz .LBB71_213
; %bb.193:
	v_mov_b32_e32 v17, 8
	v_cmp_lt_i16_sdwa s[12:13], s93, v17 src0_sel:BYTE_0 src1_sel:DWORD
	s_and_b64 vcc, exec, s[12:13]
	s_cbranch_vccnz .LBB71_203
; %bb.194:
	v_mov_b32_e32 v17, 9
	v_cmp_lt_i16_sdwa s[12:13], s93, v17 src0_sel:BYTE_0 src1_sel:DWORD
	s_and_b64 vcc, exec, s[12:13]
	s_cbranch_vccnz .LBB71_200
; %bb.195:
	v_cmp_gt_i16_sdwa s[12:13], s93, v17 src0_sel:BYTE_0 src1_sel:DWORD
	s_and_b64 vcc, exec, s[12:13]
	s_cbranch_vccz .LBB71_197
; %bb.196:
	s_mov_b64 s[10:11], 0
	global_store_dwordx4 v[8:9], v[0:3], off
.LBB71_197:
	s_andn2_b64 vcc, exec, s[10:11]
	s_cbranch_vccnz .LBB71_199
; %bb.198:
	v_pk_mov_b32 v[18:19], s[18:19], s[18:19] op_sel:[0,1]
	global_store_dwordx2 v[8:9], v[18:19], off
.LBB71_199:
	s_mov_b64 s[10:11], 0
.LBB71_200:
	s_andn2_b64 vcc, exec, s[10:11]
	s_cbranch_vccnz .LBB71_202
; %bb.201:
	global_store_dword v[8:9], v13, off
.LBB71_202:
	s_mov_b64 s[10:11], 0
.LBB71_203:
	s_andn2_b64 vcc, exec, s[10:11]
	s_cbranch_vccnz .LBB71_212
; %bb.204:
	v_mov_b32_e32 v17, 6
	v_cmp_lt_i16_sdwa s[12:13], s93, v17 src0_sel:BYTE_0 src1_sel:DWORD
	s_mov_b64 s[10:11], -1
	s_and_b64 vcc, exec, s[12:13]
	s_cbranch_vccnz .LBB71_210
; %bb.205:
	v_cmp_gt_i16_sdwa s[12:13], s93, v17 src0_sel:BYTE_0 src1_sel:DWORD
	s_and_b64 vcc, exec, s[12:13]
	s_cbranch_vccz .LBB71_207
; %bb.206:
	s_mov_b64 s[10:11], 0
	global_store_dwordx2 v[8:9], v[0:1], off
.LBB71_207:
	s_andn2_b64 vcc, exec, s[10:11]
	s_cbranch_vccnz .LBB71_209
; %bb.208:
	v_mov_b32_e32 v17, s18
	global_store_dword v[8:9], v17, off
.LBB71_209:
	s_mov_b64 s[10:11], 0
.LBB71_210:
	s_andn2_b64 vcc, exec, s[10:11]
	s_cbranch_vccnz .LBB71_212
; %bb.211:
	global_store_short v[8:9], v11, off
.LBB71_212:
	s_mov_b64 s[10:11], 0
.LBB71_213:
	s_andn2_b64 vcc, exec, s[10:11]
	s_cbranch_vccnz .LBB71_229
; %bb.214:
	v_mov_b32_e32 v17, 2
	v_cmp_lt_i16_sdwa s[12:13], s93, v17 src0_sel:BYTE_0 src1_sel:DWORD
	s_mov_b64 s[10:11], -1
	s_and_b64 vcc, exec, s[12:13]
	s_cbranch_vccnz .LBB71_224
; %bb.215:
	v_mov_b32_e32 v17, 3
	v_cmp_lt_i16_sdwa s[12:13], s93, v17 src0_sel:BYTE_0 src1_sel:DWORD
	s_and_b64 vcc, exec, s[12:13]
	s_cbranch_vccnz .LBB71_221
; %bb.216:
	v_cmp_gt_i16_sdwa s[12:13], s93, v17 src0_sel:BYTE_0 src1_sel:DWORD
	s_and_b64 vcc, exec, s[12:13]
	s_cbranch_vccz .LBB71_218
; %bb.217:
	s_mov_b64 s[10:11], 0
	global_store_dwordx2 v[8:9], v[4:5], off
.LBB71_218:
	s_andn2_b64 vcc, exec, s[10:11]
	s_cbranch_vccnz .LBB71_220
; %bb.219:
	global_store_dword v[8:9], v10, off
.LBB71_220:
	s_mov_b64 s[10:11], 0
.LBB71_221:
	s_andn2_b64 vcc, exec, s[10:11]
	s_cbranch_vccnz .LBB71_223
; %bb.222:
	global_store_short v[8:9], v10, off
.LBB71_223:
	s_mov_b64 s[10:11], 0
.LBB71_224:
	s_andn2_b64 vcc, exec, s[10:11]
	s_cbranch_vccnz .LBB71_229
; %bb.225:
	v_mov_b32_e32 v17, 0
	v_cmp_gt_i16_sdwa s[12:13], s93, v17 src0_sel:BYTE_0 src1_sel:DWORD
	s_mov_b64 s[10:11], -1
	s_and_b64 vcc, exec, s[12:13]
	s_cbranch_vccz .LBB71_227
; %bb.226:
	s_mov_b64 s[10:11], 0
	global_store_byte v[8:9], v10, off
.LBB71_227:
	s_andn2_b64 vcc, exec, s[10:11]
	s_cbranch_vccnz .LBB71_229
; %bb.228:
	global_store_byte v[8:9], v4, off
.LBB71_229:
	s_branch .LBB71_142
.LBB71_230:
	s_mov_b64 s[10:11], 0
                                        ; implicit-def: $vgpr12
.LBB71_231:
	s_andn2_b64 s[12:13], s[66:67], exec
	s_and_b64 s[8:9], s[8:9], exec
	s_or_b64 s[70:71], s[12:13], s[8:9]
	s_orn2_b64 s[8:9], s[10:11], exec
.LBB71_232:
	s_or_b64 exec, exec, s[72:73]
	s_mov_b64 s[10:11], 0
	s_mov_b64 s[12:13], 0
                                        ; implicit-def: $vgpr17
                                        ; implicit-def: $vgpr8_vgpr9
	s_and_saveexec_b64 s[72:73], s[8:9]
	s_cbranch_execz .LBB71_422
; %bb.233:
	v_cmp_gt_i32_e32 vcc, s95, v12
	s_mov_b64 s[10:11], -1
	s_mov_b64 s[76:77], s[70:71]
	s_and_saveexec_b64 s[74:75], vcc
	s_cbranch_execz .LBB71_350
; %bb.234:
	s_andn2_b64 vcc, exec, s[36:37]
	s_cbranch_vccnz .LBB71_240
; %bb.235:
	s_andn2_b64 vcc, exec, s[64:65]
	s_cbranch_vccnz .LBB71_241
; %bb.236:
	s_add_i32 vcc_lo, s58, 1
	s_mov_b32 s59, 0
	s_cmp_eq_u32 s80, 2
	v_mov_b32_e32 v8, 0
	s_cbranch_scc1 .LBB71_242
; %bb.237:
	s_mov_b64 s[56:57], s[78:79]
	s_and_b32 s59, vcc_lo, 28
	s_mov_b32 vcc_hi, 0
	v_mov_b32_e32 v8, 0
	s_mov_b64 s[76:77], s[4:5]
	s_mov_b64 s[78:79], s[62:63]
	v_mov_b32_e32 v17, v12
.LBB71_238:                             ; =>This Inner Loop Header: Depth=1
	s_load_dwordx8 s[8:15], s[76:77], 0x4
	s_load_dwordx4 s[24:27], s[76:77], 0x24
	s_load_dwordx4 s[28:31], s[78:79], 0x0
	s_add_u32 s76, s76, 48
	s_addc_u32 s77, s77, 0
	s_waitcnt lgkmcnt(0)
	v_mul_hi_u32 v9, s9, v17
	v_add_u32_e32 v9, v17, v9
	v_lshrrev_b32_e32 v9, s10, v9
	v_mul_lo_u32 v18, v9, s8
	v_mul_hi_u32 v19, s12, v9
	v_sub_u32_e32 v17, v17, v18
	v_add_u32_e32 v18, v9, v19
	v_lshrrev_b32_e32 v18, s13, v18
	v_mul_lo_u32 v19, v18, s11
	v_mul_hi_u32 v20, s15, v18
	v_sub_u32_e32 v9, v9, v19
	v_add_u32_e32 v19, v18, v20
	v_mul_lo_u32 v17, v17, s28
	v_mul_lo_u32 v9, v9, s29
	v_lshrrev_b32_e32 v19, s24, v19
	v_add3_u32 v8, v17, v8, v9
	v_mul_hi_u32 v17, s26, v19
	v_add_u32_e32 v17, v19, v17
	v_mul_lo_u32 v9, v19, s14
	v_lshrrev_b32_e32 v17, s27, v17
	s_add_i32 vcc_hi, vcc_hi, 4
	v_sub_u32_e32 v9, v18, v9
	v_mul_lo_u32 v18, v17, s25
	s_add_u32 s78, s78, 16
	v_sub_u32_e32 v18, v19, v18
	s_addc_u32 s79, s79, 0
	v_mul_lo_u32 v9, v9, s30
	v_mul_lo_u32 v18, v18, s31
	s_cmp_eq_u32 s59, vcc_hi
	v_add3_u32 v8, v9, v8, v18
	s_cbranch_scc0 .LBB71_238
; %bb.239:
	s_mov_b64 s[78:79], s[56:57]
	s_load_dwordx2 s[56:57], s[4:5], 0xc4
	s_branch .LBB71_243
.LBB71_240:
	s_mov_b64 s[8:9], -1
                                        ; implicit-def: $vgpr8
	s_branch .LBB71_247
.LBB71_241:
	v_mov_b32_e32 v8, 0
	s_branch .LBB71_246
.LBB71_242:
	v_mov_b32_e32 v17, v12
.LBB71_243:
	s_and_b32 s12, vcc_lo, 3
	s_cmp_eq_u32 s12, 0
	s_cbranch_scc1 .LBB71_246
; %bb.244:
	s_lshl_b32 s8, s59, 2
	s_add_u32 s8, s8, s4
	s_addc_u32 s9, s5, 0
	s_add_u32 s8, s8, 0xc4
	s_addc_u32 s9, s9, 0
	s_mul_i32 s10, s59, 12
	s_add_u32 s10, s4, s10
	s_addc_u32 s11, s5, 0
.LBB71_245:                             ; =>This Inner Loop Header: Depth=1
	s_load_dwordx2 s[14:15], s[10:11], 0x4
	s_load_dword s13, s[10:11], 0xc
	s_load_dword s24, s[8:9], 0x0
	s_add_u32 s10, s10, 12
	s_addc_u32 s11, s11, 0
	s_waitcnt lgkmcnt(0)
	v_mul_hi_u32 v9, s15, v17
	v_add_u32_e32 v9, v17, v9
	v_lshrrev_b32_e32 v9, s13, v9
	s_add_u32 s8, s8, 4
	v_mul_lo_u32 v18, v9, s14
	s_addc_u32 s9, s9, 0
	s_add_i32 s12, s12, -1
	v_sub_u32_e32 v18, v17, v18
	s_cmp_lg_u32 s12, 0
	v_mov_b32_e32 v17, v9
	v_mad_u64_u32 v[8:9], s[14:15], v18, s24, v[8:9]
	s_cbranch_scc1 .LBB71_245
.LBB71_246:
	s_mov_b64 s[8:9], 0
.LBB71_247:
	s_andn2_b64 vcc, exec, s[8:9]
	s_cbranch_vccnz .LBB71_250
; %bb.248:
	v_mul_hi_u32 v8, s21, v12
	v_add_u32_e32 v8, v12, v8
	v_lshrrev_b32_e32 v9, s22, v8
	v_mul_lo_u32 v8, v9, s20
	v_sub_u32_e32 v8, v12, v8
	s_andn2_b64 vcc, exec, s[60:61]
	s_waitcnt lgkmcnt(0)
	v_mul_lo_u32 v8, v8, s56
	s_cbranch_vccnz .LBB71_250
; %bb.249:
	v_mul_hi_u32 v17, s78, v9
	v_add_u32_e32 v17, v9, v17
	v_lshrrev_b32_e32 v17, s79, v17
	v_mul_lo_u32 v17, v17, s23
	v_sub_u32_e32 v9, v9, v17
	v_mad_u64_u32 v[8:9], s[8:9], v9, s57, v[8:9]
.LBB71_250:
	v_mov_b32_e32 v9, s17
	v_add_co_u32_e32 v8, vcc, s16, v8
	v_mov_b32_e32 v17, 11
	v_addc_co_u32_e32 v9, vcc, 0, v9, vcc
	s_waitcnt lgkmcnt(0)
	v_cmp_lt_i16_sdwa s[8:9], s93, v17 src0_sel:BYTE_0 src1_sel:DWORD
	s_and_b64 vcc, exec, s[8:9]
	s_cbranch_vccnz .LBB71_257
; %bb.251:
	v_mov_b32_e32 v17, 25
	v_cmp_gt_i16_sdwa s[8:9], s93, v17 src0_sel:BYTE_0 src1_sel:DWORD
	s_and_b64 vcc, exec, s[8:9]
	s_cbranch_vccz .LBB71_258
; %bb.252:
	v_mov_b32_e32 v17, 28
	v_cmp_gt_i16_sdwa s[8:9], s93, v17 src0_sel:BYTE_0 src1_sel:DWORD
	s_and_b64 vcc, exec, s[8:9]
	s_cbranch_vccz .LBB71_259
	;; [unrolled: 5-line block ×4, first 2 shown]
; %bb.255:
	v_mov_b32_e32 v17, 46
	v_cmp_eq_u16_sdwa s[10:11], s93, v17 src0_sel:BYTE_0 src1_sel:DWORD
	s_mov_b64 s[12:13], 0
	s_mov_b64 s[8:9], -1
	s_and_b64 vcc, exec, s[10:11]
	s_mov_b64 s[10:11], 0
	s_cbranch_vccz .LBB71_262
; %bb.256:
	v_mov_b32_e32 v17, s94
	global_store_dword v[8:9], v17, off
	s_mov_b64 s[10:11], -1
	s_mov_b64 s[8:9], 0
	s_branch .LBB71_262
.LBB71_257:
	s_mov_b64 s[12:13], -1
	s_mov_b64 s[10:11], 0
	s_mov_b64 s[8:9], s[70:71]
	s_branch .LBB71_307
.LBB71_258:
	s_mov_b64 s[12:13], -1
	s_mov_b64 s[10:11], 0
	s_mov_b64 s[8:9], s[70:71]
	s_branch .LBB71_284
.LBB71_259:
	s_mov_b64 s[12:13], -1
	s_mov_b64 s[10:11], 0
	s_mov_b64 s[8:9], s[70:71]
	s_branch .LBB71_270
.LBB71_260:
	s_mov_b64 s[12:13], -1
	s_mov_b64 s[10:11], 0
	s_mov_b64 s[8:9], s[70:71]
	s_branch .LBB71_266
.LBB71_261:
	s_mov_b64 s[12:13], -1
	s_mov_b64 s[10:11], 0
	s_mov_b64 s[8:9], s[70:71]
.LBB71_262:
	s_and_b64 vcc, exec, s[12:13]
	s_cbranch_vccz .LBB71_265
; %bb.263:
	v_mov_b32_e32 v17, 44
	v_cmp_eq_u16_sdwa s[12:13], s93, v17 src0_sel:BYTE_0 src1_sel:DWORD
	s_mov_b64 s[8:9], -1
	s_and_b64 vcc, exec, s[12:13]
	s_cbranch_vccz .LBB71_265
; %bb.264:
	v_mov_b32_e32 v17, 0xff
	v_cndmask_b32_e64 v17, v16, v17, s[0:1]
	s_mov_b64 s[10:11], -1
	s_mov_b64 s[8:9], 0
	global_store_byte v[8:9], v17, off
.LBB71_265:
	s_mov_b64 s[12:13], 0
.LBB71_266:
	s_and_b64 vcc, exec, s[12:13]
	s_cbranch_vccz .LBB71_269
; %bb.267:
	v_mov_b32_e32 v17, 29
	v_cmp_eq_u16_sdwa s[12:13], s93, v17 src0_sel:BYTE_0 src1_sel:DWORD
	s_mov_b64 s[8:9], -1
	s_and_b64 vcc, exec, s[12:13]
	s_cbranch_vccz .LBB71_269
; %bb.268:
	global_store_dwordx2 v[8:9], v[6:7], off
	s_mov_b64 s[10:11], -1
	s_mov_b64 s[8:9], 0
.LBB71_269:
	s_mov_b64 s[12:13], 0
.LBB71_270:
	s_and_b64 vcc, exec, s[12:13]
	s_cbranch_vccz .LBB71_283
; %bb.271:
	v_mov_b32_e32 v17, 27
	v_cmp_lt_i16_sdwa s[12:13], s93, v17 src0_sel:BYTE_0 src1_sel:DWORD
	s_mov_b64 s[10:11], -1
	s_and_b64 vcc, exec, s[12:13]
	s_cbranch_vccnz .LBB71_277
; %bb.272:
	v_cmp_gt_i16_sdwa s[12:13], s93, v17 src0_sel:BYTE_0 src1_sel:DWORD
	s_and_b64 vcc, exec, s[12:13]
	s_cbranch_vccz .LBB71_274
; %bb.273:
	s_mov_b64 s[10:11], 0
	global_store_dword v[8:9], v15, off
.LBB71_274:
	s_andn2_b64 vcc, exec, s[10:11]
	s_cbranch_vccnz .LBB71_276
; %bb.275:
	global_store_short v[8:9], v15, off
.LBB71_276:
	s_mov_b64 s[10:11], 0
.LBB71_277:
	s_andn2_b64 vcc, exec, s[10:11]
	s_cbranch_vccnz .LBB71_282
; %bb.278:
	s_andn2_b64 vcc, exec, s[52:53]
	s_movk_i32 s10, 0x80
	s_cbranch_vccnz .LBB71_281
; %bb.279:
	s_or_b64 s[10:11], s[50:51], s[54:55]
	s_andn2_b64 vcc, exec, s[10:11]
	s_mov_b32 s10, 0
	s_cbranch_vccnz .LBB71_281
; %bb.280:
	s_and_b64 s[10:11], s[50:51], exec
	s_cselect_b32 s10, s91, s92
	s_or_b32 s10, s10, s81
.LBB71_281:
	v_mov_b32_e32 v17, s10
	global_store_byte v[8:9], v17, off
.LBB71_282:
	s_mov_b64 s[10:11], -1
.LBB71_283:
	s_mov_b64 s[12:13], 0
.LBB71_284:
	s_and_b64 vcc, exec, s[12:13]
	s_cbranch_vccz .LBB71_306
; %bb.285:
	v_mov_b32_e32 v17, 22
	v_cmp_gt_i16_sdwa s[14:15], s93, v17 src0_sel:BYTE_0 src1_sel:DWORD
	s_mov_b64 s[12:13], -1
	s_and_b64 vcc, exec, s[14:15]
	s_cbranch_vccz .LBB71_298
; %bb.286:
	v_mov_b32_e32 v17, 24
	v_cmp_lt_i16_sdwa s[12:13], s93, v17 src0_sel:BYTE_0 src1_sel:DWORD
	s_mov_b64 s[10:11], -1
	s_and_b64 vcc, exec, s[12:13]
	s_cbranch_vccnz .LBB71_295
; %bb.287:
	v_cmp_gt_i16_sdwa s[12:13], s93, v17 src0_sel:BYTE_0 src1_sel:DWORD
	s_and_b64 vcc, exec, s[12:13]
	s_cbranch_vccz .LBB71_292
; %bb.288:
	s_andn2_b64 vcc, exec, s[46:47]
	s_movk_i32 s10, 0x80
	s_cbranch_vccnz .LBB71_291
; %bb.289:
	s_or_b64 s[10:11], s[44:45], s[48:49]
	s_andn2_b64 vcc, exec, s[10:11]
	s_mov_b32 s10, 0
	s_cbranch_vccnz .LBB71_291
; %bb.290:
	s_and_b64 s[10:11], s[44:45], exec
	s_cselect_b32 s10, s88, s90
	s_or_b32 s10, s10, s81
.LBB71_291:
	v_mov_b32_e32 v17, s10
	s_mov_b64 s[10:11], 0
	global_store_byte v[8:9], v17, off
.LBB71_292:
	s_and_b64 vcc, exec, s[10:11]
	s_cbranch_vccz .LBB71_294
; %bb.293:
	s_and_b64 s[10:11], s[42:43], exec
	s_cselect_b32 s12, s87, s86
	s_and_b64 s[10:11], s[40:41], exec
	s_cselect_b32 s10, s89, s12
	s_or_b32 s10, s10, s81
	v_mov_b32_e32 v17, s10
	global_store_byte v[8:9], v17, off
.LBB71_294:
	s_mov_b64 s[10:11], 0
.LBB71_295:
	s_andn2_b64 vcc, exec, s[10:11]
	s_cbranch_vccnz .LBB71_297
; %bb.296:
	s_and_b64 s[10:11], s[38:39], exec
	s_cselect_b32 s12, s84, s83
	s_and_b64 s[10:11], s[6:7], exec
	s_cselect_b32 s10, s85, s12
	s_or_b32 s10, s10, s81
	v_mov_b32_e32 v17, s10
	global_store_byte v[8:9], v17, off
.LBB71_297:
	s_mov_b64 s[12:13], 0
	s_mov_b64 s[10:11], -1
.LBB71_298:
	s_andn2_b64 vcc, exec, s[12:13]
	s_cbranch_vccnz .LBB71_306
; %bb.299:
	v_mov_b32_e32 v17, 14
	v_cmp_gt_i16_sdwa s[14:15], s93, v17 src0_sel:BYTE_0 src1_sel:DWORD
	s_mov_b64 s[12:13], -1
	s_and_b64 vcc, exec, s[14:15]
	s_cbranch_vccz .LBB71_303
; %bb.300:
	v_mov_b32_e32 v17, 15
	v_cmp_eq_u16_sdwa s[12:13], s93, v17 src0_sel:BYTE_0 src1_sel:DWORD
	s_mov_b64 s[8:9], -1
	s_and_b64 vcc, exec, s[12:13]
	s_cbranch_vccz .LBB71_302
; %bb.301:
	v_mov_b32_e32 v17, s82
	global_store_short v[8:9], v17, off
	s_mov_b64 s[10:11], -1
	s_mov_b64 s[8:9], 0
.LBB71_302:
	s_mov_b64 s[12:13], 0
.LBB71_303:
	s_and_b64 vcc, exec, s[12:13]
	s_cbranch_vccz .LBB71_306
; %bb.304:
	v_mov_b32_e32 v17, 11
	v_cmp_eq_u16_sdwa s[12:13], s93, v17 src0_sel:BYTE_0 src1_sel:DWORD
	s_mov_b64 s[8:9], -1
	s_and_b64 vcc, exec, s[12:13]
	s_cbranch_vccz .LBB71_306
; %bb.305:
	s_mov_b64 s[10:11], -1
	s_mov_b64 s[8:9], 0
	global_store_byte v[8:9], v14, off
.LBB71_306:
	s_mov_b64 s[12:13], 0
.LBB71_307:
	s_and_b64 vcc, exec, s[12:13]
	s_cbranch_vccz .LBB71_346
; %bb.308:
	v_mov_b32_e32 v17, 5
	v_cmp_lt_i16_sdwa s[12:13], s93, v17 src0_sel:BYTE_0 src1_sel:DWORD
	s_mov_b64 s[10:11], -1
	s_and_b64 vcc, exec, s[12:13]
	s_cbranch_vccnz .LBB71_329
; %bb.309:
	v_mov_b32_e32 v17, 8
	v_cmp_lt_i16_sdwa s[12:13], s93, v17 src0_sel:BYTE_0 src1_sel:DWORD
	s_and_b64 vcc, exec, s[12:13]
	s_cbranch_vccnz .LBB71_319
; %bb.310:
	v_mov_b32_e32 v17, 9
	v_cmp_lt_i16_sdwa s[12:13], s93, v17 src0_sel:BYTE_0 src1_sel:DWORD
	s_and_b64 vcc, exec, s[12:13]
	s_cbranch_vccnz .LBB71_316
; %bb.311:
	v_cmp_gt_i16_sdwa s[12:13], s93, v17 src0_sel:BYTE_0 src1_sel:DWORD
	s_and_b64 vcc, exec, s[12:13]
	s_cbranch_vccz .LBB71_313
; %bb.312:
	s_mov_b64 s[10:11], 0
	global_store_dwordx4 v[8:9], v[0:3], off
.LBB71_313:
	s_andn2_b64 vcc, exec, s[10:11]
	s_cbranch_vccnz .LBB71_315
; %bb.314:
	v_pk_mov_b32 v[18:19], s[18:19], s[18:19] op_sel:[0,1]
	global_store_dwordx2 v[8:9], v[18:19], off
.LBB71_315:
	s_mov_b64 s[10:11], 0
.LBB71_316:
	s_andn2_b64 vcc, exec, s[10:11]
	s_cbranch_vccnz .LBB71_318
; %bb.317:
	global_store_dword v[8:9], v13, off
.LBB71_318:
	s_mov_b64 s[10:11], 0
.LBB71_319:
	s_andn2_b64 vcc, exec, s[10:11]
	s_cbranch_vccnz .LBB71_328
; %bb.320:
	v_mov_b32_e32 v17, 6
	v_cmp_lt_i16_sdwa s[12:13], s93, v17 src0_sel:BYTE_0 src1_sel:DWORD
	s_mov_b64 s[10:11], -1
	s_and_b64 vcc, exec, s[12:13]
	s_cbranch_vccnz .LBB71_326
; %bb.321:
	v_cmp_gt_i16_sdwa s[12:13], s93, v17 src0_sel:BYTE_0 src1_sel:DWORD
	s_and_b64 vcc, exec, s[12:13]
	s_cbranch_vccz .LBB71_323
; %bb.322:
	s_mov_b64 s[10:11], 0
	global_store_dwordx2 v[8:9], v[0:1], off
.LBB71_323:
	s_andn2_b64 vcc, exec, s[10:11]
	s_cbranch_vccnz .LBB71_325
; %bb.324:
	v_mov_b32_e32 v17, s18
	global_store_dword v[8:9], v17, off
.LBB71_325:
	s_mov_b64 s[10:11], 0
.LBB71_326:
	s_andn2_b64 vcc, exec, s[10:11]
	s_cbranch_vccnz .LBB71_328
; %bb.327:
	global_store_short v[8:9], v11, off
.LBB71_328:
	s_mov_b64 s[10:11], 0
.LBB71_329:
	s_andn2_b64 vcc, exec, s[10:11]
	s_cbranch_vccnz .LBB71_345
; %bb.330:
	v_mov_b32_e32 v17, 2
	v_cmp_lt_i16_sdwa s[12:13], s93, v17 src0_sel:BYTE_0 src1_sel:DWORD
	s_mov_b64 s[10:11], -1
	s_and_b64 vcc, exec, s[12:13]
	s_cbranch_vccnz .LBB71_340
; %bb.331:
	v_mov_b32_e32 v17, 3
	v_cmp_lt_i16_sdwa s[12:13], s93, v17 src0_sel:BYTE_0 src1_sel:DWORD
	s_and_b64 vcc, exec, s[12:13]
	s_cbranch_vccnz .LBB71_337
; %bb.332:
	v_cmp_gt_i16_sdwa s[12:13], s93, v17 src0_sel:BYTE_0 src1_sel:DWORD
	s_and_b64 vcc, exec, s[12:13]
	s_cbranch_vccz .LBB71_334
; %bb.333:
	s_mov_b64 s[10:11], 0
	global_store_dwordx2 v[8:9], v[4:5], off
.LBB71_334:
	s_andn2_b64 vcc, exec, s[10:11]
	s_cbranch_vccnz .LBB71_336
; %bb.335:
	global_store_dword v[8:9], v10, off
.LBB71_336:
	s_mov_b64 s[10:11], 0
.LBB71_337:
	s_andn2_b64 vcc, exec, s[10:11]
	s_cbranch_vccnz .LBB71_339
; %bb.338:
	global_store_short v[8:9], v10, off
.LBB71_339:
	s_mov_b64 s[10:11], 0
.LBB71_340:
	s_andn2_b64 vcc, exec, s[10:11]
	s_cbranch_vccnz .LBB71_345
; %bb.341:
	v_mov_b32_e32 v17, 0
	v_cmp_gt_i16_sdwa s[12:13], s93, v17 src0_sel:BYTE_0 src1_sel:DWORD
	s_mov_b64 s[10:11], -1
	s_and_b64 vcc, exec, s[12:13]
	s_cbranch_vccz .LBB71_343
; %bb.342:
	s_mov_b64 s[10:11], 0
	global_store_byte v[8:9], v10, off
.LBB71_343:
	s_andn2_b64 vcc, exec, s[10:11]
	s_cbranch_vccnz .LBB71_345
; %bb.344:
	global_store_byte v[8:9], v4, off
.LBB71_345:
	s_mov_b64 s[10:11], -1
.LBB71_346:
	s_andn2_b64 vcc, exec, s[10:11]
	s_cbranch_vccnz .LBB71_348
; %bb.347:
	v_add_u32_e32 v12, 0x80, v12
	s_mov_b64 s[10:11], -1
	s_branch .LBB71_349
.LBB71_348:
	s_mov_b64 s[10:11], 0
                                        ; implicit-def: $vgpr12
.LBB71_349:
	s_andn2_b64 s[12:13], s[70:71], exec
	s_and_b64 s[8:9], s[8:9], exec
	s_or_b64 s[76:77], s[12:13], s[8:9]
	s_orn2_b64 s[10:11], s[10:11], exec
.LBB71_350:
	s_or_b64 exec, exec, s[74:75]
	s_mov_b64 s[8:9], 0
	s_mov_b64 s[14:15], 0
                                        ; implicit-def: $vgpr17
                                        ; implicit-def: $vgpr8_vgpr9
	s_and_saveexec_b64 s[74:75], s[10:11]
	s_cbranch_execz .LBB71_421
; %bb.351:
                                        ; implicit-def: $vgpr21 : SGPR spill to VGPR lane
	v_cmp_gt_i32_e32 vcc, s95, v12
	v_writelane_b32 v21, s48, 0
	s_mov_b64 s[10:11], 0
	s_mov_b64 s[12:13], s[76:77]
	v_writelane_b32 v21, s49, 1
                                        ; implicit-def: $vgpr17
                                        ; implicit-def: $vgpr8_vgpr9
	s_and_saveexec_b64 s[48:49], vcc
	s_cbranch_execz .LBB71_420
; %bb.352:
	s_andn2_b64 vcc, exec, s[36:37]
	s_cbranch_vccnz .LBB71_357
; %bb.353:
	s_andn2_b64 vcc, exec, s[64:65]
	s_cbranch_vccnz .LBB71_358
; %bb.354:
	s_add_i32 s59, s58, 1
	s_mov_b32 s58, 0
	s_cmp_eq_u32 s80, 2
	v_mov_b32_e32 v8, 0
	s_cbranch_scc1 .LBB71_359
; %bb.355:
	s_and_b32 s58, s59, 28
	s_mov_b32 s95, 0
	v_mov_b32_e32 v8, 0
	s_mov_b64 s[64:65], s[4:5]
	v_mov_b32_e32 v17, v12
.LBB71_356:                             ; =>This Inner Loop Header: Depth=1
	s_load_dwordx8 s[8:15], s[64:65], 0x4
	s_load_dwordx4 s[24:27], s[64:65], 0x24
	s_load_dwordx4 s[28:31], s[62:63], 0x0
	s_add_u32 s64, s64, 48
	s_addc_u32 s65, s65, 0
	s_waitcnt lgkmcnt(0)
	v_mul_hi_u32 v9, s9, v17
	v_add_u32_e32 v9, v17, v9
	v_lshrrev_b32_e32 v9, s10, v9
	v_mul_lo_u32 v18, v9, s8
	v_mul_hi_u32 v19, s12, v9
	v_sub_u32_e32 v17, v17, v18
	v_add_u32_e32 v18, v9, v19
	v_lshrrev_b32_e32 v18, s13, v18
	v_mul_lo_u32 v19, v18, s11
	v_mul_hi_u32 v20, s15, v18
	v_sub_u32_e32 v9, v9, v19
	v_add_u32_e32 v19, v18, v20
	v_mul_lo_u32 v17, v17, s28
	v_mul_lo_u32 v9, v9, s29
	v_lshrrev_b32_e32 v19, s24, v19
	v_add3_u32 v8, v17, v8, v9
	v_mul_hi_u32 v17, s26, v19
	v_add_u32_e32 v17, v19, v17
	v_mul_lo_u32 v9, v19, s14
	v_lshrrev_b32_e32 v17, s27, v17
	s_add_i32 s95, s95, 4
	v_sub_u32_e32 v9, v18, v9
	v_mul_lo_u32 v18, v17, s25
	s_add_u32 s62, s62, 16
	v_sub_u32_e32 v18, v19, v18
	s_addc_u32 s63, s63, 0
	v_mul_lo_u32 v9, v9, s30
	v_mul_lo_u32 v18, v18, s31
	s_cmp_eq_u32 s58, s95
	v_add3_u32 v8, v9, v8, v18
	s_cbranch_scc0 .LBB71_356
	s_branch .LBB71_360
.LBB71_357:
	s_mov_b64 s[8:9], -1
                                        ; implicit-def: $vgpr8
	s_branch .LBB71_364
.LBB71_358:
	v_mov_b32_e32 v8, 0
	s_branch .LBB71_363
.LBB71_359:
	v_mov_b32_e32 v17, v12
.LBB71_360:
	s_and_b32 s12, s59, 3
	s_cmp_eq_u32 s12, 0
	s_cbranch_scc1 .LBB71_363
; %bb.361:
	s_lshl_b32 s8, s58, 2
	s_add_u32 s8, s8, s4
	s_addc_u32 s9, s5, 0
	s_add_u32 s8, s8, 0xc4
	s_addc_u32 s9, s9, 0
	s_mul_i32 s10, s58, 12
	s_add_u32 s10, s4, s10
	s_addc_u32 s11, s5, 0
.LBB71_362:                             ; =>This Inner Loop Header: Depth=1
	s_load_dwordx2 s[14:15], s[10:11], 0x4
	s_load_dword s13, s[10:11], 0xc
	s_load_dword s24, s[8:9], 0x0
	s_add_u32 s10, s10, 12
	s_addc_u32 s11, s11, 0
	s_waitcnt lgkmcnt(0)
	v_mul_hi_u32 v9, s15, v17
	v_add_u32_e32 v9, v17, v9
	v_lshrrev_b32_e32 v9, s13, v9
	s_add_u32 s8, s8, 4
	v_mul_lo_u32 v18, v9, s14
	s_addc_u32 s9, s9, 0
	s_add_i32 s12, s12, -1
	v_sub_u32_e32 v18, v17, v18
	s_cmp_lg_u32 s12, 0
	v_mov_b32_e32 v17, v9
	v_mad_u64_u32 v[8:9], s[14:15], v18, s24, v[8:9]
	s_cbranch_scc1 .LBB71_362
.LBB71_363:
	s_mov_b64 s[8:9], 0
.LBB71_364:
	s_andn2_b64 vcc, exec, s[8:9]
	s_cbranch_vccnz .LBB71_367
; %bb.365:
	v_mul_hi_u32 v8, s21, v12
	v_add_u32_e32 v8, v12, v8
	v_lshrrev_b32_e32 v9, s22, v8
	v_mul_lo_u32 v8, v9, s20
	v_sub_u32_e32 v8, v12, v8
	s_andn2_b64 vcc, exec, s[60:61]
	v_mul_lo_u32 v8, v8, s56
	s_cbranch_vccnz .LBB71_367
; %bb.366:
	v_mul_hi_u32 v12, s78, v9
	v_add_u32_e32 v12, v9, v12
	v_lshrrev_b32_e32 v12, s79, v12
	v_mul_lo_u32 v12, v12, s23
	v_sub_u32_e32 v9, v9, v12
	v_mad_u64_u32 v[8:9], s[8:9], v9, s57, v[8:9]
.LBB71_367:
	v_mov_b32_e32 v9, s17
	v_add_co_u32_e32 v8, vcc, s16, v8
	v_mov_b32_e32 v12, 0xff
	v_addc_co_u32_e32 v9, vcc, 0, v9, vcc
	s_waitcnt lgkmcnt(0)
	v_and_b32_e32 v17, s93, v12
	v_cmp_gt_i16_e32 vcc, 11, v17
	s_cbranch_vccnz .LBB71_417
; %bb.368:
	v_cmp_lt_i16_e32 vcc, 25, v17
	s_mov_b64 s[10:11], -1
	s_mov_b64 s[8:9], s[76:77]
	s_cbranch_vccz .LBB71_396
; %bb.369:
	v_cmp_lt_i16_e32 vcc, 28, v17
	s_mov_b64 s[8:9], s[76:77]
	s_cbranch_vccz .LBB71_383
; %bb.370:
	v_cmp_lt_i16_e32 vcc, 43, v17
	;; [unrolled: 4-line block ×3, first 2 shown]
	s_mov_b64 s[8:9], s[76:77]
	s_cbranch_vccz .LBB71_375
; %bb.372:
	v_cmp_eq_u16_e32 vcc, 46, v17
	s_mov_b64 s[8:9], -1
	s_cbranch_vccz .LBB71_374
; %bb.373:
	v_mov_b32_e32 v12, s94
	global_store_dword v[8:9], v12, off
	s_mov_b64 s[8:9], 0
.LBB71_374:
	s_mov_b64 s[10:11], 0
.LBB71_375:
	s_and_b64 vcc, exec, s[10:11]
	s_cbranch_vccz .LBB71_378
; %bb.376:
	v_cmp_eq_u16_e32 vcc, 44, v17
	s_mov_b64 s[8:9], -1
	s_cbranch_vccz .LBB71_378
; %bb.377:
	v_mov_b32_e32 v12, 0xff
	v_cndmask_b32_e64 v12, v16, v12, s[0:1]
	global_store_byte v[8:9], v12, off
	s_mov_b64 s[8:9], 0
.LBB71_378:
	s_mov_b64 s[10:11], 0
.LBB71_379:
	s_and_b64 vcc, exec, s[10:11]
	s_cbranch_vccz .LBB71_382
; %bb.380:
	v_cmp_eq_u16_e32 vcc, 29, v17
	s_mov_b64 s[8:9], -1
	s_cbranch_vccz .LBB71_382
; %bb.381:
	global_store_dwordx2 v[8:9], v[6:7], off
	s_mov_b64 s[8:9], 0
.LBB71_382:
	s_mov_b64 s[10:11], 0
.LBB71_383:
	s_and_b64 vcc, exec, s[10:11]
	s_cbranch_vccz .LBB71_395
; %bb.384:
	v_cmp_gt_i16_e32 vcc, 27, v17
	s_mov_b64 s[0:1], -1
	s_cbranch_vccnz .LBB71_390
; %bb.385:
	v_cmp_lt_i16_e32 vcc, 27, v17
	s_cbranch_vccz .LBB71_387
; %bb.386:
	s_mov_b64 s[0:1], 0
	global_store_dword v[8:9], v15, off
.LBB71_387:
	s_andn2_b64 vcc, exec, s[0:1]
	s_cbranch_vccnz .LBB71_389
; %bb.388:
	global_store_short v[8:9], v15, off
.LBB71_389:
	s_mov_b64 s[0:1], 0
.LBB71_390:
	s_andn2_b64 vcc, exec, s[0:1]
	s_cbranch_vccnz .LBB71_395
; %bb.391:
	s_andn2_b64 vcc, exec, s[52:53]
	s_movk_i32 s0, 0x80
	s_cbranch_vccnz .LBB71_394
; %bb.392:
	s_or_b64 s[0:1], s[50:51], s[54:55]
	s_andn2_b64 vcc, exec, s[0:1]
	s_mov_b32 s0, 0
	s_cbranch_vccnz .LBB71_394
; %bb.393:
	s_and_b64 s[0:1], s[50:51], exec
	s_cselect_b32 s0, s91, s92
	s_or_b32 s0, s0, s81
.LBB71_394:
	v_mov_b32_e32 v6, s0
	global_store_byte v[8:9], v6, off
.LBB71_395:
	s_mov_b64 s[10:11], 0
.LBB71_396:
	s_mov_b64 s[0:1], 0
	s_and_b64 vcc, exec, s[10:11]
	s_cbranch_vccz .LBB71_418
; %bb.397:
	v_cmp_lt_i16_e32 vcc, 22, v17
	s_mov_b64 s[10:11], -1
	s_cbranch_vccz .LBB71_410
; %bb.398:
	v_cmp_gt_i16_e32 vcc, 24, v17
	s_cbranch_vccnz .LBB71_407
; %bb.399:
	v_cmp_lt_i16_e32 vcc, 24, v17
	s_cbranch_vccz .LBB71_404
; %bb.400:
	s_andn2_b64 vcc, exec, s[46:47]
	s_movk_i32 s10, 0x80
	s_cbranch_vccnz .LBB71_403
; %bb.401:
	v_readlane_b32 s10, v21, 0
	v_readlane_b32 s11, v21, 1
	s_or_b64 s[10:11], s[44:45], s[10:11]
	s_andn2_b64 vcc, exec, s[10:11]
	s_mov_b32 s10, 0
	s_cbranch_vccnz .LBB71_403
; %bb.402:
	s_and_b64 s[10:11], s[44:45], exec
	s_cselect_b32 s10, s88, s90
	s_or_b32 s10, s10, s81
.LBB71_403:
	v_mov_b32_e32 v6, s10
	s_mov_b64 s[10:11], 0
	global_store_byte v[8:9], v6, off
.LBB71_404:
	s_and_b64 vcc, exec, s[10:11]
	s_cbranch_vccz .LBB71_406
; %bb.405:
	s_and_b64 s[10:11], s[42:43], exec
	s_cselect_b32 s12, s87, s86
	s_and_b64 s[10:11], s[40:41], exec
	s_cselect_b32 s10, s89, s12
	s_or_b32 s10, s10, s81
	v_mov_b32_e32 v6, s10
	global_store_byte v[8:9], v6, off
.LBB71_406:
	s_mov_b64 s[10:11], 0
.LBB71_407:
	s_andn2_b64 vcc, exec, s[10:11]
	s_cbranch_vccnz .LBB71_409
; %bb.408:
	s_and_b64 s[10:11], s[38:39], exec
	s_cselect_b32 s10, s84, s83
	s_and_b64 s[6:7], s[6:7], exec
	s_cselect_b32 s6, s85, s10
	s_or_b32 s6, s6, s81
	v_mov_b32_e32 v6, s6
	global_store_byte v[8:9], v6, off
.LBB71_409:
	s_mov_b64 s[10:11], 0
.LBB71_410:
	s_andn2_b64 vcc, exec, s[10:11]
	s_mov_b64 s[6:7], 0
	s_cbranch_vccnz .LBB71_419
; %bb.411:
	v_cmp_lt_i16_e32 vcc, 14, v17
	s_mov_b64 s[10:11], -1
	s_cbranch_vccz .LBB71_415
; %bb.412:
	v_cmp_eq_u16_e32 vcc, 15, v17
	s_mov_b64 s[8:9], -1
	s_cbranch_vccz .LBB71_414
; %bb.413:
	v_mov_b32_e32 v6, s82
	global_store_short v[8:9], v6, off
	s_mov_b64 s[8:9], 0
.LBB71_414:
	s_mov_b64 s[10:11], 0
.LBB71_415:
	s_and_b64 vcc, exec, s[10:11]
	s_cbranch_vccz .LBB71_419
; %bb.416:
	v_cmp_ne_u16_e32 vcc, 11, v17
	s_andn2_b64 s[8:9], s[8:9], exec
	s_and_b64 s[10:11], vcc, exec
	s_mov_b64 s[6:7], -1
	s_or_b64 s[8:9], s[8:9], s[10:11]
	s_branch .LBB71_419
.LBB71_417:
	s_mov_b64 s[6:7], 0
	s_mov_b64 s[0:1], -1
	s_mov_b64 s[8:9], s[76:77]
	s_branch .LBB71_419
.LBB71_418:
	s_mov_b64 s[6:7], 0
.LBB71_419:
	s_and_b64 s[14:15], s[0:1], exec
	s_and_b64 s[10:11], s[6:7], exec
	s_andn2_b64 s[0:1], s[76:77], exec
	s_and_b64 s[6:7], s[8:9], exec
	s_or_b64 s[12:13], s[0:1], s[6:7]
.LBB71_420:
	s_or_b64 exec, exec, s[48:49]
	s_andn2_b64 s[0:1], s[76:77], exec
	s_and_b64 s[6:7], s[12:13], exec
	s_and_b64 s[14:15], s[14:15], exec
	;; [unrolled: 1-line block ×3, first 2 shown]
	s_or_b64 s[76:77], s[0:1], s[6:7]
.LBB71_421:
	s_or_b64 exec, exec, s[74:75]
	s_andn2_b64 s[0:1], s[70:71], exec
	s_and_b64 s[6:7], s[76:77], exec
	s_and_b64 s[12:13], s[14:15], exec
	;; [unrolled: 1-line block ×3, first 2 shown]
	s_or_b64 s[70:71], s[0:1], s[6:7]
.LBB71_422:
	s_or_b64 exec, exec, s[72:73]
	s_andn2_b64 s[0:1], s[66:67], exec
	s_and_b64 s[6:7], s[70:71], exec
	s_and_b64 s[8:9], s[12:13], exec
	;; [unrolled: 1-line block ×3, first 2 shown]
	s_or_b64 s[66:67], s[0:1], s[6:7]
	s_or_b64 exec, exec, s[68:69]
	s_mov_b64 s[0:1], 0
	s_and_saveexec_b64 s[6:7], s[66:67]
	s_cbranch_execz .LBB71_122
.LBB71_423:
	s_mov_b64 s[0:1], exec
	s_andn2_b64 s[72:73], s[72:73], exec
	s_trap 2
	s_or_b64 exec, exec, s[6:7]
	s_and_saveexec_b64 s[6:7], s[72:73]
	s_xor_b64 s[6:7], exec, s[6:7]
	s_cbranch_execnz .LBB71_123
.LBB71_424:
	s_or_b64 exec, exec, s[6:7]
	s_and_saveexec_b64 s[6:7], s[8:9]
	s_xor_b64 s[6:7], exec, s[6:7]
	s_cbranch_execz .LBB71_462
.LBB71_425:
	v_cmp_gt_i16_e32 vcc, 5, v17
	s_mov_b64 s[8:9], -1
	s_cbranch_vccnz .LBB71_446
; %bb.426:
	v_cmp_gt_i16_e32 vcc, 8, v17
	s_cbranch_vccnz .LBB71_436
; %bb.427:
	v_cmp_gt_i16_e32 vcc, 9, v17
	s_cbranch_vccnz .LBB71_433
; %bb.428:
	v_cmp_lt_i16_e32 vcc, 9, v17
	s_cbranch_vccz .LBB71_430
; %bb.429:
	s_mov_b64 s[8:9], 0
	global_store_dwordx4 v[8:9], v[0:3], off
.LBB71_430:
	s_andn2_b64 vcc, exec, s[8:9]
	s_cbranch_vccnz .LBB71_432
; %bb.431:
	v_pk_mov_b32 v[2:3], s[18:19], s[18:19] op_sel:[0,1]
	global_store_dwordx2 v[8:9], v[2:3], off
.LBB71_432:
	s_mov_b64 s[8:9], 0
.LBB71_433:
	s_andn2_b64 vcc, exec, s[8:9]
	s_cbranch_vccnz .LBB71_435
; %bb.434:
	global_store_dword v[8:9], v13, off
.LBB71_435:
	s_mov_b64 s[8:9], 0
.LBB71_436:
	s_andn2_b64 vcc, exec, s[8:9]
	s_cbranch_vccnz .LBB71_445
; %bb.437:
	v_cmp_gt_i16_e32 vcc, 6, v17
	s_mov_b64 s[8:9], -1
	s_cbranch_vccnz .LBB71_443
; %bb.438:
	v_cmp_lt_i16_e32 vcc, 6, v17
	s_cbranch_vccz .LBB71_440
; %bb.439:
	s_mov_b64 s[8:9], 0
	global_store_dwordx2 v[8:9], v[0:1], off
.LBB71_440:
	s_andn2_b64 vcc, exec, s[8:9]
	s_cbranch_vccnz .LBB71_442
; %bb.441:
	v_mov_b32_e32 v0, s18
	global_store_dword v[8:9], v0, off
.LBB71_442:
	s_mov_b64 s[8:9], 0
.LBB71_443:
	s_andn2_b64 vcc, exec, s[8:9]
	s_cbranch_vccnz .LBB71_445
; %bb.444:
	global_store_short v[8:9], v11, off
.LBB71_445:
	s_mov_b64 s[8:9], 0
.LBB71_446:
	s_andn2_b64 vcc, exec, s[8:9]
	s_cbranch_vccnz .LBB71_462
; %bb.447:
	v_cmp_gt_i16_e32 vcc, 2, v17
	s_mov_b64 s[8:9], -1
	s_cbranch_vccnz .LBB71_457
; %bb.448:
	v_cmp_gt_i16_e32 vcc, 3, v17
	s_cbranch_vccnz .LBB71_454
; %bb.449:
	v_cmp_lt_i16_e32 vcc, 3, v17
	s_cbranch_vccz .LBB71_451
; %bb.450:
	s_mov_b64 s[8:9], 0
	global_store_dwordx2 v[8:9], v[4:5], off
.LBB71_451:
	s_andn2_b64 vcc, exec, s[8:9]
	s_cbranch_vccnz .LBB71_453
; %bb.452:
	global_store_dword v[8:9], v10, off
.LBB71_453:
	s_mov_b64 s[8:9], 0
.LBB71_454:
	s_andn2_b64 vcc, exec, s[8:9]
	s_cbranch_vccnz .LBB71_456
; %bb.455:
	global_store_short v[8:9], v10, off
.LBB71_456:
	s_mov_b64 s[8:9], 0
.LBB71_457:
	s_andn2_b64 vcc, exec, s[8:9]
	s_cbranch_vccnz .LBB71_462
; %bb.458:
	v_cmp_lt_i16_e32 vcc, 0, v17
	s_mov_b64 s[8:9], -1
	s_cbranch_vccz .LBB71_460
; %bb.459:
	s_mov_b64 s[8:9], 0
	global_store_byte v[8:9], v10, off
.LBB71_460:
	s_andn2_b64 vcc, exec, s[8:9]
	s_cbranch_vccnz .LBB71_462
; %bb.461:
	global_store_byte v[8:9], v4, off
.LBB71_462:
	s_or_b64 exec, exec, s[6:7]
	s_and_b64 s[6:7], s[0:1], exec
                                        ; implicit-def: $vgpr8
                                        ; implicit-def: $vgpr12
.LBB71_463:
	s_or_saveexec_b64 s[24:25], s[2:3]
	s_mov_b64 s[0:1], 0
                                        ; implicit-def: $sgpr18
                                        ; implicit-def: $vgpr0_vgpr1
                                        ; implicit-def: $sgpr2
	s_xor_b64 exec, exec, s[24:25]
	s_cbranch_execz .LBB71_953
; %bb.464:
	v_cndmask_b32_e64 v0, 0, 1, s[36:37]
	v_cmp_ne_u32_e64 s[0:1], 1, v0
	s_andn2_b64 vcc, exec, s[36:37]
	s_cbranch_vccnz .LBB71_470
; %bb.465:
	s_mov_b32 s28, 0
	s_cmp_eq_u32 s33, 0
	v_mov_b32_e32 v6, 0
	s_cbranch_scc1 .LBB71_474
; %bb.466:
	s_min_u32 s29, s80, 15
	s_add_i32 s29, s29, 1
	s_cmp_eq_u32 s80, 2
	v_mov_b32_e32 v6, 0
	s_cbranch_scc1 .LBB71_471
; %bb.467:
	s_add_u32 s2, s4, 0xc4
	s_addc_u32 s3, s5, 0
	s_and_b32 s28, s29, 28
	s_mov_b32 s30, 0
	v_mov_b32_e32 v6, 0
	s_mov_b64 s[26:27], s[4:5]
	v_mov_b32_e32 v0, v12
.LBB71_468:                             ; =>This Inner Loop Header: Depth=1
	s_load_dwordx8 s[8:15], s[26:27], 0x4
	s_load_dwordx4 s[16:19], s[26:27], 0x24
	s_load_dwordx4 s[20:23], s[2:3], 0x0
	s_add_u32 s26, s26, 48
	s_addc_u32 s27, s27, 0
	s_waitcnt lgkmcnt(0)
	v_mul_hi_u32 v1, s9, v0
	v_add_u32_e32 v1, v0, v1
	v_lshrrev_b32_e32 v1, s10, v1
	v_mul_lo_u32 v2, v1, s8
	v_mul_hi_u32 v3, s12, v1
	v_sub_u32_e32 v0, v0, v2
	v_add_u32_e32 v2, v1, v3
	v_lshrrev_b32_e32 v2, s13, v2
	v_mul_lo_u32 v3, v2, s11
	v_mul_hi_u32 v4, s15, v2
	v_sub_u32_e32 v1, v1, v3
	v_add_u32_e32 v3, v2, v4
	v_mul_lo_u32 v0, v0, s20
	v_mul_lo_u32 v1, v1, s21
	v_lshrrev_b32_e32 v3, s16, v3
	v_add3_u32 v1, v0, v6, v1
	v_mul_lo_u32 v0, v3, s14
	v_mul_hi_u32 v4, s18, v3
	v_sub_u32_e32 v0, v2, v0
	v_add_u32_e32 v2, v3, v4
	v_mul_lo_u32 v4, v0, s22
	v_lshrrev_b32_e32 v0, s19, v2
	s_add_i32 s30, s30, 4
	v_mul_lo_u32 v2, v0, s17
	s_add_u32 s2, s2, 16
	v_sub_u32_e32 v2, v3, v2
	s_addc_u32 s3, s3, 0
	v_mul_lo_u32 v2, v2, s23
	s_cmp_lg_u32 s28, s30
	v_add3_u32 v6, v4, v1, v2
	s_cbranch_scc1 .LBB71_468
; %bb.469:
	s_and_b32 s10, s29, 3
	s_cmp_eq_u32 s10, 0
	s_cbranch_scc0 .LBB71_472
	s_branch .LBB71_474
.LBB71_470:
                                        ; implicit-def: $vgpr6
	s_branch .LBB71_475
.LBB71_471:
	v_mov_b32_e32 v0, v12
	s_and_b32 s10, s29, 3
	s_cmp_eq_u32 s10, 0
	s_cbranch_scc1 .LBB71_474
.LBB71_472:
	s_lshl_b32 s2, s28, 2
	s_add_u32 s2, s2, s4
	s_addc_u32 s3, 0, s5
	s_add_u32 s2, s2, 0xc4
	s_addc_u32 s3, s3, 0
	s_mul_i32 s8, s28, 12
	s_add_u32 s8, s4, s8
	s_addc_u32 s9, 0, s5
.LBB71_473:                             ; =>This Inner Loop Header: Depth=1
	s_load_dwordx2 s[12:13], s[8:9], 0x4
	s_load_dword s11, s[8:9], 0xc
	s_load_dword s14, s[2:3], 0x0
	s_add_u32 s8, s8, 12
	s_addc_u32 s9, s9, 0
	s_waitcnt lgkmcnt(0)
	v_mul_hi_u32 v1, s13, v0
	v_add_u32_e32 v1, v0, v1
	v_lshrrev_b32_e32 v1, s11, v1
	s_add_u32 s2, s2, 4
	v_mul_lo_u32 v2, v1, s12
	s_addc_u32 s3, s3, 0
	s_add_i32 s10, s10, -1
	v_sub_u32_e32 v2, v0, v2
	s_cmp_lg_u32 s10, 0
	v_mov_b32_e32 v0, v1
	v_mad_u64_u32 v[6:7], s[12:13], v2, s14, v[6:7]
	s_cbranch_scc1 .LBB71_473
.LBB71_474:
	s_cbranch_execnz .LBB71_477
.LBB71_475:
	s_load_dwordx4 s[8:11], s[4:5], 0x4
	s_load_dword s2, s[4:5], 0xc4
	s_cmp_lt_u32 s33, 2
	s_waitcnt lgkmcnt(0)
	v_mul_hi_u32 v0, s9, v12
	v_add_u32_e32 v0, v12, v0
	v_lshrrev_b32_e32 v0, s10, v0
	v_mul_lo_u32 v1, v0, s8
	v_sub_u32_e32 v1, v12, v1
	v_mul_lo_u32 v6, v1, s2
	s_cbranch_scc1 .LBB71_477
; %bb.476:
	s_load_dwordx4 s[8:11], s[4:5], 0x10
	s_load_dword s2, s[4:5], 0xc8
	s_waitcnt lgkmcnt(0)
	v_mul_hi_u32 v1, s9, v0
	v_add_u32_e32 v1, v0, v1
	v_lshrrev_b32_e32 v1, s10, v1
	v_mul_lo_u32 v1, v1, s8
	v_sub_u32_e32 v0, v0, v1
	v_mad_u64_u32 v[6:7], s[2:3], v0, s2, v[6:7]
.LBB71_477:
	s_and_b64 vcc, exec, s[0:1]
	v_add_u32_e32 v0, 0x80, v12
	s_cbranch_vccnz .LBB71_483
; %bb.478:
	s_mov_b32 s28, 0
	s_cmp_eq_u32 s33, 0
	v_mov_b32_e32 v4, 0
	s_cbranch_scc1 .LBB71_487
; %bb.479:
	s_min_u32 s29, s80, 15
	s_add_i32 s29, s29, 1
	s_cmp_eq_u32 s80, 2
	v_mov_b32_e32 v4, 0
	s_cbranch_scc1 .LBB71_484
; %bb.480:
	s_add_u32 s2, s4, 0xc4
	s_addc_u32 s3, s5, 0
	s_and_b32 s28, s29, 28
	s_mov_b32 s30, 0
	v_mov_b32_e32 v4, 0
	s_mov_b64 s[26:27], s[4:5]
	v_mov_b32_e32 v1, v0
.LBB71_481:                             ; =>This Inner Loop Header: Depth=1
	s_load_dwordx8 s[8:15], s[26:27], 0x4
	s_load_dwordx4 s[16:19], s[26:27], 0x24
	s_load_dwordx4 s[20:23], s[2:3], 0x0
	s_add_u32 s26, s26, 48
	s_addc_u32 s27, s27, 0
	s_waitcnt lgkmcnt(0)
	v_mul_hi_u32 v2, s9, v1
	v_add_u32_e32 v2, v1, v2
	v_lshrrev_b32_e32 v2, s10, v2
	v_mul_lo_u32 v3, v2, s8
	v_mul_hi_u32 v5, s12, v2
	v_sub_u32_e32 v1, v1, v3
	v_add_u32_e32 v3, v2, v5
	v_lshrrev_b32_e32 v3, s13, v3
	v_mul_lo_u32 v5, v3, s11
	v_mul_hi_u32 v7, s15, v3
	v_sub_u32_e32 v2, v2, v5
	v_add_u32_e32 v5, v3, v7
	v_mul_lo_u32 v1, v1, s20
	v_mul_lo_u32 v2, v2, s21
	v_lshrrev_b32_e32 v5, s16, v5
	v_add3_u32 v2, v1, v4, v2
	v_mul_lo_u32 v1, v5, s14
	v_mul_hi_u32 v4, s18, v5
	v_sub_u32_e32 v1, v3, v1
	v_add_u32_e32 v3, v5, v4
	v_mul_lo_u32 v4, v1, s22
	v_lshrrev_b32_e32 v1, s19, v3
	s_add_i32 s30, s30, 4
	v_mul_lo_u32 v3, v1, s17
	s_add_u32 s2, s2, 16
	v_sub_u32_e32 v3, v5, v3
	s_addc_u32 s3, s3, 0
	v_mul_lo_u32 v3, v3, s23
	s_cmp_lg_u32 s28, s30
	v_add3_u32 v4, v4, v2, v3
	s_cbranch_scc1 .LBB71_481
; %bb.482:
	s_and_b32 s10, s29, 3
	s_cmp_eq_u32 s10, 0
	s_cbranch_scc0 .LBB71_485
	s_branch .LBB71_487
.LBB71_483:
                                        ; implicit-def: $vgpr4
	s_branch .LBB71_488
.LBB71_484:
	v_mov_b32_e32 v1, v0
	s_and_b32 s10, s29, 3
	s_cmp_eq_u32 s10, 0
	s_cbranch_scc1 .LBB71_487
.LBB71_485:
	s_lshl_b32 s2, s28, 2
	s_add_u32 s2, s2, s4
	s_addc_u32 s3, 0, s5
	s_add_u32 s2, s2, 0xc4
	s_addc_u32 s3, s3, 0
	s_mul_i32 s8, s28, 12
	s_add_u32 s8, s4, s8
	s_addc_u32 s9, 0, s5
.LBB71_486:                             ; =>This Inner Loop Header: Depth=1
	s_load_dwordx2 s[12:13], s[8:9], 0x4
	s_load_dword s11, s[8:9], 0xc
	s_load_dword s14, s[2:3], 0x0
	s_add_u32 s8, s8, 12
	s_addc_u32 s9, s9, 0
	s_waitcnt lgkmcnt(0)
	v_mul_hi_u32 v2, s13, v1
	v_add_u32_e32 v2, v1, v2
	v_lshrrev_b32_e32 v2, s11, v2
	s_add_u32 s2, s2, 4
	v_mul_lo_u32 v3, v2, s12
	s_addc_u32 s3, s3, 0
	s_add_i32 s10, s10, -1
	v_sub_u32_e32 v3, v1, v3
	s_cmp_lg_u32 s10, 0
	v_mov_b32_e32 v1, v2
	v_mad_u64_u32 v[4:5], s[12:13], v3, s14, v[4:5]
	s_cbranch_scc1 .LBB71_486
.LBB71_487:
	s_cbranch_execnz .LBB71_490
.LBB71_488:
	s_load_dwordx4 s[8:11], s[4:5], 0x4
	s_load_dword s2, s[4:5], 0xc4
	s_cmp_lt_u32 s33, 2
	s_waitcnt lgkmcnt(0)
	v_mul_hi_u32 v1, s9, v0
	v_add_u32_e32 v1, v0, v1
	v_lshrrev_b32_e32 v1, s10, v1
	v_mul_lo_u32 v2, v1, s8
	v_sub_u32_e32 v0, v0, v2
	v_mul_lo_u32 v4, v0, s2
	s_cbranch_scc1 .LBB71_490
; %bb.489:
	s_load_dwordx4 s[8:11], s[4:5], 0x10
	s_load_dword s2, s[4:5], 0xc8
	s_waitcnt lgkmcnt(0)
	v_mul_hi_u32 v0, s9, v1
	v_add_u32_e32 v0, v1, v0
	v_lshrrev_b32_e32 v0, s10, v0
	v_mul_lo_u32 v0, v0, s8
	v_sub_u32_e32 v0, v1, v0
	v_mad_u64_u32 v[4:5], s[2:3], v0, s2, v[4:5]
.LBB71_490:
	s_and_b64 vcc, exec, s[0:1]
	v_add_u32_e32 v0, 0x100, v12
	s_cbranch_vccnz .LBB71_496
; %bb.491:
	s_mov_b32 s28, 0
	s_cmp_eq_u32 s33, 0
	v_mov_b32_e32 v2, 0
	s_cbranch_scc1 .LBB71_500
; %bb.492:
	s_min_u32 s29, s80, 15
	s_add_i32 s29, s29, 1
	s_cmp_eq_u32 s80, 2
	v_mov_b32_e32 v2, 0
	s_cbranch_scc1 .LBB71_497
; %bb.493:
	s_add_u32 s2, s4, 0xc4
	s_addc_u32 s3, s5, 0
	s_and_b32 s28, s29, 28
	s_mov_b32 s30, 0
	v_mov_b32_e32 v2, 0
	s_mov_b64 s[26:27], s[4:5]
	v_mov_b32_e32 v1, v0
.LBB71_494:                             ; =>This Inner Loop Header: Depth=1
	s_load_dwordx8 s[8:15], s[26:27], 0x4
	s_load_dwordx4 s[16:19], s[26:27], 0x24
	s_load_dwordx4 s[20:23], s[2:3], 0x0
	s_add_u32 s26, s26, 48
	s_addc_u32 s27, s27, 0
	s_waitcnt lgkmcnt(0)
	v_mul_hi_u32 v3, s9, v1
	v_add_u32_e32 v3, v1, v3
	v_lshrrev_b32_e32 v3, s10, v3
	v_mul_lo_u32 v5, v3, s8
	v_mul_hi_u32 v7, s12, v3
	v_sub_u32_e32 v1, v1, v5
	v_add_u32_e32 v5, v3, v7
	v_lshrrev_b32_e32 v5, s13, v5
	v_mul_lo_u32 v7, v5, s11
	v_mul_hi_u32 v9, s15, v5
	v_sub_u32_e32 v3, v3, v7
	v_add_u32_e32 v7, v5, v9
	v_mul_lo_u32 v1, v1, s20
	v_mul_lo_u32 v3, v3, s21
	v_lshrrev_b32_e32 v7, s16, v7
	v_add3_u32 v2, v1, v2, v3
	v_mul_lo_u32 v1, v7, s14
	v_mul_hi_u32 v3, s18, v7
	v_sub_u32_e32 v1, v5, v1
	v_add_u32_e32 v3, v7, v3
	v_mul_lo_u32 v5, v1, s22
	v_lshrrev_b32_e32 v1, s19, v3
	s_add_i32 s30, s30, 4
	v_mul_lo_u32 v3, v1, s17
	s_add_u32 s2, s2, 16
	v_sub_u32_e32 v3, v7, v3
	s_addc_u32 s3, s3, 0
	v_mul_lo_u32 v3, v3, s23
	s_cmp_lg_u32 s28, s30
	v_add3_u32 v2, v5, v2, v3
	s_cbranch_scc1 .LBB71_494
; %bb.495:
	s_and_b32 s10, s29, 3
	s_cmp_eq_u32 s10, 0
	s_cbranch_scc0 .LBB71_498
	s_branch .LBB71_500
.LBB71_496:
                                        ; implicit-def: $vgpr2
	s_branch .LBB71_501
.LBB71_497:
	v_mov_b32_e32 v1, v0
	s_and_b32 s10, s29, 3
	s_cmp_eq_u32 s10, 0
	s_cbranch_scc1 .LBB71_500
.LBB71_498:
	s_lshl_b32 s2, s28, 2
	s_add_u32 s2, s2, s4
	s_addc_u32 s3, 0, s5
	s_add_u32 s2, s2, 0xc4
	s_addc_u32 s3, s3, 0
	s_mul_i32 s8, s28, 12
	s_add_u32 s8, s4, s8
	s_addc_u32 s9, 0, s5
.LBB71_499:                             ; =>This Inner Loop Header: Depth=1
	s_load_dwordx2 s[12:13], s[8:9], 0x4
	s_load_dword s11, s[8:9], 0xc
	s_load_dword s14, s[2:3], 0x0
	s_add_u32 s8, s8, 12
	s_addc_u32 s9, s9, 0
	s_waitcnt lgkmcnt(0)
	v_mul_hi_u32 v3, s13, v1
	v_add_u32_e32 v3, v1, v3
	v_lshrrev_b32_e32 v3, s11, v3
	s_add_u32 s2, s2, 4
	v_mul_lo_u32 v5, v3, s12
	s_addc_u32 s3, s3, 0
	s_add_i32 s10, s10, -1
	v_sub_u32_e32 v5, v1, v5
	s_cmp_lg_u32 s10, 0
	v_mov_b32_e32 v1, v3
	v_mad_u64_u32 v[2:3], s[12:13], v5, s14, v[2:3]
	s_cbranch_scc1 .LBB71_499
.LBB71_500:
	s_cbranch_execnz .LBB71_503
.LBB71_501:
	s_load_dwordx4 s[8:11], s[4:5], 0x4
	s_load_dword s2, s[4:5], 0xc4
	s_cmp_lt_u32 s33, 2
	s_waitcnt lgkmcnt(0)
	v_mul_hi_u32 v1, s9, v0
	v_add_u32_e32 v1, v0, v1
	v_lshrrev_b32_e32 v1, s10, v1
	v_mul_lo_u32 v2, v1, s8
	v_sub_u32_e32 v0, v0, v2
	v_mul_lo_u32 v2, v0, s2
	s_cbranch_scc1 .LBB71_503
; %bb.502:
	s_load_dwordx4 s[8:11], s[4:5], 0x10
	s_load_dword s2, s[4:5], 0xc8
	s_waitcnt lgkmcnt(0)
	v_mul_hi_u32 v0, s9, v1
	v_add_u32_e32 v0, v1, v0
	v_lshrrev_b32_e32 v0, s10, v0
	v_mul_lo_u32 v0, v0, s8
	v_sub_u32_e32 v0, v1, v0
	v_mad_u64_u32 v[2:3], s[2:3], v0, s2, v[2:3]
.LBB71_503:
	s_and_b64 vcc, exec, s[0:1]
	s_cbranch_vccnz .LBB71_509
; %bb.504:
	s_mov_b32 s26, 0
	s_cmp_eq_u32 s33, 0
	v_mov_b32_e32 v0, 0
	s_cbranch_scc1 .LBB71_513
; %bb.505:
	s_min_u32 s27, s80, 15
	s_add_i32 s27, s27, 1
	s_cmp_eq_u32 s80, 2
	v_mov_b32_e32 v0, 0
	s_cbranch_scc1 .LBB71_510
; %bb.506:
	s_add_u32 s20, s4, 0xc4
	s_addc_u32 s21, s5, 0
	s_and_b32 s26, s27, 28
	s_mov_b32 s28, 0
	v_mov_b32_e32 v0, 0
	s_mov_b64 s[22:23], s[4:5]
	v_mov_b32_e32 v3, v8
.LBB71_507:                             ; =>This Inner Loop Header: Depth=1
	s_load_dwordx8 s[8:15], s[22:23], 0x4
	s_load_dwordx4 s[0:3], s[22:23], 0x24
	s_load_dwordx4 s[16:19], s[20:21], 0x0
	s_add_u32 s22, s22, 48
	s_addc_u32 s23, s23, 0
	s_waitcnt lgkmcnt(0)
	v_mul_hi_u32 v1, s9, v3
	v_add_u32_e32 v1, v3, v1
	v_lshrrev_b32_e32 v1, s10, v1
	v_mul_lo_u32 v5, v1, s8
	v_mul_hi_u32 v7, s12, v1
	v_sub_u32_e32 v3, v3, v5
	v_add_u32_e32 v5, v1, v7
	v_lshrrev_b32_e32 v5, s13, v5
	v_mul_lo_u32 v7, v5, s11
	v_mul_hi_u32 v9, s15, v5
	v_sub_u32_e32 v1, v1, v7
	v_add_u32_e32 v7, v5, v9
	v_mul_lo_u32 v3, v3, s16
	v_mul_lo_u32 v1, v1, s17
	v_lshrrev_b32_e32 v7, s0, v7
	v_add3_u32 v0, v3, v0, v1
	v_mul_hi_u32 v3, s2, v7
	v_add_u32_e32 v3, v7, v3
	v_mul_lo_u32 v1, v7, s14
	v_lshrrev_b32_e32 v3, s3, v3
	s_add_i32 s28, s28, 4
	v_sub_u32_e32 v1, v5, v1
	v_mul_lo_u32 v5, v3, s1
	s_add_u32 s20, s20, 16
	v_sub_u32_e32 v5, v7, v5
	s_addc_u32 s21, s21, 0
	v_mul_lo_u32 v1, v1, s18
	v_mul_lo_u32 v5, v5, s19
	s_cmp_lg_u32 s26, s28
	v_add3_u32 v0, v1, v0, v5
	s_cbranch_scc1 .LBB71_507
; %bb.508:
	s_and_b32 s8, s27, 3
	s_cmp_eq_u32 s8, 0
	s_cbranch_scc0 .LBB71_511
	s_branch .LBB71_513
.LBB71_509:
                                        ; implicit-def: $vgpr0
	s_branch .LBB71_514
.LBB71_510:
	v_mov_b32_e32 v3, v8
	s_and_b32 s8, s27, 3
	s_cmp_eq_u32 s8, 0
	s_cbranch_scc1 .LBB71_513
.LBB71_511:
	s_lshl_b32 s0, s26, 2
	s_add_u32 s0, s0, s4
	s_addc_u32 s1, 0, s5
	s_add_u32 s0, s0, 0xc4
	s_addc_u32 s1, s1, 0
	s_mul_i32 s2, s26, 12
	s_add_u32 s2, s4, s2
	s_addc_u32 s3, 0, s5
.LBB71_512:                             ; =>This Inner Loop Header: Depth=1
	s_load_dwordx2 s[10:11], s[2:3], 0x4
	s_load_dword s9, s[2:3], 0xc
	s_load_dword s12, s[0:1], 0x0
	s_add_u32 s2, s2, 12
	s_addc_u32 s3, s3, 0
	s_waitcnt lgkmcnt(0)
	v_mul_hi_u32 v1, s11, v3
	v_add_u32_e32 v1, v3, v1
	v_lshrrev_b32_e32 v1, s9, v1
	s_add_u32 s0, s0, 4
	v_mul_lo_u32 v5, v1, s10
	s_addc_u32 s1, s1, 0
	s_add_i32 s8, s8, -1
	v_sub_u32_e32 v5, v3, v5
	s_cmp_lg_u32 s8, 0
	v_mov_b32_e32 v3, v1
	v_mad_u64_u32 v[0:1], s[10:11], v5, s12, v[0:1]
	s_cbranch_scc1 .LBB71_512
.LBB71_513:
	s_cbranch_execnz .LBB71_516
.LBB71_514:
	s_load_dwordx4 s[0:3], s[4:5], 0x4
	s_waitcnt lgkmcnt(0)
	s_load_dword s3, s[4:5], 0xc4
	s_cmp_lt_u32 s33, 2
	v_mul_hi_u32 v0, s1, v8
	v_add_u32_e32 v0, v8, v0
	v_lshrrev_b32_e32 v1, s2, v0
	v_mul_lo_u32 v0, v1, s0
	v_sub_u32_e32 v0, v8, v0
	s_waitcnt lgkmcnt(0)
	v_mul_lo_u32 v0, v0, s3
	s_cbranch_scc1 .LBB71_516
; %bb.515:
	s_load_dwordx4 s[0:3], s[4:5], 0x10
	s_waitcnt lgkmcnt(0)
	s_load_dword s3, s[4:5], 0xc8
	v_mul_hi_u32 v3, s1, v1
	v_add_u32_e32 v3, v1, v3
	v_lshrrev_b32_e32 v3, s2, v3
	v_mul_lo_u32 v3, v3, s0
	v_sub_u32_e32 v1, v1, v3
	s_waitcnt lgkmcnt(0)
	v_mad_u64_u32 v[0:1], s[0:1], v1, s3, v[0:1]
.LBB71_516:
	s_load_dwordx4 s[0:3], s[4:5], 0x108
	s_load_dword s8, s[4:5], 0x118
	s_waitcnt lgkmcnt(0)
	v_mov_b32_e32 v1, s1
	v_add_co_u32_e32 v6, vcc, s0, v6
	s_and_b32 s18, s8, 0xff
	v_addc_co_u32_e32 v7, vcc, 0, v1, vcc
	v_cmp_lt_i16_e64 s[8:9], s18, 11
	s_and_b64 vcc, exec, s[8:9]
	s_cbranch_vccnz .LBB71_523
; %bb.517:
	v_cmp_gt_i16_e64 s[4:5], s18, 25
	s_mov_b64 s[14:15], -1
	s_mov_b64 s[10:11], 0
	s_and_b64 vcc, exec, s[4:5]
	s_mov_b64 s[12:13], 0
	s_mov_b64 s[4:5], 0
	s_cbranch_vccz .LBB71_556
; %bb.518:
	v_cmp_gt_i16_e64 s[4:5], s18, 28
	s_and_b64 vcc, exec, s[4:5]
	s_cbranch_vccz .LBB71_525
; %bb.519:
	v_cmp_gt_i16_e64 s[4:5], s18, 43
	s_and_b64 vcc, exec, s[4:5]
	;; [unrolled: 4-line block ×3, first 2 shown]
	s_cbranch_vccz .LBB71_527
; %bb.521:
	v_cmp_eq_u16_e64 s[12:13], s18, 46
	s_mov_b64 s[4:5], -1
	s_mov_b64 s[14:15], 0
	s_and_b64 vcc, exec, s[12:13]
	s_mov_b64 s[12:13], 0
	s_cbranch_vccz .LBB71_528
; %bb.522:
	s_bfe_u32 s4, s2, 0x10010
	s_add_i32 s4, s2, s4
	s_addk_i32 s4, 0x7fff
	s_lshr_b32 s12, s4, 16
	s_bfe_u32 s4, s3, 0x10010
	s_add_i32 s4, s3, s4
	s_addk_i32 s4, 0x7fff
	s_and_b32 s13, s4, 0xffff0000
	v_cmp_o_f32_e64 s[4:5], s3, s3
	s_and_b64 s[4:5], s[4:5], exec
	v_cmp_o_f32_e64 s[4:5], s2, s2
	s_cselect_b32 s13, s13, 0x7fc00000
	s_and_b64 s[4:5], s[4:5], exec
	s_cselect_b32 s4, s12, 0x7fc0
	s_or_b32 s4, s13, s4
	v_mov_b32_e32 v1, s4
	global_store_dword v[6:7], v1, off
	s_mov_b64 s[4:5], 0
	s_mov_b64 s[12:13], -1
	s_branch .LBB71_528
.LBB71_523:
	s_mov_b64 s[12:13], 0
	s_mov_b64 s[4:5], s[6:7]
	s_cbranch_execnz .LBB71_606
.LBB71_524:
	s_andn2_b64 vcc, exec, s[12:13]
	s_cbranch_vccz .LBB71_644
	s_branch .LBB71_951
.LBB71_525:
	s_mov_b64 s[4:5], 0
	s_branch .LBB71_537
.LBB71_526:
	s_mov_b64 s[4:5], 0
	s_and_b64 vcc, exec, s[14:15]
	s_cbranch_vccnz .LBB71_534
	s_branch .LBB71_536
.LBB71_527:
	s_mov_b64 s[4:5], 0
.LBB71_528:
	s_and_b64 vcc, exec, s[14:15]
	s_cbranch_vccz .LBB71_533
; %bb.529:
	v_cmp_eq_u16_e64 s[14:15], s18, 44
	s_mov_b64 s[4:5], -1
	s_and_b64 vcc, exec, s[14:15]
	s_cbranch_vccz .LBB71_533
; %bb.530:
	s_bfe_u32 s4, s2, 0x80017
	s_cmpk_eq_i32 s4, 0xff
	v_mov_b32_e32 v1, 0xff
	s_cbranch_scc1 .LBB71_532
; %bb.531:
	s_lshr_b32 s14, s2, 23
	s_bitcmp1_b32 s2, 22
	s_cselect_b64 s[12:13], -1, 0
	s_and_b32 s5, s2, 0x3fffff
	s_or_b32 s4, s4, s5
	s_cmp_lg_u32 s4, 0
	s_cselect_b64 s[4:5], -1, 0
	s_and_b64 s[4:5], s[12:13], s[4:5]
	v_cndmask_b32_e64 v1, 0, 1, s[4:5]
	v_add_u32_e32 v1, s14, v1
.LBB71_532:
	s_mov_b64 s[4:5], 0
	s_mov_b64 s[12:13], -1
	global_store_byte v[6:7], v1, off
.LBB71_533:
	s_branch .LBB71_536
.LBB71_534:
	v_cmp_eq_u16_e64 s[14:15], s18, 29
	s_mov_b64 s[4:5], -1
	s_and_b64 vcc, exec, s[14:15]
	s_cbranch_vccz .LBB71_536
; %bb.535:
	v_trunc_f32_e32 v1, s2
	v_mul_f32_e32 v3, 0x2f800000, v1
	v_floor_f32_e32 v3, v3
	v_fmac_f32_e32 v1, 0xcf800000, v3
	v_cvt_u32_f32_e32 v9, v3
	v_cvt_u32_f32_e32 v8, v1
	s_mov_b64 s[4:5], 0
	s_mov_b64 s[12:13], -1
	s_mov_b64 s[14:15], 0
	global_store_dwordx2 v[6:7], v[8:9], off
	s_branch .LBB71_537
.LBB71_536:
	s_mov_b64 s[14:15], 0
.LBB71_537:
	s_and_b64 vcc, exec, s[14:15]
	s_cbranch_vccz .LBB71_555
; %bb.538:
	v_cmp_lt_i16_e64 s[14:15], s18, 27
	s_mov_b64 s[12:13], -1
	s_and_b64 vcc, exec, s[14:15]
	s_cbranch_vccnz .LBB71_544
; %bb.539:
	v_cmp_gt_i16_e64 s[14:15], s18, 27
	s_and_b64 vcc, exec, s[14:15]
	s_cbranch_vccz .LBB71_541
; %bb.540:
	v_cvt_u32_f32_e32 v1, s2
	s_mov_b64 s[12:13], 0
	global_store_dword v[6:7], v1, off
.LBB71_541:
	s_andn2_b64 vcc, exec, s[12:13]
	s_cbranch_vccnz .LBB71_543
; %bb.542:
	v_cvt_u32_f32_e32 v1, s2
	global_store_short v[6:7], v1, off
.LBB71_543:
	s_mov_b64 s[12:13], 0
.LBB71_544:
	s_andn2_b64 vcc, exec, s[12:13]
	s_cbranch_vccnz .LBB71_554
; %bb.545:
	s_and_b32 s12, s2, 0x7fffffff
	s_cmp_gt_u32 s12, 0x437fffff
	v_mov_b32_e32 v3, 0x80
	s_cbranch_scc1 .LBB71_553
; %bb.546:
	s_cmp_gt_u32 s12, 0x3bffffff
	s_cbranch_scc0 .LBB71_548
; %bb.547:
	s_bfe_u32 s12, s2, 0x10014
	s_add_i32 s12, s2, s12
	s_add_i32 s12, s12, 0x487ffff
	s_lshr_b32 s16, s12, 20
	s_mov_b64 s[14:15], 0
	s_mov_b64 s[12:13], -1
	s_branch .LBB71_549
.LBB71_548:
	s_mov_b64 s[14:15], -1
	s_mov_b64 s[12:13], 0
                                        ; implicit-def: $sgpr16
.LBB71_549:
	s_andn2_b64 vcc, exec, s[14:15]
	v_mov_b32_e32 v1, s16
                                        ; implicit-def: $sgpr14
	s_cbranch_vccnz .LBB71_551
; %bb.550:
	v_mov_b32_e32 v1, 0x46000000
	v_add_f32_e64 v1, |s2|, v1
	v_and_b32_e32 v1, 0xff, v1
	s_mov_b32 s14, 0
	v_cmp_ne_u32_e64 s[12:13], 0, v1
.LBB71_551:
	s_andn2_b64 vcc, exec, s[12:13]
	v_mov_b32_e32 v3, s14
	s_cbranch_vccnz .LBB71_553
; %bb.552:
	s_lshr_b32 s12, s2, 24
	s_and_b32 s12, s12, 0x80
	v_or_b32_e32 v3, s12, v1
.LBB71_553:
	global_store_byte v[6:7], v3, off
.LBB71_554:
	s_mov_b64 s[12:13], -1
.LBB71_555:
	s_mov_b64 s[14:15], 0
.LBB71_556:
	s_and_b64 vcc, exec, s[14:15]
	s_cbranch_vccz .LBB71_602
; %bb.557:
	v_cmp_gt_i16_e64 s[14:15], s18, 22
	s_mov_b64 s[10:11], -1
	s_and_b64 vcc, exec, s[14:15]
	s_cbranch_vccz .LBB71_595
; %bb.558:
	v_cmp_lt_i16_e64 s[12:13], s18, 24
	s_and_b64 vcc, exec, s[12:13]
	s_cbranch_vccnz .LBB71_582
; %bb.559:
	v_cmp_gt_i16_e64 s[12:13], s18, 24
	s_and_b64 vcc, exec, s[12:13]
	s_cbranch_vccz .LBB71_569
; %bb.560:
	s_and_b32 s10, s2, 0x7fffffff
	s_cmp_gt_u32 s10, 0x477fffff
	v_mov_b32_e32 v3, 0x80
	s_cbranch_scc1 .LBB71_568
; %bb.561:
	s_cmp_gt_u32 s10, 0x37ffffff
	s_cbranch_scc0 .LBB71_563
; %bb.562:
	s_bfe_u32 s10, s2, 0x10015
	s_add_i32 s10, s2, s10
	s_add_i32 s10, s10, 0x88fffff
	s_lshr_b32 s14, s10, 21
	s_mov_b64 s[12:13], 0
	s_mov_b64 s[10:11], -1
	s_branch .LBB71_564
.LBB71_563:
	s_mov_b64 s[12:13], -1
	s_mov_b64 s[10:11], 0
                                        ; implicit-def: $sgpr14
.LBB71_564:
	s_andn2_b64 vcc, exec, s[12:13]
	v_mov_b32_e32 v1, s14
                                        ; implicit-def: $sgpr12
	s_cbranch_vccnz .LBB71_566
; %bb.565:
	v_mov_b32_e32 v1, 0x42800000
	v_add_f32_e64 v1, |s2|, v1
	v_and_b32_e32 v1, 0xff, v1
	s_mov_b32 s12, 0
	v_cmp_ne_u32_e64 s[10:11], 0, v1
.LBB71_566:
	s_andn2_b64 vcc, exec, s[10:11]
	v_mov_b32_e32 v3, s12
	s_cbranch_vccnz .LBB71_568
; %bb.567:
	s_lshr_b32 s10, s2, 24
	s_and_b32 s10, s10, 0x80
	v_or_b32_e32 v3, s10, v1
.LBB71_568:
	s_mov_b64 s[10:11], 0
	global_store_byte v[6:7], v3, off
.LBB71_569:
	s_and_b64 vcc, exec, s[10:11]
	s_cbranch_vccz .LBB71_581
; %bb.570:
	s_and_b32 s12, s2, 0x7fffffff
	s_cmp_lt_u32 s12, 0x43f00000
	s_cbranch_scc0 .LBB71_573
; %bb.571:
	s_cmp_gt_u32 s12, 0x3c7fffff
	s_cbranch_scc0 .LBB71_574
; %bb.572:
	s_bfe_u32 s10, s2, 0x10014
	s_add_i32 s10, s2, s10
	s_add_i32 s10, s10, 0x407ffff
	s_lshr_b32 s11, s10, 20
	s_and_b32 s10, s10, 0xff00000
	s_cmp_lg_u32 s10, 0x7f00000
	s_cselect_b32 s13, s11, 0x7e
	s_mov_b64 s[10:11], 0
	s_branch .LBB71_575
.LBB71_573:
	s_mov_b64 s[10:11], -1
                                        ; implicit-def: $vgpr1
	s_branch .LBB71_578
.LBB71_574:
	s_mov_b64 s[10:11], -1
                                        ; implicit-def: $sgpr13
.LBB71_575:
	s_andn2_b64 vcc, exec, s[10:11]
	v_mov_b32_e32 v1, s13
	s_cbranch_vccnz .LBB71_577
; %bb.576:
	v_mov_b32_e32 v1, 0x46800000
	v_add_f32_e64 v1, |s2|, v1
.LBB71_577:
	s_mov_b64 s[10:11], 0
.LBB71_578:
	s_andn2_b64 vcc, exec, s[10:11]
	s_cbranch_vccnz .LBB71_580
; %bb.579:
	s_cmp_gt_u32 s12, 0x7f800000
	s_movk_i32 s10, 0x7f
	s_cselect_b32 s10, s10, 0x7e
	v_mov_b32_e32 v1, s10
.LBB71_580:
	s_lshr_b32 s10, s2, 24
	s_and_b32 s10, s10, 0x80
	v_or_b32_e32 v1, s10, v1
	global_store_byte v[6:7], v1, off
.LBB71_581:
	s_mov_b64 s[10:11], 0
.LBB71_582:
	s_andn2_b64 vcc, exec, s[10:11]
	s_cbranch_vccnz .LBB71_594
; %bb.583:
	s_and_b32 s12, s2, 0x7fffffff
	s_cmp_lt_u32 s12, 0x47800000
	s_cbranch_scc0 .LBB71_586
; %bb.584:
	s_cmp_gt_u32 s12, 0x387fffff
	s_cbranch_scc0 .LBB71_587
; %bb.585:
	s_bfe_u32 s10, s2, 0x10015
	s_add_i32 s10, s2, s10
	s_add_i32 s10, s10, 0x80fffff
	s_lshr_b32 s13, s10, 21
	s_mov_b64 s[10:11], 0
	s_branch .LBB71_588
.LBB71_586:
	s_mov_b64 s[10:11], -1
                                        ; implicit-def: $vgpr1
	s_branch .LBB71_591
.LBB71_587:
	s_mov_b64 s[10:11], -1
                                        ; implicit-def: $sgpr13
.LBB71_588:
	s_andn2_b64 vcc, exec, s[10:11]
	v_mov_b32_e32 v1, s13
	s_cbranch_vccnz .LBB71_590
; %bb.589:
	v_mov_b32_e32 v1, 0x43000000
	v_add_f32_e64 v1, |s2|, v1
.LBB71_590:
	s_mov_b64 s[10:11], 0
.LBB71_591:
	s_andn2_b64 vcc, exec, s[10:11]
	s_cbranch_vccnz .LBB71_593
; %bb.592:
	s_cmp_gt_u32 s12, 0x7f800000
	s_movk_i32 s10, 0x7f
	s_cselect_b32 s10, s10, 0x7c
	v_mov_b32_e32 v1, s10
.LBB71_593:
	s_lshr_b32 s10, s2, 24
	s_and_b32 s10, s10, 0x80
	v_or_b32_e32 v1, s10, v1
	global_store_byte v[6:7], v1, off
.LBB71_594:
	s_mov_b64 s[10:11], 0
	s_mov_b64 s[12:13], -1
.LBB71_595:
	s_andn2_b64 vcc, exec, s[10:11]
	s_mov_b64 s[10:11], 0
	s_cbranch_vccnz .LBB71_602
; %bb.596:
	v_cmp_gt_i16_e64 s[10:11], s18, 14
	s_mov_b64 s[14:15], -1
	s_and_b64 vcc, exec, s[10:11]
	s_cbranch_vccz .LBB71_600
; %bb.597:
	v_cmp_eq_u16_e64 s[10:11], s18, 15
	s_mov_b64 s[4:5], -1
	s_and_b64 vcc, exec, s[10:11]
	s_cbranch_vccz .LBB71_599
; %bb.598:
	s_bfe_u32 s4, s2, 0x10010
	s_add_i32 s4, s2, s4
	s_addk_i32 s4, 0x7fff
	s_lshr_b32 s10, s4, 16
	v_cmp_o_f32_e64 s[4:5], s2, s2
	s_and_b64 s[4:5], s[4:5], exec
	s_cselect_b32 s4, s10, 0x7fc0
	v_mov_b32_e32 v1, s4
	global_store_short v[6:7], v1, off
	s_mov_b64 s[4:5], 0
	s_mov_b64 s[12:13], -1
.LBB71_599:
	s_mov_b64 s[14:15], 0
.LBB71_600:
	s_mov_b64 s[10:11], 0
	s_and_b64 vcc, exec, s[14:15]
	s_cbranch_vccz .LBB71_602
; %bb.601:
	v_cmp_ne_u16_e64 s[4:5], s18, 11
	s_mov_b64 s[10:11], -1
.LBB71_602:
	s_and_b64 vcc, exec, s[4:5]
	s_mov_b64 s[4:5], s[6:7]
	s_cbranch_vccnz .LBB71_655
; %bb.603:
	s_andn2_b64 vcc, exec, s[10:11]
	s_cbranch_vccnz .LBB71_605
.LBB71_604:
	s_or_b32 s10, s2, s3
	s_bitset0_b32 s10, 31
	s_cmp_lg_u32 s10, 0
	s_cselect_b64 s[10:11], -1, 0
	v_cndmask_b32_e64 v1, 0, 1, s[10:11]
	global_store_byte v[6:7], v1, off
	s_mov_b64 s[12:13], -1
.LBB71_605:
	s_branch .LBB71_524
.LBB71_606:
	v_cmp_lt_i16_e64 s[12:13], s18, 5
	s_mov_b64 s[10:11], -1
	s_and_b64 vcc, exec, s[12:13]
	s_cbranch_vccnz .LBB71_627
; %bb.607:
	v_cmp_lt_i16_e64 s[12:13], s18, 8
	s_and_b64 vcc, exec, s[12:13]
	s_cbranch_vccnz .LBB71_617
; %bb.608:
	v_cmp_lt_i16_e64 s[12:13], s18, 9
	s_and_b64 vcc, exec, s[12:13]
	s_cbranch_vccnz .LBB71_614
; %bb.609:
	v_cmp_gt_i16_e64 s[12:13], s18, 9
	s_and_b64 vcc, exec, s[12:13]
	s_cbranch_vccz .LBB71_611
; %bb.610:
	v_cvt_f64_f32_e32 v[8:9], s2
	v_cvt_f64_f32_e32 v[10:11], s3
	global_store_dwordx4 v[6:7], v[8:11], off
	s_mov_b64 s[10:11], 0
.LBB71_611:
	s_andn2_b64 vcc, exec, s[10:11]
	s_cbranch_vccnz .LBB71_613
; %bb.612:
	v_pk_mov_b32 v[8:9], s[2:3], s[2:3] op_sel:[0,1]
	global_store_dwordx2 v[6:7], v[8:9], off
.LBB71_613:
	s_mov_b64 s[10:11], 0
.LBB71_614:
	s_andn2_b64 vcc, exec, s[10:11]
	s_cbranch_vccnz .LBB71_616
; %bb.615:
	v_cvt_f16_f32_e32 v1, s2
	v_cvt_f16_f32_sdwa v3, s3 dst_sel:WORD_1 dst_unused:UNUSED_PAD src0_sel:DWORD
	v_or_b32_e32 v1, v3, v1
	global_store_dword v[6:7], v1, off
.LBB71_616:
	s_mov_b64 s[10:11], 0
.LBB71_617:
	s_andn2_b64 vcc, exec, s[10:11]
	s_cbranch_vccnz .LBB71_626
; %bb.618:
	v_cmp_lt_i16_e64 s[12:13], s18, 6
	s_mov_b64 s[10:11], -1
	s_and_b64 vcc, exec, s[12:13]
	s_cbranch_vccnz .LBB71_624
; %bb.619:
	v_cmp_gt_i16_e64 s[12:13], s18, 6
	s_and_b64 vcc, exec, s[12:13]
	s_cbranch_vccz .LBB71_621
; %bb.620:
	v_cvt_f64_f32_e32 v[8:9], s2
	global_store_dwordx2 v[6:7], v[8:9], off
	s_mov_b64 s[10:11], 0
.LBB71_621:
	s_andn2_b64 vcc, exec, s[10:11]
	s_cbranch_vccnz .LBB71_623
; %bb.622:
	v_mov_b32_e32 v1, s2
	global_store_dword v[6:7], v1, off
.LBB71_623:
	s_mov_b64 s[10:11], 0
.LBB71_624:
	s_andn2_b64 vcc, exec, s[10:11]
	s_cbranch_vccnz .LBB71_626
; %bb.625:
	v_cvt_f16_f32_e32 v1, s2
	global_store_short v[6:7], v1, off
.LBB71_626:
	s_mov_b64 s[10:11], 0
.LBB71_627:
	s_andn2_b64 vcc, exec, s[10:11]
	s_cbranch_vccnz .LBB71_643
; %bb.628:
	v_cmp_lt_i16_e64 s[12:13], s18, 2
	s_mov_b64 s[10:11], -1
	s_and_b64 vcc, exec, s[12:13]
	s_cbranch_vccnz .LBB71_638
; %bb.629:
	v_cmp_lt_i16_e64 s[12:13], s18, 3
	s_and_b64 vcc, exec, s[12:13]
	s_cbranch_vccnz .LBB71_635
; %bb.630:
	v_cmp_gt_i16_e64 s[12:13], s18, 3
	s_and_b64 vcc, exec, s[12:13]
	s_cbranch_vccz .LBB71_632
; %bb.631:
	v_trunc_f32_e32 v1, s2
	s_mov_b32 s10, 0x2f800000
	v_mul_f32_e64 v3, |v1|, s10
	v_floor_f32_e32 v3, v3
	s_mov_b32 s10, 0xcf800000
	v_fma_f32 v5, v3, s10, |v1|
	v_cvt_u32_f32_e32 v5, v5
	v_cvt_u32_f32_e32 v3, v3
	v_ashrrev_i32_e32 v1, 31, v1
	s_mov_b64 s[10:11], 0
	v_xor_b32_e32 v5, v5, v1
	v_xor_b32_e32 v3, v3, v1
	v_sub_co_u32_e32 v8, vcc, v5, v1
	v_subb_co_u32_e32 v9, vcc, v3, v1, vcc
	global_store_dwordx2 v[6:7], v[8:9], off
.LBB71_632:
	s_andn2_b64 vcc, exec, s[10:11]
	s_cbranch_vccnz .LBB71_634
; %bb.633:
	v_cvt_i32_f32_e32 v1, s2
	global_store_dword v[6:7], v1, off
.LBB71_634:
	s_mov_b64 s[10:11], 0
.LBB71_635:
	s_andn2_b64 vcc, exec, s[10:11]
	s_cbranch_vccnz .LBB71_637
; %bb.636:
	v_cvt_i32_f32_e32 v1, s2
	global_store_short v[6:7], v1, off
.LBB71_637:
	s_mov_b64 s[10:11], 0
.LBB71_638:
	s_andn2_b64 vcc, exec, s[10:11]
	s_cbranch_vccnz .LBB71_643
; %bb.639:
	v_cmp_gt_i16_e64 s[12:13], s18, 0
	s_mov_b64 s[10:11], -1
	s_and_b64 vcc, exec, s[12:13]
	s_cbranch_vccz .LBB71_641
; %bb.640:
	v_cvt_i32_f32_e32 v1, s2
	s_mov_b64 s[10:11], 0
	global_store_byte v[6:7], v1, off
.LBB71_641:
	s_andn2_b64 vcc, exec, s[10:11]
	s_cbranch_vccnz .LBB71_643
; %bb.642:
	v_trunc_f32_e32 v1, s2
	s_mov_b32 s10, 0x2f800000
	v_mul_f32_e64 v3, |v1|, s10
	v_floor_f32_e32 v3, v3
	s_mov_b32 s10, 0xcf800000
	v_fma_f32 v3, v3, s10, |v1|
	v_cvt_u32_f32_e32 v3, v3
	v_ashrrev_i32_e32 v1, 31, v1
	v_xor_b32_e32 v3, v3, v1
	v_sub_u32_e32 v1, v3, v1
	global_store_byte v[6:7], v1, off
.LBB71_643:
.LBB71_644:
	v_mov_b32_e32 v1, s1
	v_add_co_u32_e32 v4, vcc, s0, v4
	v_addc_co_u32_e32 v5, vcc, 0, v1, vcc
	s_and_b64 vcc, exec, s[8:9]
	s_cbranch_vccnz .LBB71_651
; %bb.645:
	v_cmp_gt_i16_e64 s[10:11], s18, 25
	s_mov_b64 s[16:17], -1
	s_mov_b64 s[12:13], 0
	s_and_b64 vcc, exec, s[10:11]
	s_mov_b64 s[14:15], 0
	s_mov_b64 s[10:11], 0
	s_cbranch_vccz .LBB71_686
; %bb.646:
	v_cmp_gt_i16_e64 s[10:11], s18, 28
	s_and_b64 vcc, exec, s[10:11]
	s_cbranch_vccz .LBB71_653
; %bb.647:
	v_cmp_gt_i16_e64 s[10:11], s18, 43
	s_and_b64 vcc, exec, s[10:11]
	;; [unrolled: 4-line block ×3, first 2 shown]
	s_cbranch_vccz .LBB71_656
; %bb.649:
	v_cmp_eq_u16_e64 s[14:15], s18, 46
	s_mov_b64 s[10:11], -1
	s_mov_b64 s[16:17], 0
	s_and_b64 vcc, exec, s[14:15]
	s_mov_b64 s[14:15], 0
	s_cbranch_vccz .LBB71_657
; %bb.650:
	s_bfe_u32 s10, s2, 0x10010
	s_add_i32 s10, s2, s10
	s_addk_i32 s10, 0x7fff
	s_lshr_b32 s14, s10, 16
	s_bfe_u32 s10, s3, 0x10010
	s_add_i32 s10, s3, s10
	s_addk_i32 s10, 0x7fff
	s_and_b32 s15, s10, 0xffff0000
	v_cmp_o_f32_e64 s[10:11], s3, s3
	s_and_b64 s[10:11], s[10:11], exec
	v_cmp_o_f32_e64 s[10:11], s2, s2
	s_cselect_b32 s15, s15, 0x7fc00000
	s_and_b64 s[10:11], s[10:11], exec
	s_cselect_b32 s10, s14, 0x7fc0
	s_or_b32 s10, s15, s10
	v_mov_b32_e32 v1, s10
	global_store_dword v[4:5], v1, off
	s_mov_b64 s[10:11], 0
	s_mov_b64 s[14:15], -1
	s_branch .LBB71_657
.LBB71_651:
	s_mov_b64 s[14:15], 0
	s_cbranch_execnz .LBB71_736
.LBB71_652:
	s_andn2_b64 vcc, exec, s[14:15]
	s_cbranch_vccz .LBB71_774
	s_branch .LBB71_951
.LBB71_653:
	s_mov_b64 s[10:11], 0
	s_branch .LBB71_667
.LBB71_654:
	s_mov_b64 s[10:11], 0
	s_branch .LBB71_663
.LBB71_655:
	s_or_b64 s[4:5], s[6:7], exec
	s_trap 2
	s_cbranch_execz .LBB71_604
	s_branch .LBB71_605
.LBB71_656:
	s_mov_b64 s[10:11], 0
.LBB71_657:
	s_and_b64 vcc, exec, s[16:17]
	s_cbranch_vccz .LBB71_662
; %bb.658:
	v_cmp_eq_u16_e64 s[16:17], s18, 44
	s_mov_b64 s[10:11], -1
	s_and_b64 vcc, exec, s[16:17]
	s_cbranch_vccz .LBB71_662
; %bb.659:
	s_bfe_u32 s10, s2, 0x80017
	s_cmpk_eq_i32 s10, 0xff
	v_mov_b32_e32 v1, 0xff
	s_cbranch_scc1 .LBB71_661
; %bb.660:
	s_lshr_b32 s16, s2, 23
	s_bitcmp1_b32 s2, 22
	s_cselect_b64 s[14:15], -1, 0
	s_and_b32 s11, s2, 0x3fffff
	s_or_b32 s10, s10, s11
	s_cmp_lg_u32 s10, 0
	s_cselect_b64 s[10:11], -1, 0
	s_and_b64 s[10:11], s[14:15], s[10:11]
	v_cndmask_b32_e64 v1, 0, 1, s[10:11]
	v_add_u32_e32 v1, s16, v1
.LBB71_661:
	s_mov_b64 s[10:11], 0
	s_mov_b64 s[14:15], -1
	global_store_byte v[4:5], v1, off
.LBB71_662:
	s_mov_b64 s[16:17], 0
.LBB71_663:
	s_and_b64 vcc, exec, s[16:17]
	s_cbranch_vccz .LBB71_666
; %bb.664:
	v_cmp_eq_u16_e64 s[16:17], s18, 29
	s_mov_b64 s[10:11], -1
	s_and_b64 vcc, exec, s[16:17]
	s_cbranch_vccz .LBB71_666
; %bb.665:
	v_trunc_f32_e32 v1, s2
	v_mul_f32_e32 v3, 0x2f800000, v1
	v_floor_f32_e32 v3, v3
	v_fmac_f32_e32 v1, 0xcf800000, v3
	v_cvt_u32_f32_e32 v7, v3
	v_cvt_u32_f32_e32 v6, v1
	s_mov_b64 s[10:11], 0
	s_mov_b64 s[14:15], -1
	s_mov_b64 s[16:17], 0
	global_store_dwordx2 v[4:5], v[6:7], off
	s_branch .LBB71_667
.LBB71_666:
	s_mov_b64 s[16:17], 0
.LBB71_667:
	s_and_b64 vcc, exec, s[16:17]
	s_cbranch_vccz .LBB71_685
; %bb.668:
	v_cmp_lt_i16_e64 s[16:17], s18, 27
	s_mov_b64 s[14:15], -1
	s_and_b64 vcc, exec, s[16:17]
	s_cbranch_vccnz .LBB71_674
; %bb.669:
	v_cmp_gt_i16_e64 s[16:17], s18, 27
	s_and_b64 vcc, exec, s[16:17]
	s_cbranch_vccz .LBB71_671
; %bb.670:
	v_cvt_u32_f32_e32 v1, s2
	s_mov_b64 s[14:15], 0
	global_store_dword v[4:5], v1, off
.LBB71_671:
	s_andn2_b64 vcc, exec, s[14:15]
	s_cbranch_vccnz .LBB71_673
; %bb.672:
	v_cvt_u32_f32_e32 v1, s2
	global_store_short v[4:5], v1, off
.LBB71_673:
	s_mov_b64 s[14:15], 0
.LBB71_674:
	s_andn2_b64 vcc, exec, s[14:15]
	s_cbranch_vccnz .LBB71_684
; %bb.675:
	s_and_b32 s14, s2, 0x7fffffff
	s_cmp_gt_u32 s14, 0x437fffff
	v_mov_b32_e32 v3, 0x80
	s_cbranch_scc1 .LBB71_683
; %bb.676:
	s_cmp_gt_u32 s14, 0x3bffffff
	s_cbranch_scc0 .LBB71_678
; %bb.677:
	s_bfe_u32 s14, s2, 0x10014
	s_add_i32 s14, s2, s14
	s_add_i32 s14, s14, 0x487ffff
	s_lshr_b32 s19, s14, 20
	s_mov_b64 s[16:17], 0
	s_mov_b64 s[14:15], -1
	s_branch .LBB71_679
.LBB71_678:
	s_mov_b64 s[16:17], -1
	s_mov_b64 s[14:15], 0
                                        ; implicit-def: $sgpr19
.LBB71_679:
	s_andn2_b64 vcc, exec, s[16:17]
	v_mov_b32_e32 v1, s19
                                        ; implicit-def: $sgpr16
	s_cbranch_vccnz .LBB71_681
; %bb.680:
	v_mov_b32_e32 v1, 0x46000000
	v_add_f32_e64 v1, |s2|, v1
	v_and_b32_e32 v1, 0xff, v1
	s_mov_b32 s16, 0
	v_cmp_ne_u32_e64 s[14:15], 0, v1
.LBB71_681:
	s_andn2_b64 vcc, exec, s[14:15]
	v_mov_b32_e32 v3, s16
	s_cbranch_vccnz .LBB71_683
; %bb.682:
	s_lshr_b32 s14, s2, 24
	s_and_b32 s14, s14, 0x80
	v_or_b32_e32 v3, s14, v1
.LBB71_683:
	global_store_byte v[4:5], v3, off
.LBB71_684:
	s_mov_b64 s[14:15], -1
.LBB71_685:
	s_mov_b64 s[16:17], 0
.LBB71_686:
	s_and_b64 vcc, exec, s[16:17]
	s_cbranch_vccz .LBB71_732
; %bb.687:
	v_cmp_gt_i16_e64 s[16:17], s18, 22
	s_mov_b64 s[12:13], -1
	s_and_b64 vcc, exec, s[16:17]
	s_cbranch_vccz .LBB71_725
; %bb.688:
	v_cmp_lt_i16_e64 s[14:15], s18, 24
	s_and_b64 vcc, exec, s[14:15]
	s_cbranch_vccnz .LBB71_712
; %bb.689:
	v_cmp_gt_i16_e64 s[14:15], s18, 24
	s_and_b64 vcc, exec, s[14:15]
	s_cbranch_vccz .LBB71_699
; %bb.690:
	s_and_b32 s12, s2, 0x7fffffff
	s_cmp_gt_u32 s12, 0x477fffff
	v_mov_b32_e32 v3, 0x80
	s_cbranch_scc1 .LBB71_698
; %bb.691:
	s_cmp_gt_u32 s12, 0x37ffffff
	s_cbranch_scc0 .LBB71_693
; %bb.692:
	s_bfe_u32 s12, s2, 0x10015
	s_add_i32 s12, s2, s12
	s_add_i32 s12, s12, 0x88fffff
	s_lshr_b32 s16, s12, 21
	s_mov_b64 s[14:15], 0
	s_mov_b64 s[12:13], -1
	s_branch .LBB71_694
.LBB71_693:
	s_mov_b64 s[14:15], -1
	s_mov_b64 s[12:13], 0
                                        ; implicit-def: $sgpr16
.LBB71_694:
	s_andn2_b64 vcc, exec, s[14:15]
	v_mov_b32_e32 v1, s16
                                        ; implicit-def: $sgpr14
	s_cbranch_vccnz .LBB71_696
; %bb.695:
	v_mov_b32_e32 v1, 0x42800000
	v_add_f32_e64 v1, |s2|, v1
	v_and_b32_e32 v1, 0xff, v1
	s_mov_b32 s14, 0
	v_cmp_ne_u32_e64 s[12:13], 0, v1
.LBB71_696:
	s_andn2_b64 vcc, exec, s[12:13]
	v_mov_b32_e32 v3, s14
	s_cbranch_vccnz .LBB71_698
; %bb.697:
	s_lshr_b32 s12, s2, 24
	s_and_b32 s12, s12, 0x80
	v_or_b32_e32 v3, s12, v1
.LBB71_698:
	s_mov_b64 s[12:13], 0
	global_store_byte v[4:5], v3, off
.LBB71_699:
	s_and_b64 vcc, exec, s[12:13]
	s_cbranch_vccz .LBB71_711
; %bb.700:
	s_and_b32 s14, s2, 0x7fffffff
	s_cmp_lt_u32 s14, 0x43f00000
	s_cbranch_scc0 .LBB71_703
; %bb.701:
	s_cmp_gt_u32 s14, 0x3c7fffff
	s_cbranch_scc0 .LBB71_704
; %bb.702:
	s_bfe_u32 s12, s2, 0x10014
	s_add_i32 s12, s2, s12
	s_add_i32 s12, s12, 0x407ffff
	s_lshr_b32 s13, s12, 20
	s_and_b32 s12, s12, 0xff00000
	s_cmp_lg_u32 s12, 0x7f00000
	s_cselect_b32 s15, s13, 0x7e
	s_mov_b64 s[12:13], 0
	s_branch .LBB71_705
.LBB71_703:
	s_mov_b64 s[12:13], -1
                                        ; implicit-def: $vgpr1
	s_branch .LBB71_708
.LBB71_704:
	s_mov_b64 s[12:13], -1
                                        ; implicit-def: $sgpr15
.LBB71_705:
	s_andn2_b64 vcc, exec, s[12:13]
	v_mov_b32_e32 v1, s15
	s_cbranch_vccnz .LBB71_707
; %bb.706:
	v_mov_b32_e32 v1, 0x46800000
	v_add_f32_e64 v1, |s2|, v1
.LBB71_707:
	s_mov_b64 s[12:13], 0
.LBB71_708:
	s_andn2_b64 vcc, exec, s[12:13]
	s_cbranch_vccnz .LBB71_710
; %bb.709:
	s_cmp_gt_u32 s14, 0x7f800000
	s_movk_i32 s12, 0x7f
	s_cselect_b32 s12, s12, 0x7e
	v_mov_b32_e32 v1, s12
.LBB71_710:
	s_lshr_b32 s12, s2, 24
	s_and_b32 s12, s12, 0x80
	v_or_b32_e32 v1, s12, v1
	global_store_byte v[4:5], v1, off
.LBB71_711:
	s_mov_b64 s[12:13], 0
.LBB71_712:
	s_andn2_b64 vcc, exec, s[12:13]
	s_cbranch_vccnz .LBB71_724
; %bb.713:
	s_and_b32 s14, s2, 0x7fffffff
	s_cmp_lt_u32 s14, 0x47800000
	s_cbranch_scc0 .LBB71_716
; %bb.714:
	s_cmp_gt_u32 s14, 0x387fffff
	s_cbranch_scc0 .LBB71_717
; %bb.715:
	s_bfe_u32 s12, s2, 0x10015
	s_add_i32 s12, s2, s12
	s_add_i32 s12, s12, 0x80fffff
	s_lshr_b32 s15, s12, 21
	s_mov_b64 s[12:13], 0
	s_branch .LBB71_718
.LBB71_716:
	s_mov_b64 s[12:13], -1
                                        ; implicit-def: $vgpr1
	s_branch .LBB71_721
.LBB71_717:
	s_mov_b64 s[12:13], -1
                                        ; implicit-def: $sgpr15
.LBB71_718:
	s_andn2_b64 vcc, exec, s[12:13]
	v_mov_b32_e32 v1, s15
	s_cbranch_vccnz .LBB71_720
; %bb.719:
	v_mov_b32_e32 v1, 0x43000000
	v_add_f32_e64 v1, |s2|, v1
.LBB71_720:
	s_mov_b64 s[12:13], 0
.LBB71_721:
	s_andn2_b64 vcc, exec, s[12:13]
	s_cbranch_vccnz .LBB71_723
; %bb.722:
	s_cmp_gt_u32 s14, 0x7f800000
	s_movk_i32 s12, 0x7f
	s_cselect_b32 s12, s12, 0x7c
	v_mov_b32_e32 v1, s12
.LBB71_723:
	s_lshr_b32 s12, s2, 24
	s_and_b32 s12, s12, 0x80
	v_or_b32_e32 v1, s12, v1
	global_store_byte v[4:5], v1, off
.LBB71_724:
	s_mov_b64 s[12:13], 0
	s_mov_b64 s[14:15], -1
.LBB71_725:
	s_andn2_b64 vcc, exec, s[12:13]
	s_mov_b64 s[12:13], 0
	s_cbranch_vccnz .LBB71_732
; %bb.726:
	v_cmp_gt_i16_e64 s[12:13], s18, 14
	s_mov_b64 s[16:17], -1
	s_and_b64 vcc, exec, s[12:13]
	s_cbranch_vccz .LBB71_730
; %bb.727:
	v_cmp_eq_u16_e64 s[12:13], s18, 15
	s_mov_b64 s[10:11], -1
	s_and_b64 vcc, exec, s[12:13]
	s_cbranch_vccz .LBB71_729
; %bb.728:
	s_bfe_u32 s10, s2, 0x10010
	s_add_i32 s10, s2, s10
	s_addk_i32 s10, 0x7fff
	s_lshr_b32 s12, s10, 16
	v_cmp_o_f32_e64 s[10:11], s2, s2
	s_and_b64 s[10:11], s[10:11], exec
	s_cselect_b32 s10, s12, 0x7fc0
	v_mov_b32_e32 v1, s10
	global_store_short v[4:5], v1, off
	s_mov_b64 s[10:11], 0
	s_mov_b64 s[14:15], -1
.LBB71_729:
	s_mov_b64 s[16:17], 0
.LBB71_730:
	s_mov_b64 s[12:13], 0
	s_and_b64 vcc, exec, s[16:17]
	s_cbranch_vccz .LBB71_732
; %bb.731:
	v_cmp_ne_u16_e64 s[10:11], s18, 11
	s_mov_b64 s[12:13], -1
.LBB71_732:
	s_and_b64 vcc, exec, s[10:11]
	s_cbranch_vccnz .LBB71_795
; %bb.733:
	s_andn2_b64 vcc, exec, s[12:13]
	s_cbranch_vccnz .LBB71_735
.LBB71_734:
	s_or_b32 s10, s2, s3
	s_bitset0_b32 s10, 31
	s_cmp_lg_u32 s10, 0
	s_cselect_b64 s[10:11], -1, 0
	v_cndmask_b32_e64 v1, 0, 1, s[10:11]
	s_mov_b64 s[14:15], -1
	global_store_byte v[4:5], v1, off
.LBB71_735:
	s_branch .LBB71_652
.LBB71_736:
	v_cmp_lt_i16_e64 s[12:13], s18, 5
	s_mov_b64 s[10:11], -1
	s_and_b64 vcc, exec, s[12:13]
	s_cbranch_vccnz .LBB71_757
; %bb.737:
	v_cmp_lt_i16_e64 s[12:13], s18, 8
	s_and_b64 vcc, exec, s[12:13]
	s_cbranch_vccnz .LBB71_747
; %bb.738:
	v_cmp_lt_i16_e64 s[12:13], s18, 9
	s_and_b64 vcc, exec, s[12:13]
	s_cbranch_vccnz .LBB71_744
; %bb.739:
	v_cmp_gt_i16_e64 s[12:13], s18, 9
	s_and_b64 vcc, exec, s[12:13]
	s_cbranch_vccz .LBB71_741
; %bb.740:
	v_cvt_f64_f32_e32 v[6:7], s2
	v_cvt_f64_f32_e32 v[8:9], s3
	global_store_dwordx4 v[4:5], v[6:9], off
	s_mov_b64 s[10:11], 0
.LBB71_741:
	s_andn2_b64 vcc, exec, s[10:11]
	s_cbranch_vccnz .LBB71_743
; %bb.742:
	v_pk_mov_b32 v[6:7], s[2:3], s[2:3] op_sel:[0,1]
	global_store_dwordx2 v[4:5], v[6:7], off
.LBB71_743:
	s_mov_b64 s[10:11], 0
.LBB71_744:
	s_andn2_b64 vcc, exec, s[10:11]
	s_cbranch_vccnz .LBB71_746
; %bb.745:
	v_cvt_f16_f32_e32 v1, s2
	v_cvt_f16_f32_sdwa v3, s3 dst_sel:WORD_1 dst_unused:UNUSED_PAD src0_sel:DWORD
	v_or_b32_e32 v1, v3, v1
	global_store_dword v[4:5], v1, off
.LBB71_746:
	s_mov_b64 s[10:11], 0
.LBB71_747:
	s_andn2_b64 vcc, exec, s[10:11]
	s_cbranch_vccnz .LBB71_756
; %bb.748:
	v_cmp_lt_i16_e64 s[12:13], s18, 6
	s_mov_b64 s[10:11], -1
	s_and_b64 vcc, exec, s[12:13]
	s_cbranch_vccnz .LBB71_754
; %bb.749:
	v_cmp_gt_i16_e64 s[12:13], s18, 6
	s_and_b64 vcc, exec, s[12:13]
	s_cbranch_vccz .LBB71_751
; %bb.750:
	v_cvt_f64_f32_e32 v[6:7], s2
	global_store_dwordx2 v[4:5], v[6:7], off
	s_mov_b64 s[10:11], 0
.LBB71_751:
	s_andn2_b64 vcc, exec, s[10:11]
	s_cbranch_vccnz .LBB71_753
; %bb.752:
	v_mov_b32_e32 v1, s2
	global_store_dword v[4:5], v1, off
.LBB71_753:
	s_mov_b64 s[10:11], 0
.LBB71_754:
	s_andn2_b64 vcc, exec, s[10:11]
	s_cbranch_vccnz .LBB71_756
; %bb.755:
	v_cvt_f16_f32_e32 v1, s2
	global_store_short v[4:5], v1, off
.LBB71_756:
	s_mov_b64 s[10:11], 0
.LBB71_757:
	s_andn2_b64 vcc, exec, s[10:11]
	s_cbranch_vccnz .LBB71_773
; %bb.758:
	v_cmp_lt_i16_e64 s[12:13], s18, 2
	s_mov_b64 s[10:11], -1
	s_and_b64 vcc, exec, s[12:13]
	s_cbranch_vccnz .LBB71_768
; %bb.759:
	v_cmp_lt_i16_e64 s[12:13], s18, 3
	s_and_b64 vcc, exec, s[12:13]
	s_cbranch_vccnz .LBB71_765
; %bb.760:
	v_cmp_gt_i16_e64 s[12:13], s18, 3
	s_and_b64 vcc, exec, s[12:13]
	s_cbranch_vccz .LBB71_762
; %bb.761:
	v_trunc_f32_e32 v1, s2
	s_mov_b32 s10, 0x2f800000
	v_mul_f32_e64 v3, |v1|, s10
	v_floor_f32_e32 v3, v3
	s_mov_b32 s10, 0xcf800000
	v_fma_f32 v6, v3, s10, |v1|
	v_cvt_u32_f32_e32 v6, v6
	v_cvt_u32_f32_e32 v3, v3
	v_ashrrev_i32_e32 v1, 31, v1
	s_mov_b64 s[10:11], 0
	v_xor_b32_e32 v6, v6, v1
	v_xor_b32_e32 v3, v3, v1
	v_sub_co_u32_e32 v6, vcc, v6, v1
	v_subb_co_u32_e32 v7, vcc, v3, v1, vcc
	global_store_dwordx2 v[4:5], v[6:7], off
.LBB71_762:
	s_andn2_b64 vcc, exec, s[10:11]
	s_cbranch_vccnz .LBB71_764
; %bb.763:
	v_cvt_i32_f32_e32 v1, s2
	global_store_dword v[4:5], v1, off
.LBB71_764:
	s_mov_b64 s[10:11], 0
.LBB71_765:
	s_andn2_b64 vcc, exec, s[10:11]
	s_cbranch_vccnz .LBB71_767
; %bb.766:
	v_cvt_i32_f32_e32 v1, s2
	global_store_short v[4:5], v1, off
.LBB71_767:
	s_mov_b64 s[10:11], 0
.LBB71_768:
	s_andn2_b64 vcc, exec, s[10:11]
	s_cbranch_vccnz .LBB71_773
; %bb.769:
	v_cmp_gt_i16_e64 s[12:13], s18, 0
	s_mov_b64 s[10:11], -1
	s_and_b64 vcc, exec, s[12:13]
	s_cbranch_vccz .LBB71_771
; %bb.770:
	v_cvt_i32_f32_e32 v1, s2
	s_mov_b64 s[10:11], 0
	global_store_byte v[4:5], v1, off
.LBB71_771:
	s_andn2_b64 vcc, exec, s[10:11]
	s_cbranch_vccnz .LBB71_773
; %bb.772:
	v_trunc_f32_e32 v1, s2
	s_mov_b32 s10, 0x2f800000
	v_mul_f32_e64 v3, |v1|, s10
	v_floor_f32_e32 v3, v3
	s_mov_b32 s10, 0xcf800000
	v_fma_f32 v3, v3, s10, |v1|
	v_cvt_u32_f32_e32 v3, v3
	v_ashrrev_i32_e32 v1, 31, v1
	v_xor_b32_e32 v3, v3, v1
	v_sub_u32_e32 v1, v3, v1
	global_store_byte v[4:5], v1, off
.LBB71_773:
.LBB71_774:
	v_mov_b32_e32 v1, s1
	v_add_co_u32_e32 v2, vcc, s0, v2
	v_addc_co_u32_e32 v3, vcc, 0, v1, vcc
	s_and_b64 vcc, exec, s[8:9]
	s_cbranch_vccnz .LBB71_781
; %bb.775:
	v_cmp_gt_i16_e64 s[10:11], s18, 25
	s_mov_b64 s[16:17], -1
	s_mov_b64 s[12:13], 0
	s_and_b64 vcc, exec, s[10:11]
	s_mov_b64 s[14:15], 0
	s_mov_b64 s[10:11], 0
	s_cbranch_vccz .LBB71_849
; %bb.776:
	v_cmp_gt_i16_e64 s[10:11], s18, 28
	s_and_b64 vcc, exec, s[10:11]
	s_cbranch_vccz .LBB71_792
; %bb.777:
	v_cmp_gt_i16_e64 s[10:11], s18, 43
	s_and_b64 vcc, exec, s[10:11]
	;; [unrolled: 4-line block ×3, first 2 shown]
	s_cbranch_vccz .LBB71_796
; %bb.779:
	v_cmp_eq_u16_e64 s[14:15], s18, 46
	s_mov_b64 s[10:11], -1
	s_mov_b64 s[16:17], 0
	s_and_b64 vcc, exec, s[14:15]
	s_mov_b64 s[14:15], 0
	s_cbranch_vccz .LBB71_797
; %bb.780:
	s_bfe_u32 s10, s2, 0x10010
	s_add_i32 s10, s2, s10
	s_addk_i32 s10, 0x7fff
	s_lshr_b32 s14, s10, 16
	s_bfe_u32 s10, s3, 0x10010
	s_add_i32 s10, s3, s10
	s_addk_i32 s10, 0x7fff
	s_and_b32 s15, s10, 0xffff0000
	v_cmp_o_f32_e64 s[10:11], s3, s3
	s_and_b64 s[10:11], s[10:11], exec
	v_cmp_o_f32_e64 s[10:11], s2, s2
	s_cselect_b32 s15, s15, 0x7fc00000
	s_and_b64 s[10:11], s[10:11], exec
	s_cselect_b32 s10, s14, 0x7fc0
	s_or_b32 s10, s15, s10
	v_mov_b32_e32 v1, s10
	global_store_dword v[2:3], v1, off
	s_mov_b64 s[10:11], 0
	s_mov_b64 s[14:15], -1
	s_branch .LBB71_797
.LBB71_781:
	s_mov_b64 s[14:15], 0
	s_cbranch_execnz .LBB71_913
.LBB71_782:
	s_andn2_b64 vcc, exec, s[14:15]
	s_cbranch_vccnz .LBB71_951
.LBB71_783:
	v_mov_b32_e32 v1, s1
	v_add_co_u32_e32 v0, vcc, s0, v0
	v_addc_co_u32_e32 v1, vcc, 0, v1, vcc
	s_and_b64 vcc, exec, s[8:9]
	s_cbranch_vccnz .LBB71_791
; %bb.784:
	v_cmp_gt_i16_e64 s[0:1], s18, 25
	s_mov_b64 s[10:11], -1
	s_mov_b64 s[8:9], 0
	s_and_b64 vcc, exec, s[0:1]
	s_mov_b64 s[0:1], 0
	s_cbranch_vccz .LBB71_863
; %bb.785:
	v_cmp_gt_i16_e64 s[0:1], s18, 28
	s_and_b64 vcc, exec, s[0:1]
	s_cbranch_vccz .LBB71_794
; %bb.786:
	v_cmp_gt_i16_e64 s[0:1], s18, 43
	s_and_b64 vcc, exec, s[0:1]
	;; [unrolled: 4-line block ×3, first 2 shown]
	s_cbranch_vccz .LBB71_819
; %bb.788:
	v_cmp_eq_u16_e64 s[10:11], s18, 46
	s_mov_b64 s[0:1], -1
	s_and_b64 vcc, exec, s[10:11]
	s_cbranch_vccz .LBB71_790
; %bb.789:
	s_bfe_u32 s0, s3, 0x10010
	s_bfe_u32 s1, s2, 0x10010
	s_add_i32 s0, s3, s0
	s_add_i32 s1, s2, s1
	s_addk_i32 s1, 0x7fff
	s_addk_i32 s0, 0x7fff
	s_and_b32 s10, s0, 0xffff0000
	s_lshr_b32 s11, s1, 16
	v_cmp_o_f32_e64 s[0:1], s2, s2
	s_and_b64 s[0:1], s[0:1], exec
	v_cmp_o_f32_e64 s[0:1], s3, s3
	s_cselect_b32 s11, s11, 0x7fc0
	s_and_b64 s[0:1], s[0:1], exec
	s_cselect_b32 s0, s10, 0x7fc00000
	s_or_b32 s0, s0, s11
	v_mov_b32_e32 v2, s0
	global_store_dword v[0:1], v2, off
	s_mov_b64 s[0:1], 0
.LBB71_790:
	s_mov_b64 s[10:11], 0
	s_branch .LBB71_820
.LBB71_791:
	s_mov_b64 s[8:9], 0
	s_mov_b64 s[0:1], -1
	s_branch .LBB71_952
.LBB71_792:
	s_mov_b64 s[10:11], 0
	s_branch .LBB71_807
.LBB71_793:
	s_mov_b64 s[10:11], 0
	s_branch .LBB71_803
.LBB71_794:
	s_mov_b64 s[0:1], 0
	s_branch .LBB71_830
.LBB71_795:
	s_trap 2
	s_or_b64 s[4:5], s[4:5], exec
	s_cbranch_execz .LBB71_734
	s_branch .LBB71_735
.LBB71_796:
	s_mov_b64 s[10:11], 0
.LBB71_797:
	s_and_b64 vcc, exec, s[16:17]
	s_cbranch_vccz .LBB71_802
; %bb.798:
	v_cmp_eq_u16_e64 s[16:17], s18, 44
	s_mov_b64 s[10:11], -1
	s_and_b64 vcc, exec, s[16:17]
	s_cbranch_vccz .LBB71_802
; %bb.799:
	s_bfe_u32 s10, s2, 0x80017
	s_cmpk_eq_i32 s10, 0xff
	v_mov_b32_e32 v1, 0xff
	s_cbranch_scc1 .LBB71_801
; %bb.800:
	s_lshr_b32 s16, s2, 23
	s_bitcmp1_b32 s2, 22
	s_cselect_b64 s[14:15], -1, 0
	s_and_b32 s11, s2, 0x3fffff
	s_or_b32 s10, s10, s11
	s_cmp_lg_u32 s10, 0
	s_cselect_b64 s[10:11], -1, 0
	s_and_b64 s[10:11], s[14:15], s[10:11]
	v_cndmask_b32_e64 v1, 0, 1, s[10:11]
	v_add_u32_e32 v1, s16, v1
.LBB71_801:
	s_mov_b64 s[10:11], 0
	s_mov_b64 s[14:15], -1
	global_store_byte v[2:3], v1, off
.LBB71_802:
	s_mov_b64 s[16:17], 0
.LBB71_803:
	s_and_b64 vcc, exec, s[16:17]
	s_cbranch_vccz .LBB71_806
; %bb.804:
	v_cmp_eq_u16_e64 s[16:17], s18, 29
	s_mov_b64 s[10:11], -1
	s_and_b64 vcc, exec, s[16:17]
	s_cbranch_vccz .LBB71_806
; %bb.805:
	v_trunc_f32_e32 v1, s2
	v_mul_f32_e32 v4, 0x2f800000, v1
	v_floor_f32_e32 v4, v4
	v_fmac_f32_e32 v1, 0xcf800000, v4
	v_cvt_u32_f32_e32 v5, v4
	v_cvt_u32_f32_e32 v4, v1
	s_mov_b64 s[10:11], 0
	s_mov_b64 s[14:15], -1
	s_mov_b64 s[16:17], 0
	global_store_dwordx2 v[2:3], v[4:5], off
	s_branch .LBB71_807
.LBB71_806:
	s_mov_b64 s[16:17], 0
.LBB71_807:
	s_and_b64 vcc, exec, s[16:17]
	s_cbranch_vccz .LBB71_848
; %bb.808:
	v_cmp_lt_i16_e64 s[16:17], s18, 27
	s_mov_b64 s[14:15], -1
	s_and_b64 vcc, exec, s[16:17]
	s_cbranch_vccnz .LBB71_814
; %bb.809:
	v_cmp_gt_i16_e64 s[16:17], s18, 27
	s_and_b64 vcc, exec, s[16:17]
	s_cbranch_vccz .LBB71_811
; %bb.810:
	v_cvt_u32_f32_e32 v1, s2
	s_mov_b64 s[14:15], 0
	global_store_dword v[2:3], v1, off
.LBB71_811:
	s_andn2_b64 vcc, exec, s[14:15]
	s_cbranch_vccnz .LBB71_813
; %bb.812:
	v_cvt_u32_f32_e32 v1, s2
	global_store_short v[2:3], v1, off
.LBB71_813:
	s_mov_b64 s[14:15], 0
.LBB71_814:
	s_andn2_b64 vcc, exec, s[14:15]
	s_cbranch_vccnz .LBB71_847
; %bb.815:
	s_and_b32 s14, s2, 0x7fffffff
	s_cmp_gt_u32 s14, 0x437fffff
	v_mov_b32_e32 v4, 0x80
	s_cbranch_scc1 .LBB71_846
; %bb.816:
	s_cmp_gt_u32 s14, 0x3bffffff
	s_cbranch_scc0 .LBB71_841
; %bb.817:
	s_bfe_u32 s14, s2, 0x10014
	s_add_i32 s14, s2, s14
	s_add_i32 s14, s14, 0x487ffff
	s_lshr_b32 s19, s14, 20
	s_mov_b64 s[16:17], 0
	s_mov_b64 s[14:15], -1
	s_branch .LBB71_842
.LBB71_818:
	s_mov_b64 s[0:1], 0
	s_branch .LBB71_826
.LBB71_819:
	s_mov_b64 s[0:1], 0
.LBB71_820:
	s_and_b64 vcc, exec, s[10:11]
	s_cbranch_vccz .LBB71_825
; %bb.821:
	v_cmp_eq_u16_e64 s[10:11], s18, 44
	s_mov_b64 s[0:1], -1
	s_and_b64 vcc, exec, s[10:11]
	s_cbranch_vccz .LBB71_825
; %bb.822:
	s_bfe_u32 s0, s2, 0x80017
	s_cmpk_eq_i32 s0, 0xff
	v_mov_b32_e32 v2, 0xff
	s_cbranch_scc1 .LBB71_824
; %bb.823:
	s_lshr_b32 s12, s2, 23
	s_bitcmp1_b32 s2, 22
	s_cselect_b64 s[10:11], -1, 0
	s_and_b32 s1, s2, 0x3fffff
	s_or_b32 s0, s0, s1
	s_cmp_lg_u32 s0, 0
	s_cselect_b64 s[0:1], -1, 0
	s_and_b64 s[0:1], s[10:11], s[0:1]
	v_cndmask_b32_e64 v2, 0, 1, s[0:1]
	v_add_u32_e32 v2, s12, v2
.LBB71_824:
	s_mov_b64 s[0:1], 0
	global_store_byte v[0:1], v2, off
.LBB71_825:
	s_mov_b64 s[10:11], 0
.LBB71_826:
	s_and_b64 vcc, exec, s[10:11]
	s_cbranch_vccz .LBB71_829
; %bb.827:
	v_cmp_eq_u16_e64 s[10:11], s18, 29
	s_mov_b64 s[0:1], -1
	s_and_b64 vcc, exec, s[10:11]
	s_cbranch_vccz .LBB71_829
; %bb.828:
	v_trunc_f32_e32 v2, s2
	v_mul_f32_e32 v3, 0x2f800000, v2
	v_floor_f32_e32 v4, v3
	v_fmac_f32_e32 v2, 0xcf800000, v4
	v_cvt_u32_f32_e32 v3, v4
	v_cvt_u32_f32_e32 v2, v2
	s_mov_b64 s[0:1], 0
	global_store_dwordx2 v[0:1], v[2:3], off
.LBB71_829:
	s_mov_b64 s[10:11], 0
.LBB71_830:
	s_and_b64 vcc, exec, s[10:11]
	s_cbranch_vccz .LBB71_862
; %bb.831:
	v_cmp_lt_i16_e64 s[12:13], s18, 27
	s_mov_b64 s[10:11], -1
	s_and_b64 vcc, exec, s[12:13]
	s_cbranch_vccnz .LBB71_837
; %bb.832:
	v_cvt_u32_f32_e32 v2, s2
	v_cmp_gt_i16_e64 s[12:13], s18, 27
	s_and_b64 vcc, exec, s[12:13]
	s_cbranch_vccz .LBB71_834
; %bb.833:
	global_store_dword v[0:1], v2, off
	s_mov_b64 s[10:11], 0
.LBB71_834:
	s_andn2_b64 vcc, exec, s[10:11]
	s_cbranch_vccnz .LBB71_836
; %bb.835:
	global_store_short v[0:1], v2, off
.LBB71_836:
	s_mov_b64 s[10:11], 0
.LBB71_837:
	s_andn2_b64 vcc, exec, s[10:11]
	s_cbranch_vccnz .LBB71_862
; %bb.838:
	s_and_b32 s10, s2, 0x7fffffff
	s_cmp_gt_u32 s10, 0x437fffff
	v_mov_b32_e32 v3, 0x80
	s_cbranch_scc1 .LBB71_861
; %bb.839:
	s_cmp_gt_u32 s10, 0x3bffffff
	s_cbranch_scc0 .LBB71_856
; %bb.840:
	s_bfe_u32 s10, s2, 0x10014
	s_add_i32 s10, s2, s10
	s_add_i32 s10, s10, 0x487ffff
	s_lshr_b32 s14, s10, 20
	s_mov_b64 s[12:13], 0
	s_mov_b64 s[10:11], -1
	s_branch .LBB71_857
.LBB71_841:
	s_mov_b64 s[16:17], -1
	s_mov_b64 s[14:15], 0
                                        ; implicit-def: $sgpr19
.LBB71_842:
	s_andn2_b64 vcc, exec, s[16:17]
	v_mov_b32_e32 v1, s19
                                        ; implicit-def: $sgpr16
	s_cbranch_vccnz .LBB71_844
; %bb.843:
	v_mov_b32_e32 v1, 0x46000000
	v_add_f32_e64 v1, |s2|, v1
	v_and_b32_e32 v1, 0xff, v1
	s_mov_b32 s16, 0
	v_cmp_ne_u32_e64 s[14:15], 0, v1
.LBB71_844:
	s_andn2_b64 vcc, exec, s[14:15]
	v_mov_b32_e32 v4, s16
	s_cbranch_vccnz .LBB71_846
; %bb.845:
	s_lshr_b32 s14, s2, 24
	s_and_b32 s14, s14, 0x80
	v_or_b32_e32 v4, s14, v1
.LBB71_846:
	global_store_byte v[2:3], v4, off
.LBB71_847:
	s_mov_b64 s[14:15], -1
.LBB71_848:
	s_mov_b64 s[16:17], 0
.LBB71_849:
	s_and_b64 vcc, exec, s[16:17]
	s_cbranch_vccz .LBB71_909
; %bb.850:
	v_cmp_gt_i16_e64 s[16:17], s18, 22
	s_mov_b64 s[12:13], -1
	s_and_b64 vcc, exec, s[16:17]
	s_cbranch_vccz .LBB71_902
; %bb.851:
	v_cmp_lt_i16_e64 s[14:15], s18, 24
	s_and_b64 vcc, exec, s[14:15]
	s_cbranch_vccnz .LBB71_889
; %bb.852:
	v_cmp_gt_i16_e64 s[14:15], s18, 24
	s_and_b64 vcc, exec, s[14:15]
	s_cbranch_vccz .LBB71_876
; %bb.853:
	s_and_b32 s12, s2, 0x7fffffff
	s_cmp_gt_u32 s12, 0x477fffff
	v_mov_b32_e32 v4, 0x80
	s_cbranch_scc1 .LBB71_875
; %bb.854:
	s_cmp_gt_u32 s12, 0x37ffffff
	s_cbranch_scc0 .LBB71_870
; %bb.855:
	s_bfe_u32 s12, s2, 0x10015
	s_add_i32 s12, s2, s12
	s_add_i32 s12, s12, 0x88fffff
	s_lshr_b32 s16, s12, 21
	s_mov_b64 s[14:15], 0
	s_mov_b64 s[12:13], -1
	s_branch .LBB71_871
.LBB71_856:
	s_mov_b64 s[12:13], -1
	s_mov_b64 s[10:11], 0
                                        ; implicit-def: $sgpr14
.LBB71_857:
	s_andn2_b64 vcc, exec, s[12:13]
	v_mov_b32_e32 v2, s14
                                        ; implicit-def: $sgpr12
	s_cbranch_vccnz .LBB71_859
; %bb.858:
	v_mov_b32_e32 v2, 0x46000000
	v_add_f32_e64 v2, |s2|, v2
	v_and_b32_e32 v2, 0xff, v2
	s_mov_b32 s12, 0
	v_cmp_ne_u32_e64 s[10:11], 0, v2
.LBB71_859:
	s_andn2_b64 vcc, exec, s[10:11]
	v_mov_b32_e32 v3, s12
	s_cbranch_vccnz .LBB71_861
; %bb.860:
	s_lshr_b32 s10, s2, 24
	s_and_b32 s10, s10, 0x80
	v_or_b32_e32 v3, s10, v2
.LBB71_861:
	global_store_byte v[0:1], v3, off
.LBB71_862:
	s_mov_b64 s[10:11], 0
.LBB71_863:
	s_and_b64 vcc, exec, s[10:11]
	s_cbranch_vccz .LBB71_1036
; %bb.864:
	v_cmp_gt_i16_e64 s[10:11], s18, 22
	s_mov_b64 s[8:9], -1
	s_and_b64 vcc, exec, s[10:11]
	s_cbranch_vccz .LBB71_1029
; %bb.865:
	v_cmp_lt_i16_e64 s[10:11], s18, 24
	s_and_b64 vcc, exec, s[10:11]
	s_cbranch_vccnz .LBB71_1016
; %bb.866:
	v_cmp_gt_i16_e64 s[10:11], s18, 24
	s_and_b64 vcc, exec, s[10:11]
	s_cbranch_vccz .LBB71_1003
; %bb.867:
	s_and_b32 s8, s2, 0x7fffffff
	s_cmp_gt_u32 s8, 0x477fffff
	v_mov_b32_e32 v3, 0x80
	s_cbranch_scc1 .LBB71_1002
; %bb.868:
	s_cmp_gt_u32 s8, 0x37ffffff
	s_cbranch_scc0 .LBB71_997
; %bb.869:
	s_bfe_u32 s8, s2, 0x10015
	s_add_i32 s8, s2, s8
	s_add_i32 s8, s8, 0x88fffff
	s_lshr_b32 s12, s8, 21
	s_mov_b64 s[10:11], 0
	s_mov_b64 s[8:9], -1
	s_branch .LBB71_998
.LBB71_870:
	s_mov_b64 s[14:15], -1
	s_mov_b64 s[12:13], 0
                                        ; implicit-def: $sgpr16
.LBB71_871:
	s_andn2_b64 vcc, exec, s[14:15]
	v_mov_b32_e32 v1, s16
                                        ; implicit-def: $sgpr14
	s_cbranch_vccnz .LBB71_873
; %bb.872:
	v_mov_b32_e32 v1, 0x42800000
	v_add_f32_e64 v1, |s2|, v1
	v_and_b32_e32 v1, 0xff, v1
	s_mov_b32 s14, 0
	v_cmp_ne_u32_e64 s[12:13], 0, v1
.LBB71_873:
	s_andn2_b64 vcc, exec, s[12:13]
	v_mov_b32_e32 v4, s14
	s_cbranch_vccnz .LBB71_875
; %bb.874:
	s_lshr_b32 s12, s2, 24
	s_and_b32 s12, s12, 0x80
	v_or_b32_e32 v4, s12, v1
.LBB71_875:
	s_mov_b64 s[12:13], 0
	global_store_byte v[2:3], v4, off
.LBB71_876:
	s_and_b64 vcc, exec, s[12:13]
	s_cbranch_vccz .LBB71_888
; %bb.877:
	s_and_b32 s14, s2, 0x7fffffff
	s_cmp_lt_u32 s14, 0x43f00000
	s_cbranch_scc0 .LBB71_880
; %bb.878:
	s_cmp_gt_u32 s14, 0x3c7fffff
	s_cbranch_scc0 .LBB71_881
; %bb.879:
	s_bfe_u32 s12, s2, 0x10014
	s_add_i32 s12, s2, s12
	s_add_i32 s12, s12, 0x407ffff
	s_lshr_b32 s13, s12, 20
	s_and_b32 s12, s12, 0xff00000
	s_cmp_lg_u32 s12, 0x7f00000
	s_cselect_b32 s15, s13, 0x7e
	s_mov_b64 s[12:13], 0
	s_branch .LBB71_882
.LBB71_880:
	s_mov_b64 s[12:13], -1
                                        ; implicit-def: $vgpr1
	s_branch .LBB71_885
.LBB71_881:
	s_mov_b64 s[12:13], -1
                                        ; implicit-def: $sgpr15
.LBB71_882:
	s_andn2_b64 vcc, exec, s[12:13]
	v_mov_b32_e32 v1, s15
	s_cbranch_vccnz .LBB71_884
; %bb.883:
	v_mov_b32_e32 v1, 0x46800000
	v_add_f32_e64 v1, |s2|, v1
.LBB71_884:
	s_mov_b64 s[12:13], 0
.LBB71_885:
	s_andn2_b64 vcc, exec, s[12:13]
	s_cbranch_vccnz .LBB71_887
; %bb.886:
	s_cmp_gt_u32 s14, 0x7f800000
	s_movk_i32 s12, 0x7f
	s_cselect_b32 s12, s12, 0x7e
	v_mov_b32_e32 v1, s12
.LBB71_887:
	s_lshr_b32 s12, s2, 24
	s_and_b32 s12, s12, 0x80
	v_or_b32_e32 v1, s12, v1
	global_store_byte v[2:3], v1, off
.LBB71_888:
	s_mov_b64 s[12:13], 0
.LBB71_889:
	s_andn2_b64 vcc, exec, s[12:13]
	s_cbranch_vccnz .LBB71_901
; %bb.890:
	s_and_b32 s14, s2, 0x7fffffff
	s_cmp_lt_u32 s14, 0x47800000
	s_cbranch_scc0 .LBB71_893
; %bb.891:
	s_cmp_gt_u32 s14, 0x387fffff
	s_cbranch_scc0 .LBB71_894
; %bb.892:
	s_bfe_u32 s12, s2, 0x10015
	s_add_i32 s12, s2, s12
	s_add_i32 s12, s12, 0x80fffff
	s_lshr_b32 s15, s12, 21
	s_mov_b64 s[12:13], 0
	s_branch .LBB71_895
.LBB71_893:
	s_mov_b64 s[12:13], -1
                                        ; implicit-def: $vgpr1
	s_branch .LBB71_898
.LBB71_894:
	s_mov_b64 s[12:13], -1
                                        ; implicit-def: $sgpr15
.LBB71_895:
	s_andn2_b64 vcc, exec, s[12:13]
	v_mov_b32_e32 v1, s15
	s_cbranch_vccnz .LBB71_897
; %bb.896:
	v_mov_b32_e32 v1, 0x43000000
	v_add_f32_e64 v1, |s2|, v1
.LBB71_897:
	s_mov_b64 s[12:13], 0
.LBB71_898:
	s_andn2_b64 vcc, exec, s[12:13]
	s_cbranch_vccnz .LBB71_900
; %bb.899:
	s_cmp_gt_u32 s14, 0x7f800000
	s_movk_i32 s12, 0x7f
	s_cselect_b32 s12, s12, 0x7c
	v_mov_b32_e32 v1, s12
.LBB71_900:
	s_lshr_b32 s12, s2, 24
	s_and_b32 s12, s12, 0x80
	v_or_b32_e32 v1, s12, v1
	global_store_byte v[2:3], v1, off
.LBB71_901:
	s_mov_b64 s[12:13], 0
	s_mov_b64 s[14:15], -1
.LBB71_902:
	s_andn2_b64 vcc, exec, s[12:13]
	s_mov_b64 s[12:13], 0
	s_cbranch_vccnz .LBB71_909
; %bb.903:
	v_cmp_gt_i16_e64 s[12:13], s18, 14
	s_mov_b64 s[16:17], -1
	s_and_b64 vcc, exec, s[12:13]
	s_cbranch_vccz .LBB71_907
; %bb.904:
	v_cmp_eq_u16_e64 s[12:13], s18, 15
	s_mov_b64 s[10:11], -1
	s_and_b64 vcc, exec, s[12:13]
	s_cbranch_vccz .LBB71_906
; %bb.905:
	s_bfe_u32 s10, s2, 0x10010
	s_add_i32 s10, s2, s10
	s_addk_i32 s10, 0x7fff
	s_lshr_b32 s12, s10, 16
	v_cmp_o_f32_e64 s[10:11], s2, s2
	s_and_b64 s[10:11], s[10:11], exec
	s_cselect_b32 s10, s12, 0x7fc0
	v_mov_b32_e32 v1, s10
	global_store_short v[2:3], v1, off
	s_mov_b64 s[10:11], 0
	s_mov_b64 s[14:15], -1
.LBB71_906:
	s_mov_b64 s[16:17], 0
.LBB71_907:
	s_mov_b64 s[12:13], 0
	s_and_b64 vcc, exec, s[16:17]
	s_cbranch_vccz .LBB71_909
; %bb.908:
	v_cmp_ne_u16_e64 s[10:11], s18, 11
	s_mov_b64 s[12:13], -1
.LBB71_909:
	s_and_b64 vcc, exec, s[10:11]
	s_cbranch_vccnz .LBB71_996
; %bb.910:
	s_andn2_b64 vcc, exec, s[12:13]
	s_cbranch_vccnz .LBB71_912
.LBB71_911:
	s_or_b32 s10, s2, s3
	s_bitset0_b32 s10, 31
	s_cmp_lg_u32 s10, 0
	s_cselect_b64 s[10:11], -1, 0
	v_cndmask_b32_e64 v1, 0, 1, s[10:11]
	s_mov_b64 s[14:15], -1
	global_store_byte v[2:3], v1, off
.LBB71_912:
	s_branch .LBB71_782
.LBB71_913:
	v_cmp_lt_i16_e64 s[12:13], s18, 5
	s_mov_b64 s[10:11], -1
	s_and_b64 vcc, exec, s[12:13]
	s_cbranch_vccnz .LBB71_934
; %bb.914:
	v_cmp_lt_i16_e64 s[12:13], s18, 8
	s_and_b64 vcc, exec, s[12:13]
	s_cbranch_vccnz .LBB71_924
; %bb.915:
	v_cmp_lt_i16_e64 s[12:13], s18, 9
	s_and_b64 vcc, exec, s[12:13]
	s_cbranch_vccnz .LBB71_921
; %bb.916:
	v_cmp_gt_i16_e64 s[12:13], s18, 9
	s_and_b64 vcc, exec, s[12:13]
	s_cbranch_vccz .LBB71_918
; %bb.917:
	v_cvt_f64_f32_e32 v[4:5], s2
	v_cvt_f64_f32_e32 v[6:7], s3
	global_store_dwordx4 v[2:3], v[4:7], off
	s_mov_b64 s[10:11], 0
.LBB71_918:
	s_andn2_b64 vcc, exec, s[10:11]
	s_cbranch_vccnz .LBB71_920
; %bb.919:
	v_pk_mov_b32 v[4:5], s[2:3], s[2:3] op_sel:[0,1]
	global_store_dwordx2 v[2:3], v[4:5], off
.LBB71_920:
	s_mov_b64 s[10:11], 0
.LBB71_921:
	s_andn2_b64 vcc, exec, s[10:11]
	s_cbranch_vccnz .LBB71_923
; %bb.922:
	v_cvt_f16_f32_e32 v1, s2
	v_cvt_f16_f32_sdwa v4, s3 dst_sel:WORD_1 dst_unused:UNUSED_PAD src0_sel:DWORD
	v_or_b32_e32 v1, v4, v1
	global_store_dword v[2:3], v1, off
.LBB71_923:
	s_mov_b64 s[10:11], 0
.LBB71_924:
	s_andn2_b64 vcc, exec, s[10:11]
	s_cbranch_vccnz .LBB71_933
; %bb.925:
	v_cmp_lt_i16_e64 s[12:13], s18, 6
	s_mov_b64 s[10:11], -1
	s_and_b64 vcc, exec, s[12:13]
	s_cbranch_vccnz .LBB71_931
; %bb.926:
	v_cmp_gt_i16_e64 s[12:13], s18, 6
	s_and_b64 vcc, exec, s[12:13]
	s_cbranch_vccz .LBB71_928
; %bb.927:
	v_cvt_f64_f32_e32 v[4:5], s2
	global_store_dwordx2 v[2:3], v[4:5], off
	s_mov_b64 s[10:11], 0
.LBB71_928:
	s_andn2_b64 vcc, exec, s[10:11]
	s_cbranch_vccnz .LBB71_930
; %bb.929:
	v_mov_b32_e32 v1, s2
	global_store_dword v[2:3], v1, off
.LBB71_930:
	s_mov_b64 s[10:11], 0
.LBB71_931:
	s_andn2_b64 vcc, exec, s[10:11]
	s_cbranch_vccnz .LBB71_933
; %bb.932:
	v_cvt_f16_f32_e32 v1, s2
	global_store_short v[2:3], v1, off
.LBB71_933:
	s_mov_b64 s[10:11], 0
.LBB71_934:
	s_andn2_b64 vcc, exec, s[10:11]
	s_cbranch_vccnz .LBB71_950
; %bb.935:
	v_cmp_lt_i16_e64 s[12:13], s18, 2
	s_mov_b64 s[10:11], -1
	s_and_b64 vcc, exec, s[12:13]
	s_cbranch_vccnz .LBB71_945
; %bb.936:
	v_cmp_lt_i16_e64 s[12:13], s18, 3
	s_and_b64 vcc, exec, s[12:13]
	s_cbranch_vccnz .LBB71_942
; %bb.937:
	v_cmp_gt_i16_e64 s[12:13], s18, 3
	s_and_b64 vcc, exec, s[12:13]
	s_cbranch_vccz .LBB71_939
; %bb.938:
	v_trunc_f32_e32 v1, s2
	s_mov_b32 s10, 0x2f800000
	v_mul_f32_e64 v4, |v1|, s10
	v_floor_f32_e32 v4, v4
	s_mov_b32 s10, 0xcf800000
	v_fma_f32 v5, v4, s10, |v1|
	v_cvt_u32_f32_e32 v5, v5
	v_cvt_u32_f32_e32 v4, v4
	v_ashrrev_i32_e32 v1, 31, v1
	s_mov_b64 s[10:11], 0
	v_xor_b32_e32 v5, v5, v1
	v_xor_b32_e32 v6, v4, v1
	v_sub_co_u32_e32 v4, vcc, v5, v1
	v_subb_co_u32_e32 v5, vcc, v6, v1, vcc
	global_store_dwordx2 v[2:3], v[4:5], off
.LBB71_939:
	s_andn2_b64 vcc, exec, s[10:11]
	s_cbranch_vccnz .LBB71_941
; %bb.940:
	v_cvt_i32_f32_e32 v1, s2
	global_store_dword v[2:3], v1, off
.LBB71_941:
	s_mov_b64 s[10:11], 0
.LBB71_942:
	s_andn2_b64 vcc, exec, s[10:11]
	s_cbranch_vccnz .LBB71_944
; %bb.943:
	v_cvt_i32_f32_e32 v1, s2
	global_store_short v[2:3], v1, off
.LBB71_944:
	s_mov_b64 s[10:11], 0
.LBB71_945:
	s_andn2_b64 vcc, exec, s[10:11]
	s_cbranch_vccnz .LBB71_950
; %bb.946:
	v_cmp_gt_i16_e64 s[12:13], s18, 0
	s_mov_b64 s[10:11], -1
	s_and_b64 vcc, exec, s[12:13]
	s_cbranch_vccz .LBB71_948
; %bb.947:
	v_cvt_i32_f32_e32 v1, s2
	s_mov_b64 s[10:11], 0
	global_store_byte v[2:3], v1, off
.LBB71_948:
	s_andn2_b64 vcc, exec, s[10:11]
	s_cbranch_vccnz .LBB71_950
; %bb.949:
	v_trunc_f32_e32 v1, s2
	s_mov_b32 s10, 0x2f800000
	v_mul_f32_e64 v4, |v1|, s10
	v_floor_f32_e32 v4, v4
	s_mov_b32 s10, 0xcf800000
	v_fma_f32 v4, v4, s10, |v1|
	v_cvt_u32_f32_e32 v4, v4
	v_ashrrev_i32_e32 v1, 31, v1
	v_xor_b32_e32 v4, v4, v1
	v_sub_u32_e32 v1, v4, v1
	global_store_byte v[2:3], v1, off
.LBB71_950:
	s_branch .LBB71_783
.LBB71_951:
	s_mov_b64 s[0:1], 0
	s_mov_b64 s[8:9], 0
                                        ; implicit-def: $sgpr18
                                        ; implicit-def: $vgpr0_vgpr1
.LBB71_952:
	s_andn2_b64 s[6:7], s[6:7], exec
	s_and_b64 s[4:5], s[4:5], exec
	s_and_b64 s[0:1], s[0:1], exec
	s_and_b64 s[34:35], s[8:9], exec
	s_or_b64 s[6:7], s[6:7], s[4:5]
.LBB71_953:
	s_or_b64 exec, exec, s[24:25]
	s_and_saveexec_b64 s[4:5], s[6:7]
	s_cbranch_execz .LBB71_956
; %bb.954:
	; divergent unreachable
	s_or_b64 exec, exec, s[4:5]
	s_and_saveexec_b64 s[4:5], s[34:35]
	s_xor_b64 s[4:5], exec, s[4:5]
	s_cbranch_execnz .LBB71_957
.LBB71_955:
	s_or_b64 exec, exec, s[4:5]
	s_and_saveexec_b64 s[4:5], s[0:1]
	s_cbranch_execnz .LBB71_958
	s_branch .LBB71_995
.LBB71_956:
	s_or_b64 exec, exec, s[4:5]
	s_and_saveexec_b64 s[4:5], s[34:35]
	s_xor_b64 s[4:5], exec, s[4:5]
	s_cbranch_execz .LBB71_955
.LBB71_957:
	s_or_b32 s6, s2, s3
	s_bitset0_b32 s6, 31
	s_cmp_lg_u32 s6, 0
	s_cselect_b64 s[6:7], -1, 0
	v_cndmask_b32_e64 v2, 0, 1, s[6:7]
	global_store_byte v[0:1], v2, off
	s_or_b64 exec, exec, s[4:5]
	s_and_saveexec_b64 s[4:5], s[0:1]
	s_cbranch_execz .LBB71_995
.LBB71_958:
	v_cmp_lt_i16_e64 s[4:5], s18, 5
	s_mov_b64 s[0:1], -1
	s_and_b64 vcc, exec, s[4:5]
	s_cbranch_vccnz .LBB71_979
; %bb.959:
	v_cmp_lt_i16_e64 s[4:5], s18, 8
	s_and_b64 vcc, exec, s[4:5]
	s_cbranch_vccnz .LBB71_969
; %bb.960:
	v_cmp_lt_i16_e64 s[4:5], s18, 9
	s_and_b64 vcc, exec, s[4:5]
	s_cbranch_vccnz .LBB71_966
; %bb.961:
	v_cmp_gt_i16_e64 s[4:5], s18, 9
	s_and_b64 vcc, exec, s[4:5]
	s_cbranch_vccz .LBB71_963
; %bb.962:
	v_cvt_f64_f32_e32 v[2:3], s2
	v_cvt_f64_f32_e32 v[4:5], s3
	global_store_dwordx4 v[0:1], v[2:5], off
	s_mov_b64 s[0:1], 0
.LBB71_963:
	s_andn2_b64 vcc, exec, s[0:1]
	s_cbranch_vccnz .LBB71_965
; %bb.964:
	v_pk_mov_b32 v[2:3], s[2:3], s[2:3] op_sel:[0,1]
	global_store_dwordx2 v[0:1], v[2:3], off
.LBB71_965:
	s_mov_b64 s[0:1], 0
.LBB71_966:
	s_andn2_b64 vcc, exec, s[0:1]
	s_cbranch_vccnz .LBB71_968
; %bb.967:
	v_cvt_f16_f32_e32 v2, s2
	v_cvt_f16_f32_sdwa v3, s3 dst_sel:WORD_1 dst_unused:UNUSED_PAD src0_sel:DWORD
	v_or_b32_e32 v2, v3, v2
	global_store_dword v[0:1], v2, off
.LBB71_968:
	s_mov_b64 s[0:1], 0
.LBB71_969:
	s_andn2_b64 vcc, exec, s[0:1]
	s_cbranch_vccnz .LBB71_978
; %bb.970:
	v_cmp_lt_i16_e64 s[4:5], s18, 6
	s_mov_b64 s[0:1], -1
	s_and_b64 vcc, exec, s[4:5]
	s_cbranch_vccnz .LBB71_976
; %bb.971:
	v_cmp_gt_i16_e64 s[4:5], s18, 6
	s_and_b64 vcc, exec, s[4:5]
	s_cbranch_vccz .LBB71_973
; %bb.972:
	v_cvt_f64_f32_e32 v[2:3], s2
	global_store_dwordx2 v[0:1], v[2:3], off
	s_mov_b64 s[0:1], 0
.LBB71_973:
	s_andn2_b64 vcc, exec, s[0:1]
	s_cbranch_vccnz .LBB71_975
; %bb.974:
	v_mov_b32_e32 v2, s2
	global_store_dword v[0:1], v2, off
.LBB71_975:
	s_mov_b64 s[0:1], 0
.LBB71_976:
	s_andn2_b64 vcc, exec, s[0:1]
	s_cbranch_vccnz .LBB71_978
; %bb.977:
	v_cvt_f16_f32_e32 v2, s2
	global_store_short v[0:1], v2, off
.LBB71_978:
	s_mov_b64 s[0:1], 0
.LBB71_979:
	s_andn2_b64 vcc, exec, s[0:1]
	s_cbranch_vccnz .LBB71_995
; %bb.980:
	v_cmp_lt_i16_e64 s[4:5], s18, 2
	s_mov_b64 s[0:1], -1
	s_and_b64 vcc, exec, s[4:5]
	s_cbranch_vccnz .LBB71_990
; %bb.981:
	v_cmp_lt_i16_e64 s[4:5], s18, 3
	s_and_b64 vcc, exec, s[4:5]
	s_cbranch_vccnz .LBB71_987
; %bb.982:
	v_cmp_gt_i16_e64 s[4:5], s18, 3
	s_and_b64 vcc, exec, s[4:5]
	s_cbranch_vccz .LBB71_984
; %bb.983:
	v_trunc_f32_e32 v2, s2
	s_mov_b32 s0, 0x2f800000
	v_mul_f32_e64 v3, |v2|, s0
	v_floor_f32_e32 v3, v3
	s_mov_b32 s0, 0xcf800000
	v_fma_f32 v4, v3, s0, |v2|
	v_cvt_u32_f32_e32 v4, v4
	v_cvt_u32_f32_e32 v3, v3
	v_ashrrev_i32_e32 v5, 31, v2
	s_mov_b64 s[0:1], 0
	v_xor_b32_e32 v2, v4, v5
	v_xor_b32_e32 v3, v3, v5
	v_sub_co_u32_e32 v2, vcc, v2, v5
	v_subb_co_u32_e32 v3, vcc, v3, v5, vcc
	global_store_dwordx2 v[0:1], v[2:3], off
.LBB71_984:
	s_andn2_b64 vcc, exec, s[0:1]
	s_cbranch_vccnz .LBB71_986
; %bb.985:
	v_cvt_i32_f32_e32 v2, s2
	global_store_dword v[0:1], v2, off
.LBB71_986:
	s_mov_b64 s[0:1], 0
.LBB71_987:
	s_andn2_b64 vcc, exec, s[0:1]
	s_cbranch_vccnz .LBB71_989
; %bb.988:
	v_cvt_i32_f32_e32 v2, s2
	global_store_short v[0:1], v2, off
.LBB71_989:
	s_mov_b64 s[0:1], 0
.LBB71_990:
	s_andn2_b64 vcc, exec, s[0:1]
	s_cbranch_vccnz .LBB71_995
; %bb.991:
	v_cmp_gt_i16_e64 s[4:5], s18, 0
	s_mov_b64 s[0:1], -1
	s_and_b64 vcc, exec, s[4:5]
	s_cbranch_vccz .LBB71_993
; %bb.992:
	v_cvt_i32_f32_e32 v2, s2
	s_mov_b64 s[0:1], 0
	global_store_byte v[0:1], v2, off
.LBB71_993:
	s_andn2_b64 vcc, exec, s[0:1]
	s_cbranch_vccnz .LBB71_995
; %bb.994:
	v_trunc_f32_e32 v2, s2
	s_mov_b32 s0, 0x2f800000
	v_mul_f32_e64 v3, |v2|, s0
	v_floor_f32_e32 v3, v3
	s_mov_b32 s0, 0xcf800000
	v_fma_f32 v3, v3, s0, |v2|
	v_cvt_u32_f32_e32 v3, v3
	v_ashrrev_i32_e32 v2, 31, v2
	v_xor_b32_e32 v3, v3, v2
	v_sub_u32_e32 v2, v3, v2
	global_store_byte v[0:1], v2, off
	s_endpgm
.LBB71_995:
	s_endpgm
.LBB71_996:
	s_trap 2
	s_or_b64 s[4:5], s[4:5], exec
	s_cbranch_execz .LBB71_911
	s_branch .LBB71_912
.LBB71_997:
	s_mov_b64 s[10:11], -1
	s_mov_b64 s[8:9], 0
                                        ; implicit-def: $sgpr12
.LBB71_998:
	s_andn2_b64 vcc, exec, s[10:11]
	v_mov_b32_e32 v2, s12
                                        ; implicit-def: $sgpr10
	s_cbranch_vccnz .LBB71_1000
; %bb.999:
	v_mov_b32_e32 v2, 0x42800000
	v_add_f32_e64 v2, |s2|, v2
	v_and_b32_e32 v2, 0xff, v2
	s_mov_b32 s10, 0
	v_cmp_ne_u32_e64 s[8:9], 0, v2
.LBB71_1000:
	s_andn2_b64 vcc, exec, s[8:9]
	v_mov_b32_e32 v3, s10
	s_cbranch_vccnz .LBB71_1002
; %bb.1001:
	s_lshr_b32 s8, s2, 24
	s_and_b32 s8, s8, 0x80
	v_or_b32_e32 v3, s8, v2
.LBB71_1002:
	s_mov_b64 s[8:9], 0
	global_store_byte v[0:1], v3, off
.LBB71_1003:
	s_and_b64 vcc, exec, s[8:9]
	s_cbranch_vccz .LBB71_1015
; %bb.1004:
	s_and_b32 s10, s2, 0x7fffffff
	s_cmp_lt_u32 s10, 0x43f00000
	s_cbranch_scc0 .LBB71_1007
; %bb.1005:
	s_cmp_gt_u32 s10, 0x3c7fffff
	s_cbranch_scc0 .LBB71_1008
; %bb.1006:
	s_bfe_u32 s8, s2, 0x10014
	s_add_i32 s8, s2, s8
	s_add_i32 s8, s8, 0x407ffff
	s_lshr_b32 s9, s8, 20
	s_and_b32 s8, s8, 0xff00000
	s_cmp_lg_u32 s8, 0x7f00000
	s_cselect_b32 s11, s9, 0x7e
	s_mov_b64 s[8:9], 0
	s_branch .LBB71_1009
.LBB71_1007:
	s_mov_b64 s[8:9], -1
                                        ; implicit-def: $vgpr2
	s_branch .LBB71_1012
.LBB71_1008:
	s_mov_b64 s[8:9], -1
                                        ; implicit-def: $sgpr11
.LBB71_1009:
	s_andn2_b64 vcc, exec, s[8:9]
	v_mov_b32_e32 v2, s11
	s_cbranch_vccnz .LBB71_1011
; %bb.1010:
	v_mov_b32_e32 v2, 0x46800000
	v_add_f32_e64 v2, |s2|, v2
.LBB71_1011:
	s_mov_b64 s[8:9], 0
.LBB71_1012:
	s_andn2_b64 vcc, exec, s[8:9]
	s_cbranch_vccnz .LBB71_1014
; %bb.1013:
	s_cmp_gt_u32 s10, 0x7f800000
	s_movk_i32 s8, 0x7f
	s_cselect_b32 s8, s8, 0x7e
	v_mov_b32_e32 v2, s8
.LBB71_1014:
	s_lshr_b32 s8, s2, 24
	s_and_b32 s8, s8, 0x80
	v_or_b32_e32 v2, s8, v2
	global_store_byte v[0:1], v2, off
.LBB71_1015:
	s_mov_b64 s[8:9], 0
.LBB71_1016:
	s_andn2_b64 vcc, exec, s[8:9]
	s_cbranch_vccnz .LBB71_1028
; %bb.1017:
	s_and_b32 s10, s2, 0x7fffffff
	s_cmp_lt_u32 s10, 0x47800000
	s_cbranch_scc0 .LBB71_1020
; %bb.1018:
	s_cmp_gt_u32 s10, 0x387fffff
	s_cbranch_scc0 .LBB71_1021
; %bb.1019:
	s_bfe_u32 s8, s2, 0x10015
	s_add_i32 s8, s2, s8
	s_add_i32 s8, s8, 0x80fffff
	s_lshr_b32 s11, s8, 21
	s_mov_b64 s[8:9], 0
	s_branch .LBB71_1022
.LBB71_1020:
	s_mov_b64 s[8:9], -1
                                        ; implicit-def: $vgpr2
	s_branch .LBB71_1025
.LBB71_1021:
	s_mov_b64 s[8:9], -1
                                        ; implicit-def: $sgpr11
.LBB71_1022:
	s_andn2_b64 vcc, exec, s[8:9]
	v_mov_b32_e32 v2, s11
	s_cbranch_vccnz .LBB71_1024
; %bb.1023:
	v_mov_b32_e32 v2, 0x43000000
	v_add_f32_e64 v2, |s2|, v2
.LBB71_1024:
	s_mov_b64 s[8:9], 0
.LBB71_1025:
	s_andn2_b64 vcc, exec, s[8:9]
	s_cbranch_vccnz .LBB71_1027
; %bb.1026:
	s_cmp_gt_u32 s10, 0x7f800000
	s_movk_i32 s8, 0x7f
	s_cselect_b32 s8, s8, 0x7c
	v_mov_b32_e32 v2, s8
.LBB71_1027:
	s_lshr_b32 s8, s2, 24
	s_and_b32 s8, s8, 0x80
	v_or_b32_e32 v2, s8, v2
	global_store_byte v[0:1], v2, off
.LBB71_1028:
	s_mov_b64 s[8:9], 0
.LBB71_1029:
	s_andn2_b64 vcc, exec, s[8:9]
	s_mov_b64 s[8:9], 0
	s_cbranch_vccnz .LBB71_1036
; %bb.1030:
	v_cmp_gt_i16_e64 s[8:9], s18, 14
	s_mov_b64 s[10:11], -1
	s_and_b64 vcc, exec, s[8:9]
	s_cbranch_vccz .LBB71_1034
; %bb.1031:
	v_cmp_eq_u16_e64 s[8:9], s18, 15
	s_mov_b64 s[0:1], -1
	s_and_b64 vcc, exec, s[8:9]
	s_cbranch_vccz .LBB71_1033
; %bb.1032:
	s_bfe_u32 s0, s2, 0x10010
	s_add_i32 s0, s2, s0
	s_addk_i32 s0, 0x7fff
	s_lshr_b32 s8, s0, 16
	v_cmp_o_f32_e64 s[0:1], s2, s2
	s_and_b64 s[0:1], s[0:1], exec
	s_cselect_b32 s0, s8, 0x7fc0
	v_mov_b32_e32 v2, s0
	global_store_short v[0:1], v2, off
	s_mov_b64 s[0:1], 0
.LBB71_1033:
	s_mov_b64 s[10:11], 0
.LBB71_1034:
	s_mov_b64 s[8:9], 0
	s_and_b64 vcc, exec, s[10:11]
	s_cbranch_vccz .LBB71_1036
; %bb.1035:
	v_cmp_ne_u16_e64 s[0:1], s18, 11
	s_mov_b64 s[8:9], -1
.LBB71_1036:
	s_and_b64 vcc, exec, s[0:1]
	s_cbranch_vccnz .LBB71_1038
.LBB71_1037:
	s_mov_b64 s[0:1], 0
	s_branch .LBB71_952
.LBB71_1038:
	s_mov_b64 s[8:9], 0
	s_or_b64 s[4:5], s[4:5], exec
	s_trap 2
	s_branch .LBB71_1037
	.section	.rodata,"a",@progbits
	.p2align	6, 0x0
	.amdhsa_kernel _ZN2at6native32elementwise_kernel_manual_unrollILi128ELi4EZNS0_15gpu_kernel_implINS0_11FillFunctorIN3c107complexIfEEEEEEvRNS_18TensorIteratorBaseERKT_EUlibE0_EEviT1_
		.amdhsa_group_segment_fixed_size 0
		.amdhsa_private_segment_fixed_size 0
		.amdhsa_kernarg_size 296
		.amdhsa_user_sgpr_count 6
		.amdhsa_user_sgpr_private_segment_buffer 1
		.amdhsa_user_sgpr_dispatch_ptr 0
		.amdhsa_user_sgpr_queue_ptr 0
		.amdhsa_user_sgpr_kernarg_segment_ptr 1
		.amdhsa_user_sgpr_dispatch_id 0
		.amdhsa_user_sgpr_flat_scratch_init 0
		.amdhsa_user_sgpr_kernarg_preload_length 0
		.amdhsa_user_sgpr_kernarg_preload_offset 0
		.amdhsa_user_sgpr_private_segment_size 0
		.amdhsa_uses_dynamic_stack 0
		.amdhsa_system_sgpr_private_segment_wavefront_offset 0
		.amdhsa_system_sgpr_workgroup_id_x 1
		.amdhsa_system_sgpr_workgroup_id_y 0
		.amdhsa_system_sgpr_workgroup_id_z 0
		.amdhsa_system_sgpr_workgroup_info 0
		.amdhsa_system_vgpr_workitem_id 0
		.amdhsa_next_free_vgpr 22
		.amdhsa_next_free_sgpr 96
		.amdhsa_accum_offset 24
		.amdhsa_reserve_vcc 1
		.amdhsa_reserve_flat_scratch 0
		.amdhsa_float_round_mode_32 0
		.amdhsa_float_round_mode_16_64 0
		.amdhsa_float_denorm_mode_32 3
		.amdhsa_float_denorm_mode_16_64 3
		.amdhsa_dx10_clamp 1
		.amdhsa_ieee_mode 1
		.amdhsa_fp16_overflow 0
		.amdhsa_tg_split 0
		.amdhsa_exception_fp_ieee_invalid_op 0
		.amdhsa_exception_fp_denorm_src 0
		.amdhsa_exception_fp_ieee_div_zero 0
		.amdhsa_exception_fp_ieee_overflow 0
		.amdhsa_exception_fp_ieee_underflow 0
		.amdhsa_exception_fp_ieee_inexact 0
		.amdhsa_exception_int_div_zero 0
	.end_amdhsa_kernel
	.section	.text._ZN2at6native32elementwise_kernel_manual_unrollILi128ELi4EZNS0_15gpu_kernel_implINS0_11FillFunctorIN3c107complexIfEEEEEEvRNS_18TensorIteratorBaseERKT_EUlibE0_EEviT1_,"axG",@progbits,_ZN2at6native32elementwise_kernel_manual_unrollILi128ELi4EZNS0_15gpu_kernel_implINS0_11FillFunctorIN3c107complexIfEEEEEEvRNS_18TensorIteratorBaseERKT_EUlibE0_EEviT1_,comdat
.Lfunc_end71:
	.size	_ZN2at6native32elementwise_kernel_manual_unrollILi128ELi4EZNS0_15gpu_kernel_implINS0_11FillFunctorIN3c107complexIfEEEEEEvRNS_18TensorIteratorBaseERKT_EUlibE0_EEviT1_, .Lfunc_end71-_ZN2at6native32elementwise_kernel_manual_unrollILi128ELi4EZNS0_15gpu_kernel_implINS0_11FillFunctorIN3c107complexIfEEEEEEvRNS_18TensorIteratorBaseERKT_EUlibE0_EEviT1_
                                        ; -- End function
	.section	.AMDGPU.csdata,"",@progbits
; Kernel info:
; codeLenInByte = 19356
; NumSgprs: 100
; NumVgprs: 22
; NumAgprs: 0
; TotalNumVgprs: 22
; ScratchSize: 0
; MemoryBound: 0
; FloatMode: 240
; IeeeMode: 1
; LDSByteSize: 0 bytes/workgroup (compile time only)
; SGPRBlocks: 12
; VGPRBlocks: 2
; NumSGPRsForWavesPerEU: 100
; NumVGPRsForWavesPerEU: 22
; AccumOffset: 24
; Occupancy: 8
; WaveLimiterHint : 1
; COMPUTE_PGM_RSRC2:SCRATCH_EN: 0
; COMPUTE_PGM_RSRC2:USER_SGPR: 6
; COMPUTE_PGM_RSRC2:TRAP_HANDLER: 0
; COMPUTE_PGM_RSRC2:TGID_X_EN: 1
; COMPUTE_PGM_RSRC2:TGID_Y_EN: 0
; COMPUTE_PGM_RSRC2:TGID_Z_EN: 0
; COMPUTE_PGM_RSRC2:TIDIG_COMP_CNT: 0
; COMPUTE_PGM_RSRC3_GFX90A:ACCUM_OFFSET: 5
; COMPUTE_PGM_RSRC3_GFX90A:TG_SPLIT: 0
	.section	.text._ZN2at6native29vectorized_elementwise_kernelILi16ENS0_11FillFunctorIN3c107complexINS3_4HalfEEEEESt5arrayIPcLm1EEEEviT0_T1_,"axG",@progbits,_ZN2at6native29vectorized_elementwise_kernelILi16ENS0_11FillFunctorIN3c107complexINS3_4HalfEEEEESt5arrayIPcLm1EEEEviT0_T1_,comdat
	.protected	_ZN2at6native29vectorized_elementwise_kernelILi16ENS0_11FillFunctorIN3c107complexINS3_4HalfEEEEESt5arrayIPcLm1EEEEviT0_T1_ ; -- Begin function _ZN2at6native29vectorized_elementwise_kernelILi16ENS0_11FillFunctorIN3c107complexINS3_4HalfEEEEESt5arrayIPcLm1EEEEviT0_T1_
	.globl	_ZN2at6native29vectorized_elementwise_kernelILi16ENS0_11FillFunctorIN3c107complexINS3_4HalfEEEEESt5arrayIPcLm1EEEEviT0_T1_
	.p2align	8
	.type	_ZN2at6native29vectorized_elementwise_kernelILi16ENS0_11FillFunctorIN3c107complexINS3_4HalfEEEEESt5arrayIPcLm1EEEEviT0_T1_,@function
_ZN2at6native29vectorized_elementwise_kernelILi16ENS0_11FillFunctorIN3c107complexINS3_4HalfEEEEESt5arrayIPcLm1EEEEviT0_T1_: ; @_ZN2at6native29vectorized_elementwise_kernelILi16ENS0_11FillFunctorIN3c107complexINS3_4HalfEEEEESt5arrayIPcLm1EEEEviT0_T1_
; %bb.0:
	s_load_dwordx4 s[0:3], s[4:5], 0x0
	s_lshl_b32 s4, s6, 10
	s_waitcnt lgkmcnt(0)
	s_sub_i32 s0, s0, s4
	s_cmpk_gt_i32 s0, 0x3ff
	s_cbranch_scc0 .LBB72_4
; %bb.1:
	s_ashr_i32 s5, s4, 31
	s_lshl_b64 s[6:7], s[4:5], 2
	s_add_u32 s6, s2, s6
	s_addc_u32 s7, s3, s7
	v_lshlrev_b32_e32 v1, 4, v0
	v_mov_b32_e32 v2, s7
	v_add_co_u32_e32 v5, vcc, s6, v1
	v_addc_co_u32_e32 v6, vcc, 0, v2, vcc
	v_mov_b32_e32 v2, s1
	v_mov_b32_e32 v3, s1
	;; [unrolled: 1-line block ×3, first 2 shown]
	global_store_dwordx3 v1, v[2:4], s[6:7]
	s_nop 0
	v_add_co_u32_e32 v2, vcc, 12, v5
	v_addc_co_u32_e32 v3, vcc, 0, v6, vcc
	s_mov_b64 s[6:7], -1
	s_cbranch_execz .LBB72_5
; %bb.2:
	s_and_saveexec_b64 s[2:3], s[6:7]
	s_cbranch_execz .LBB72_12
.LBB72_3:
	v_mov_b32_e32 v0, s1
	global_store_dword v[2:3], v0, off
	s_endpgm
.LBB72_4:
	s_mov_b64 s[6:7], 0
                                        ; implicit-def: $vgpr2_vgpr3
.LBB72_5:
	v_cmp_gt_i32_e32 vcc, s0, v0
	s_and_saveexec_b64 s[8:9], vcc
	s_cbranch_execz .LBB72_13
; %bb.6:
	v_or_b32_e32 v2, 0x100, v0
	v_or_b32_e32 v0, s4, v0
	v_mov_b32_e32 v1, 0
	v_lshlrev_b64 v[0:1], 2, v[0:1]
	v_mov_b32_e32 v3, s3
	v_add_co_u32_e32 v0, vcc, s2, v0
	v_addc_co_u32_e32 v1, vcc, v3, v1, vcc
	v_mov_b32_e32 v3, s1
	global_store_dword v[0:1], v3, off
	v_mov_b32_e32 v0, v2
	s_or_b64 exec, exec, s[8:9]
	v_cmp_gt_i32_e32 vcc, s0, v0
	s_and_saveexec_b64 s[8:9], vcc
	s_cbranch_execnz .LBB72_14
.LBB72_7:
	s_or_b64 exec, exec, s[8:9]
	v_cmp_gt_i32_e32 vcc, s0, v0
	s_and_saveexec_b64 s[8:9], vcc
	s_cbranch_execz .LBB72_9
.LBB72_8:
	v_add_u32_e32 v2, s4, v0
	v_mov_b32_e32 v3, 0
	v_lshlrev_b64 v[2:3], 2, v[2:3]
	v_mov_b32_e32 v1, s3
	v_add_co_u32_e32 v2, vcc, s2, v2
	v_addc_co_u32_e32 v3, vcc, v1, v3, vcc
	v_add_u32_e32 v0, 0x100, v0
	v_mov_b32_e32 v1, s1
	global_store_dword v[2:3], v1, off
.LBB72_9:
	s_or_b64 exec, exec, s[8:9]
	v_cmp_gt_i32_e32 vcc, s0, v0
                                        ; implicit-def: $vgpr2_vgpr3
	s_and_saveexec_b64 s[8:9], vcc
; %bb.10:
	v_add_u32_e32 v0, s4, v0
	v_mov_b32_e32 v1, 0
	v_lshlrev_b64 v[0:1], 2, v[0:1]
	v_mov_b32_e32 v3, s3
	v_add_co_u32_e32 v2, vcc, s2, v0
	v_addc_co_u32_e32 v3, vcc, v3, v1, vcc
	s_or_b64 s[6:7], s[6:7], exec
; %bb.11:
	s_or_b64 exec, exec, s[8:9]
	s_and_saveexec_b64 s[2:3], s[6:7]
	s_cbranch_execnz .LBB72_3
.LBB72_12:
	s_endpgm
.LBB72_13:
	s_or_b64 exec, exec, s[8:9]
	v_cmp_gt_i32_e32 vcc, s0, v0
	s_and_saveexec_b64 s[8:9], vcc
	s_cbranch_execz .LBB72_7
.LBB72_14:
	v_add_u32_e32 v2, s4, v0
	v_mov_b32_e32 v3, 0
	v_lshlrev_b64 v[2:3], 2, v[2:3]
	v_mov_b32_e32 v1, s3
	v_add_co_u32_e32 v2, vcc, s2, v2
	v_addc_co_u32_e32 v3, vcc, v1, v3, vcc
	v_add_u32_e32 v0, 0x100, v0
	v_mov_b32_e32 v1, s1
	global_store_dword v[2:3], v1, off
	s_or_b64 exec, exec, s[8:9]
	v_cmp_gt_i32_e32 vcc, s0, v0
	s_and_saveexec_b64 s[8:9], vcc
	s_cbranch_execz .LBB72_9
	s_branch .LBB72_8
	.section	.rodata,"a",@progbits
	.p2align	6, 0x0
	.amdhsa_kernel _ZN2at6native29vectorized_elementwise_kernelILi16ENS0_11FillFunctorIN3c107complexINS3_4HalfEEEEESt5arrayIPcLm1EEEEviT0_T1_
		.amdhsa_group_segment_fixed_size 0
		.amdhsa_private_segment_fixed_size 0
		.amdhsa_kernarg_size 16
		.amdhsa_user_sgpr_count 6
		.amdhsa_user_sgpr_private_segment_buffer 1
		.amdhsa_user_sgpr_dispatch_ptr 0
		.amdhsa_user_sgpr_queue_ptr 0
		.amdhsa_user_sgpr_kernarg_segment_ptr 1
		.amdhsa_user_sgpr_dispatch_id 0
		.amdhsa_user_sgpr_flat_scratch_init 0
		.amdhsa_user_sgpr_kernarg_preload_length 0
		.amdhsa_user_sgpr_kernarg_preload_offset 0
		.amdhsa_user_sgpr_private_segment_size 0
		.amdhsa_uses_dynamic_stack 0
		.amdhsa_system_sgpr_private_segment_wavefront_offset 0
		.amdhsa_system_sgpr_workgroup_id_x 1
		.amdhsa_system_sgpr_workgroup_id_y 0
		.amdhsa_system_sgpr_workgroup_id_z 0
		.amdhsa_system_sgpr_workgroup_info 0
		.amdhsa_system_vgpr_workitem_id 0
		.amdhsa_next_free_vgpr 7
		.amdhsa_next_free_sgpr 10
		.amdhsa_accum_offset 8
		.amdhsa_reserve_vcc 1
		.amdhsa_reserve_flat_scratch 0
		.amdhsa_float_round_mode_32 0
		.amdhsa_float_round_mode_16_64 0
		.amdhsa_float_denorm_mode_32 3
		.amdhsa_float_denorm_mode_16_64 3
		.amdhsa_dx10_clamp 1
		.amdhsa_ieee_mode 1
		.amdhsa_fp16_overflow 0
		.amdhsa_tg_split 0
		.amdhsa_exception_fp_ieee_invalid_op 0
		.amdhsa_exception_fp_denorm_src 0
		.amdhsa_exception_fp_ieee_div_zero 0
		.amdhsa_exception_fp_ieee_overflow 0
		.amdhsa_exception_fp_ieee_underflow 0
		.amdhsa_exception_fp_ieee_inexact 0
		.amdhsa_exception_int_div_zero 0
	.end_amdhsa_kernel
	.section	.text._ZN2at6native29vectorized_elementwise_kernelILi16ENS0_11FillFunctorIN3c107complexINS3_4HalfEEEEESt5arrayIPcLm1EEEEviT0_T1_,"axG",@progbits,_ZN2at6native29vectorized_elementwise_kernelILi16ENS0_11FillFunctorIN3c107complexINS3_4HalfEEEEESt5arrayIPcLm1EEEEviT0_T1_,comdat
.Lfunc_end72:
	.size	_ZN2at6native29vectorized_elementwise_kernelILi16ENS0_11FillFunctorIN3c107complexINS3_4HalfEEEEESt5arrayIPcLm1EEEEviT0_T1_, .Lfunc_end72-_ZN2at6native29vectorized_elementwise_kernelILi16ENS0_11FillFunctorIN3c107complexINS3_4HalfEEEEESt5arrayIPcLm1EEEEviT0_T1_
                                        ; -- End function
	.section	.AMDGPU.csdata,"",@progbits
; Kernel info:
; codeLenInByte = 416
; NumSgprs: 14
; NumVgprs: 7
; NumAgprs: 0
; TotalNumVgprs: 7
; ScratchSize: 0
; MemoryBound: 0
; FloatMode: 240
; IeeeMode: 1
; LDSByteSize: 0 bytes/workgroup (compile time only)
; SGPRBlocks: 1
; VGPRBlocks: 0
; NumSGPRsForWavesPerEU: 14
; NumVGPRsForWavesPerEU: 7
; AccumOffset: 8
; Occupancy: 8
; WaveLimiterHint : 0
; COMPUTE_PGM_RSRC2:SCRATCH_EN: 0
; COMPUTE_PGM_RSRC2:USER_SGPR: 6
; COMPUTE_PGM_RSRC2:TRAP_HANDLER: 0
; COMPUTE_PGM_RSRC2:TGID_X_EN: 1
; COMPUTE_PGM_RSRC2:TGID_Y_EN: 0
; COMPUTE_PGM_RSRC2:TGID_Z_EN: 0
; COMPUTE_PGM_RSRC2:TIDIG_COMP_CNT: 0
; COMPUTE_PGM_RSRC3_GFX90A:ACCUM_OFFSET: 1
; COMPUTE_PGM_RSRC3_GFX90A:TG_SPLIT: 0
	.section	.text._ZN2at6native29vectorized_elementwise_kernelILi8ENS0_11FillFunctorIN3c107complexINS3_4HalfEEEEESt5arrayIPcLm1EEEEviT0_T1_,"axG",@progbits,_ZN2at6native29vectorized_elementwise_kernelILi8ENS0_11FillFunctorIN3c107complexINS3_4HalfEEEEESt5arrayIPcLm1EEEEviT0_T1_,comdat
	.protected	_ZN2at6native29vectorized_elementwise_kernelILi8ENS0_11FillFunctorIN3c107complexINS3_4HalfEEEEESt5arrayIPcLm1EEEEviT0_T1_ ; -- Begin function _ZN2at6native29vectorized_elementwise_kernelILi8ENS0_11FillFunctorIN3c107complexINS3_4HalfEEEEESt5arrayIPcLm1EEEEviT0_T1_
	.globl	_ZN2at6native29vectorized_elementwise_kernelILi8ENS0_11FillFunctorIN3c107complexINS3_4HalfEEEEESt5arrayIPcLm1EEEEviT0_T1_
	.p2align	8
	.type	_ZN2at6native29vectorized_elementwise_kernelILi8ENS0_11FillFunctorIN3c107complexINS3_4HalfEEEEESt5arrayIPcLm1EEEEviT0_T1_,@function
_ZN2at6native29vectorized_elementwise_kernelILi8ENS0_11FillFunctorIN3c107complexINS3_4HalfEEEEESt5arrayIPcLm1EEEEviT0_T1_: ; @_ZN2at6native29vectorized_elementwise_kernelILi8ENS0_11FillFunctorIN3c107complexINS3_4HalfEEEEESt5arrayIPcLm1EEEEviT0_T1_
; %bb.0:
	s_load_dwordx4 s[0:3], s[4:5], 0x0
	s_lshl_b32 s4, s6, 10
	s_waitcnt lgkmcnt(0)
	s_sub_i32 s0, s0, s4
	s_cmpk_gt_i32 s0, 0x3ff
	s_cbranch_scc0 .LBB73_4
; %bb.1:
	s_ashr_i32 s5, s4, 31
	s_lshl_b64 s[6:7], s[4:5], 2
	s_add_u32 s6, s2, s6
	s_addc_u32 s7, s3, s7
	v_lshlrev_b32_e32 v1, 4, v0
	v_mov_b32_e32 v2, s7
	v_add_co_u32_e32 v5, vcc, s6, v1
	v_addc_co_u32_e32 v6, vcc, 0, v2, vcc
	v_mov_b32_e32 v2, s1
	v_mov_b32_e32 v3, s1
	;; [unrolled: 1-line block ×3, first 2 shown]
	global_store_dwordx3 v1, v[2:4], s[6:7]
	s_nop 0
	v_add_co_u32_e32 v2, vcc, 12, v5
	v_addc_co_u32_e32 v3, vcc, 0, v6, vcc
	s_mov_b64 s[6:7], -1
	s_cbranch_execz .LBB73_5
; %bb.2:
	s_and_saveexec_b64 s[2:3], s[6:7]
	s_cbranch_execz .LBB73_12
.LBB73_3:
	v_mov_b32_e32 v0, s1
	global_store_dword v[2:3], v0, off
	s_endpgm
.LBB73_4:
	s_mov_b64 s[6:7], 0
                                        ; implicit-def: $vgpr2_vgpr3
.LBB73_5:
	v_cmp_gt_i32_e32 vcc, s0, v0
	s_and_saveexec_b64 s[8:9], vcc
	s_cbranch_execz .LBB73_13
; %bb.6:
	v_or_b32_e32 v2, 0x100, v0
	v_or_b32_e32 v0, s4, v0
	v_mov_b32_e32 v1, 0
	v_lshlrev_b64 v[0:1], 2, v[0:1]
	v_mov_b32_e32 v3, s3
	v_add_co_u32_e32 v0, vcc, s2, v0
	v_addc_co_u32_e32 v1, vcc, v3, v1, vcc
	v_mov_b32_e32 v3, s1
	global_store_dword v[0:1], v3, off
	v_mov_b32_e32 v0, v2
	s_or_b64 exec, exec, s[8:9]
	v_cmp_gt_i32_e32 vcc, s0, v0
	s_and_saveexec_b64 s[8:9], vcc
	s_cbranch_execnz .LBB73_14
.LBB73_7:
	s_or_b64 exec, exec, s[8:9]
	v_cmp_gt_i32_e32 vcc, s0, v0
	s_and_saveexec_b64 s[8:9], vcc
	s_cbranch_execz .LBB73_9
.LBB73_8:
	v_add_u32_e32 v2, s4, v0
	v_mov_b32_e32 v3, 0
	v_lshlrev_b64 v[2:3], 2, v[2:3]
	v_mov_b32_e32 v1, s3
	v_add_co_u32_e32 v2, vcc, s2, v2
	v_addc_co_u32_e32 v3, vcc, v1, v3, vcc
	v_add_u32_e32 v0, 0x100, v0
	v_mov_b32_e32 v1, s1
	global_store_dword v[2:3], v1, off
.LBB73_9:
	s_or_b64 exec, exec, s[8:9]
	v_cmp_gt_i32_e32 vcc, s0, v0
                                        ; implicit-def: $vgpr2_vgpr3
	s_and_saveexec_b64 s[8:9], vcc
; %bb.10:
	v_add_u32_e32 v0, s4, v0
	v_mov_b32_e32 v1, 0
	v_lshlrev_b64 v[0:1], 2, v[0:1]
	v_mov_b32_e32 v3, s3
	v_add_co_u32_e32 v2, vcc, s2, v0
	v_addc_co_u32_e32 v3, vcc, v3, v1, vcc
	s_or_b64 s[6:7], s[6:7], exec
; %bb.11:
	s_or_b64 exec, exec, s[8:9]
	s_and_saveexec_b64 s[2:3], s[6:7]
	s_cbranch_execnz .LBB73_3
.LBB73_12:
	s_endpgm
.LBB73_13:
	s_or_b64 exec, exec, s[8:9]
	v_cmp_gt_i32_e32 vcc, s0, v0
	s_and_saveexec_b64 s[8:9], vcc
	s_cbranch_execz .LBB73_7
.LBB73_14:
	v_add_u32_e32 v2, s4, v0
	v_mov_b32_e32 v3, 0
	v_lshlrev_b64 v[2:3], 2, v[2:3]
	v_mov_b32_e32 v1, s3
	v_add_co_u32_e32 v2, vcc, s2, v2
	v_addc_co_u32_e32 v3, vcc, v1, v3, vcc
	v_add_u32_e32 v0, 0x100, v0
	v_mov_b32_e32 v1, s1
	global_store_dword v[2:3], v1, off
	s_or_b64 exec, exec, s[8:9]
	v_cmp_gt_i32_e32 vcc, s0, v0
	s_and_saveexec_b64 s[8:9], vcc
	s_cbranch_execz .LBB73_9
	s_branch .LBB73_8
	.section	.rodata,"a",@progbits
	.p2align	6, 0x0
	.amdhsa_kernel _ZN2at6native29vectorized_elementwise_kernelILi8ENS0_11FillFunctorIN3c107complexINS3_4HalfEEEEESt5arrayIPcLm1EEEEviT0_T1_
		.amdhsa_group_segment_fixed_size 0
		.amdhsa_private_segment_fixed_size 0
		.amdhsa_kernarg_size 16
		.amdhsa_user_sgpr_count 6
		.amdhsa_user_sgpr_private_segment_buffer 1
		.amdhsa_user_sgpr_dispatch_ptr 0
		.amdhsa_user_sgpr_queue_ptr 0
		.amdhsa_user_sgpr_kernarg_segment_ptr 1
		.amdhsa_user_sgpr_dispatch_id 0
		.amdhsa_user_sgpr_flat_scratch_init 0
		.amdhsa_user_sgpr_kernarg_preload_length 0
		.amdhsa_user_sgpr_kernarg_preload_offset 0
		.amdhsa_user_sgpr_private_segment_size 0
		.amdhsa_uses_dynamic_stack 0
		.amdhsa_system_sgpr_private_segment_wavefront_offset 0
		.amdhsa_system_sgpr_workgroup_id_x 1
		.amdhsa_system_sgpr_workgroup_id_y 0
		.amdhsa_system_sgpr_workgroup_id_z 0
		.amdhsa_system_sgpr_workgroup_info 0
		.amdhsa_system_vgpr_workitem_id 0
		.amdhsa_next_free_vgpr 7
		.amdhsa_next_free_sgpr 10
		.amdhsa_accum_offset 8
		.amdhsa_reserve_vcc 1
		.amdhsa_reserve_flat_scratch 0
		.amdhsa_float_round_mode_32 0
		.amdhsa_float_round_mode_16_64 0
		.amdhsa_float_denorm_mode_32 3
		.amdhsa_float_denorm_mode_16_64 3
		.amdhsa_dx10_clamp 1
		.amdhsa_ieee_mode 1
		.amdhsa_fp16_overflow 0
		.amdhsa_tg_split 0
		.amdhsa_exception_fp_ieee_invalid_op 0
		.amdhsa_exception_fp_denorm_src 0
		.amdhsa_exception_fp_ieee_div_zero 0
		.amdhsa_exception_fp_ieee_overflow 0
		.amdhsa_exception_fp_ieee_underflow 0
		.amdhsa_exception_fp_ieee_inexact 0
		.amdhsa_exception_int_div_zero 0
	.end_amdhsa_kernel
	.section	.text._ZN2at6native29vectorized_elementwise_kernelILi8ENS0_11FillFunctorIN3c107complexINS3_4HalfEEEEESt5arrayIPcLm1EEEEviT0_T1_,"axG",@progbits,_ZN2at6native29vectorized_elementwise_kernelILi8ENS0_11FillFunctorIN3c107complexINS3_4HalfEEEEESt5arrayIPcLm1EEEEviT0_T1_,comdat
.Lfunc_end73:
	.size	_ZN2at6native29vectorized_elementwise_kernelILi8ENS0_11FillFunctorIN3c107complexINS3_4HalfEEEEESt5arrayIPcLm1EEEEviT0_T1_, .Lfunc_end73-_ZN2at6native29vectorized_elementwise_kernelILi8ENS0_11FillFunctorIN3c107complexINS3_4HalfEEEEESt5arrayIPcLm1EEEEviT0_T1_
                                        ; -- End function
	.section	.AMDGPU.csdata,"",@progbits
; Kernel info:
; codeLenInByte = 416
; NumSgprs: 14
; NumVgprs: 7
; NumAgprs: 0
; TotalNumVgprs: 7
; ScratchSize: 0
; MemoryBound: 0
; FloatMode: 240
; IeeeMode: 1
; LDSByteSize: 0 bytes/workgroup (compile time only)
; SGPRBlocks: 1
; VGPRBlocks: 0
; NumSGPRsForWavesPerEU: 14
; NumVGPRsForWavesPerEU: 7
; AccumOffset: 8
; Occupancy: 8
; WaveLimiterHint : 0
; COMPUTE_PGM_RSRC2:SCRATCH_EN: 0
; COMPUTE_PGM_RSRC2:USER_SGPR: 6
; COMPUTE_PGM_RSRC2:TRAP_HANDLER: 0
; COMPUTE_PGM_RSRC2:TGID_X_EN: 1
; COMPUTE_PGM_RSRC2:TGID_Y_EN: 0
; COMPUTE_PGM_RSRC2:TGID_Z_EN: 0
; COMPUTE_PGM_RSRC2:TIDIG_COMP_CNT: 0
; COMPUTE_PGM_RSRC3_GFX90A:ACCUM_OFFSET: 1
; COMPUTE_PGM_RSRC3_GFX90A:TG_SPLIT: 0
	.section	.text._ZN2at6native29vectorized_elementwise_kernelILi4ENS0_11FillFunctorIN3c107complexINS3_4HalfEEEEESt5arrayIPcLm1EEEEviT0_T1_,"axG",@progbits,_ZN2at6native29vectorized_elementwise_kernelILi4ENS0_11FillFunctorIN3c107complexINS3_4HalfEEEEESt5arrayIPcLm1EEEEviT0_T1_,comdat
	.protected	_ZN2at6native29vectorized_elementwise_kernelILi4ENS0_11FillFunctorIN3c107complexINS3_4HalfEEEEESt5arrayIPcLm1EEEEviT0_T1_ ; -- Begin function _ZN2at6native29vectorized_elementwise_kernelILi4ENS0_11FillFunctorIN3c107complexINS3_4HalfEEEEESt5arrayIPcLm1EEEEviT0_T1_
	.globl	_ZN2at6native29vectorized_elementwise_kernelILi4ENS0_11FillFunctorIN3c107complexINS3_4HalfEEEEESt5arrayIPcLm1EEEEviT0_T1_
	.p2align	8
	.type	_ZN2at6native29vectorized_elementwise_kernelILi4ENS0_11FillFunctorIN3c107complexINS3_4HalfEEEEESt5arrayIPcLm1EEEEviT0_T1_,@function
_ZN2at6native29vectorized_elementwise_kernelILi4ENS0_11FillFunctorIN3c107complexINS3_4HalfEEEEESt5arrayIPcLm1EEEEviT0_T1_: ; @_ZN2at6native29vectorized_elementwise_kernelILi4ENS0_11FillFunctorIN3c107complexINS3_4HalfEEEEESt5arrayIPcLm1EEEEviT0_T1_
; %bb.0:
	s_load_dwordx4 s[0:3], s[4:5], 0x0
	s_lshl_b32 s4, s6, 10
	s_waitcnt lgkmcnt(0)
	s_sub_i32 s0, s0, s4
	s_cmpk_gt_i32 s0, 0x3ff
	s_cbranch_scc0 .LBB74_4
; %bb.1:
	s_ashr_i32 s5, s4, 31
	s_lshl_b64 s[6:7], s[4:5], 2
	s_add_u32 s6, s2, s6
	s_addc_u32 s7, s3, s7
	v_lshlrev_b32_e32 v1, 4, v0
	v_mov_b32_e32 v2, s7
	v_add_co_u32_e32 v5, vcc, s6, v1
	v_addc_co_u32_e32 v6, vcc, 0, v2, vcc
	v_mov_b32_e32 v2, s1
	v_mov_b32_e32 v3, s1
	;; [unrolled: 1-line block ×3, first 2 shown]
	global_store_dwordx3 v1, v[2:4], s[6:7]
	s_nop 0
	v_add_co_u32_e32 v2, vcc, 12, v5
	v_addc_co_u32_e32 v3, vcc, 0, v6, vcc
	s_mov_b64 s[6:7], -1
	s_cbranch_execz .LBB74_5
; %bb.2:
	s_and_saveexec_b64 s[2:3], s[6:7]
	s_cbranch_execz .LBB74_12
.LBB74_3:
	v_mov_b32_e32 v0, s1
	global_store_dword v[2:3], v0, off
	s_endpgm
.LBB74_4:
	s_mov_b64 s[6:7], 0
                                        ; implicit-def: $vgpr2_vgpr3
.LBB74_5:
	v_cmp_gt_i32_e32 vcc, s0, v0
	s_and_saveexec_b64 s[8:9], vcc
	s_cbranch_execz .LBB74_13
; %bb.6:
	v_or_b32_e32 v2, 0x100, v0
	v_or_b32_e32 v0, s4, v0
	v_mov_b32_e32 v1, 0
	v_lshlrev_b64 v[0:1], 2, v[0:1]
	v_mov_b32_e32 v3, s3
	v_add_co_u32_e32 v0, vcc, s2, v0
	v_addc_co_u32_e32 v1, vcc, v3, v1, vcc
	v_mov_b32_e32 v3, s1
	global_store_dword v[0:1], v3, off
	v_mov_b32_e32 v0, v2
	s_or_b64 exec, exec, s[8:9]
	v_cmp_gt_i32_e32 vcc, s0, v0
	s_and_saveexec_b64 s[8:9], vcc
	s_cbranch_execnz .LBB74_14
.LBB74_7:
	s_or_b64 exec, exec, s[8:9]
	v_cmp_gt_i32_e32 vcc, s0, v0
	s_and_saveexec_b64 s[8:9], vcc
	s_cbranch_execz .LBB74_9
.LBB74_8:
	v_add_u32_e32 v2, s4, v0
	v_mov_b32_e32 v3, 0
	v_lshlrev_b64 v[2:3], 2, v[2:3]
	v_mov_b32_e32 v1, s3
	v_add_co_u32_e32 v2, vcc, s2, v2
	v_addc_co_u32_e32 v3, vcc, v1, v3, vcc
	v_add_u32_e32 v0, 0x100, v0
	v_mov_b32_e32 v1, s1
	global_store_dword v[2:3], v1, off
.LBB74_9:
	s_or_b64 exec, exec, s[8:9]
	v_cmp_gt_i32_e32 vcc, s0, v0
                                        ; implicit-def: $vgpr2_vgpr3
	s_and_saveexec_b64 s[8:9], vcc
; %bb.10:
	v_add_u32_e32 v0, s4, v0
	v_mov_b32_e32 v1, 0
	v_lshlrev_b64 v[0:1], 2, v[0:1]
	v_mov_b32_e32 v3, s3
	v_add_co_u32_e32 v2, vcc, s2, v0
	v_addc_co_u32_e32 v3, vcc, v3, v1, vcc
	s_or_b64 s[6:7], s[6:7], exec
; %bb.11:
	s_or_b64 exec, exec, s[8:9]
	s_and_saveexec_b64 s[2:3], s[6:7]
	s_cbranch_execnz .LBB74_3
.LBB74_12:
	s_endpgm
.LBB74_13:
	s_or_b64 exec, exec, s[8:9]
	v_cmp_gt_i32_e32 vcc, s0, v0
	s_and_saveexec_b64 s[8:9], vcc
	s_cbranch_execz .LBB74_7
.LBB74_14:
	v_add_u32_e32 v2, s4, v0
	v_mov_b32_e32 v3, 0
	v_lshlrev_b64 v[2:3], 2, v[2:3]
	v_mov_b32_e32 v1, s3
	v_add_co_u32_e32 v2, vcc, s2, v2
	v_addc_co_u32_e32 v3, vcc, v1, v3, vcc
	v_add_u32_e32 v0, 0x100, v0
	v_mov_b32_e32 v1, s1
	global_store_dword v[2:3], v1, off
	s_or_b64 exec, exec, s[8:9]
	v_cmp_gt_i32_e32 vcc, s0, v0
	s_and_saveexec_b64 s[8:9], vcc
	s_cbranch_execz .LBB74_9
	s_branch .LBB74_8
	.section	.rodata,"a",@progbits
	.p2align	6, 0x0
	.amdhsa_kernel _ZN2at6native29vectorized_elementwise_kernelILi4ENS0_11FillFunctorIN3c107complexINS3_4HalfEEEEESt5arrayIPcLm1EEEEviT0_T1_
		.amdhsa_group_segment_fixed_size 0
		.amdhsa_private_segment_fixed_size 0
		.amdhsa_kernarg_size 16
		.amdhsa_user_sgpr_count 6
		.amdhsa_user_sgpr_private_segment_buffer 1
		.amdhsa_user_sgpr_dispatch_ptr 0
		.amdhsa_user_sgpr_queue_ptr 0
		.amdhsa_user_sgpr_kernarg_segment_ptr 1
		.amdhsa_user_sgpr_dispatch_id 0
		.amdhsa_user_sgpr_flat_scratch_init 0
		.amdhsa_user_sgpr_kernarg_preload_length 0
		.amdhsa_user_sgpr_kernarg_preload_offset 0
		.amdhsa_user_sgpr_private_segment_size 0
		.amdhsa_uses_dynamic_stack 0
		.amdhsa_system_sgpr_private_segment_wavefront_offset 0
		.amdhsa_system_sgpr_workgroup_id_x 1
		.amdhsa_system_sgpr_workgroup_id_y 0
		.amdhsa_system_sgpr_workgroup_id_z 0
		.amdhsa_system_sgpr_workgroup_info 0
		.amdhsa_system_vgpr_workitem_id 0
		.amdhsa_next_free_vgpr 7
		.amdhsa_next_free_sgpr 10
		.amdhsa_accum_offset 8
		.amdhsa_reserve_vcc 1
		.amdhsa_reserve_flat_scratch 0
		.amdhsa_float_round_mode_32 0
		.amdhsa_float_round_mode_16_64 0
		.amdhsa_float_denorm_mode_32 3
		.amdhsa_float_denorm_mode_16_64 3
		.amdhsa_dx10_clamp 1
		.amdhsa_ieee_mode 1
		.amdhsa_fp16_overflow 0
		.amdhsa_tg_split 0
		.amdhsa_exception_fp_ieee_invalid_op 0
		.amdhsa_exception_fp_denorm_src 0
		.amdhsa_exception_fp_ieee_div_zero 0
		.amdhsa_exception_fp_ieee_overflow 0
		.amdhsa_exception_fp_ieee_underflow 0
		.amdhsa_exception_fp_ieee_inexact 0
		.amdhsa_exception_int_div_zero 0
	.end_amdhsa_kernel
	.section	.text._ZN2at6native29vectorized_elementwise_kernelILi4ENS0_11FillFunctorIN3c107complexINS3_4HalfEEEEESt5arrayIPcLm1EEEEviT0_T1_,"axG",@progbits,_ZN2at6native29vectorized_elementwise_kernelILi4ENS0_11FillFunctorIN3c107complexINS3_4HalfEEEEESt5arrayIPcLm1EEEEviT0_T1_,comdat
.Lfunc_end74:
	.size	_ZN2at6native29vectorized_elementwise_kernelILi4ENS0_11FillFunctorIN3c107complexINS3_4HalfEEEEESt5arrayIPcLm1EEEEviT0_T1_, .Lfunc_end74-_ZN2at6native29vectorized_elementwise_kernelILi4ENS0_11FillFunctorIN3c107complexINS3_4HalfEEEEESt5arrayIPcLm1EEEEviT0_T1_
                                        ; -- End function
	.section	.AMDGPU.csdata,"",@progbits
; Kernel info:
; codeLenInByte = 416
; NumSgprs: 14
; NumVgprs: 7
; NumAgprs: 0
; TotalNumVgprs: 7
; ScratchSize: 0
; MemoryBound: 0
; FloatMode: 240
; IeeeMode: 1
; LDSByteSize: 0 bytes/workgroup (compile time only)
; SGPRBlocks: 1
; VGPRBlocks: 0
; NumSGPRsForWavesPerEU: 14
; NumVGPRsForWavesPerEU: 7
; AccumOffset: 8
; Occupancy: 8
; WaveLimiterHint : 0
; COMPUTE_PGM_RSRC2:SCRATCH_EN: 0
; COMPUTE_PGM_RSRC2:USER_SGPR: 6
; COMPUTE_PGM_RSRC2:TRAP_HANDLER: 0
; COMPUTE_PGM_RSRC2:TGID_X_EN: 1
; COMPUTE_PGM_RSRC2:TGID_Y_EN: 0
; COMPUTE_PGM_RSRC2:TGID_Z_EN: 0
; COMPUTE_PGM_RSRC2:TIDIG_COMP_CNT: 0
; COMPUTE_PGM_RSRC3_GFX90A:ACCUM_OFFSET: 1
; COMPUTE_PGM_RSRC3_GFX90A:TG_SPLIT: 0
	.section	.text._ZN2at6native29vectorized_elementwise_kernelILi2ENS0_11FillFunctorIN3c107complexINS3_4HalfEEEEESt5arrayIPcLm1EEEEviT0_T1_,"axG",@progbits,_ZN2at6native29vectorized_elementwise_kernelILi2ENS0_11FillFunctorIN3c107complexINS3_4HalfEEEEESt5arrayIPcLm1EEEEviT0_T1_,comdat
	.protected	_ZN2at6native29vectorized_elementwise_kernelILi2ENS0_11FillFunctorIN3c107complexINS3_4HalfEEEEESt5arrayIPcLm1EEEEviT0_T1_ ; -- Begin function _ZN2at6native29vectorized_elementwise_kernelILi2ENS0_11FillFunctorIN3c107complexINS3_4HalfEEEEESt5arrayIPcLm1EEEEviT0_T1_
	.globl	_ZN2at6native29vectorized_elementwise_kernelILi2ENS0_11FillFunctorIN3c107complexINS3_4HalfEEEEESt5arrayIPcLm1EEEEviT0_T1_
	.p2align	8
	.type	_ZN2at6native29vectorized_elementwise_kernelILi2ENS0_11FillFunctorIN3c107complexINS3_4HalfEEEEESt5arrayIPcLm1EEEEviT0_T1_,@function
_ZN2at6native29vectorized_elementwise_kernelILi2ENS0_11FillFunctorIN3c107complexINS3_4HalfEEEEESt5arrayIPcLm1EEEEviT0_T1_: ; @_ZN2at6native29vectorized_elementwise_kernelILi2ENS0_11FillFunctorIN3c107complexINS3_4HalfEEEEESt5arrayIPcLm1EEEEviT0_T1_
; %bb.0:
	s_load_dwordx4 s[0:3], s[4:5], 0x0
	s_lshl_b32 s4, s6, 10
	s_mov_b64 s[6:7], -1
	s_waitcnt lgkmcnt(0)
	s_sub_i32 s8, s0, s4
	s_cmpk_gt_i32 s8, 0x3ff
	s_cbranch_scc0 .LBB75_2
; %bb.1:
	s_ashr_i32 s5, s4, 31
	s_lshl_b64 s[6:7], s[4:5], 2
	s_mov_b32 s0, s1
	s_add_u32 s6, s2, s6
	s_addc_u32 s7, s3, s7
	v_lshlrev_b32_e32 v1, 3, v0
	v_pk_mov_b32 v[2:3], s[0:1], s[0:1] op_sel:[0,1]
	global_store_dwordx2 v1, v[2:3], s[6:7]
	global_store_dwordx2 v1, v[2:3], s[6:7] offset:2048
	s_mov_b64 s[6:7], 0
.LBB75_2:
	s_andn2_b64 vcc, exec, s[6:7]
	s_cbranch_vccnz .LBB75_8
; %bb.3:
	v_cmp_gt_i32_e32 vcc, s8, v0
	s_and_saveexec_b64 s[6:7], vcc
	s_cbranch_execnz .LBB75_9
; %bb.4:
	s_or_b64 exec, exec, s[6:7]
	v_cmp_gt_i32_e32 vcc, s8, v0
	s_and_saveexec_b64 s[6:7], vcc
	s_cbranch_execnz .LBB75_10
.LBB75_5:
	s_or_b64 exec, exec, s[6:7]
	v_cmp_gt_i32_e32 vcc, s8, v0
	s_and_saveexec_b64 s[6:7], vcc
	s_cbranch_execnz .LBB75_11
.LBB75_6:
	s_or_b64 exec, exec, s[6:7]
	v_cmp_gt_i32_e32 vcc, s8, v0
	s_and_saveexec_b64 s[6:7], vcc
	s_cbranch_execz .LBB75_8
.LBB75_7:
	v_add_u32_e32 v0, s4, v0
	v_mov_b32_e32 v1, 0
	v_lshlrev_b64 v[0:1], 2, v[0:1]
	v_mov_b32_e32 v2, s3
	v_add_co_u32_e32 v0, vcc, s2, v0
	v_addc_co_u32_e32 v1, vcc, v2, v1, vcc
	v_mov_b32_e32 v2, s1
	global_store_dword v[0:1], v2, off
.LBB75_8:
	s_endpgm
.LBB75_9:
	v_or_b32_e32 v2, 0x100, v0
	v_or_b32_e32 v0, s4, v0
	v_mov_b32_e32 v1, 0
	v_lshlrev_b64 v[0:1], 2, v[0:1]
	v_mov_b32_e32 v3, s3
	v_add_co_u32_e32 v0, vcc, s2, v0
	v_addc_co_u32_e32 v1, vcc, v3, v1, vcc
	v_mov_b32_e32 v3, s1
	global_store_dword v[0:1], v3, off
	v_mov_b32_e32 v0, v2
	s_or_b64 exec, exec, s[6:7]
	v_cmp_gt_i32_e32 vcc, s8, v0
	s_and_saveexec_b64 s[6:7], vcc
	s_cbranch_execz .LBB75_5
.LBB75_10:
	v_add_u32_e32 v2, s4, v0
	v_mov_b32_e32 v3, 0
	v_lshlrev_b64 v[2:3], 2, v[2:3]
	v_mov_b32_e32 v1, s3
	v_add_co_u32_e32 v2, vcc, s2, v2
	v_addc_co_u32_e32 v3, vcc, v1, v3, vcc
	v_add_u32_e32 v0, 0x100, v0
	v_mov_b32_e32 v1, s1
	global_store_dword v[2:3], v1, off
	s_or_b64 exec, exec, s[6:7]
	v_cmp_gt_i32_e32 vcc, s8, v0
	s_and_saveexec_b64 s[6:7], vcc
	s_cbranch_execz .LBB75_6
.LBB75_11:
	v_add_u32_e32 v2, s4, v0
	v_mov_b32_e32 v3, 0
	v_lshlrev_b64 v[2:3], 2, v[2:3]
	v_mov_b32_e32 v1, s3
	v_add_co_u32_e32 v2, vcc, s2, v2
	v_addc_co_u32_e32 v3, vcc, v1, v3, vcc
	v_add_u32_e32 v0, 0x100, v0
	v_mov_b32_e32 v1, s1
	global_store_dword v[2:3], v1, off
	s_or_b64 exec, exec, s[6:7]
	v_cmp_gt_i32_e32 vcc, s8, v0
	s_and_saveexec_b64 s[6:7], vcc
	s_cbranch_execnz .LBB75_7
	s_branch .LBB75_8
	.section	.rodata,"a",@progbits
	.p2align	6, 0x0
	.amdhsa_kernel _ZN2at6native29vectorized_elementwise_kernelILi2ENS0_11FillFunctorIN3c107complexINS3_4HalfEEEEESt5arrayIPcLm1EEEEviT0_T1_
		.amdhsa_group_segment_fixed_size 0
		.amdhsa_private_segment_fixed_size 0
		.amdhsa_kernarg_size 16
		.amdhsa_user_sgpr_count 6
		.amdhsa_user_sgpr_private_segment_buffer 1
		.amdhsa_user_sgpr_dispatch_ptr 0
		.amdhsa_user_sgpr_queue_ptr 0
		.amdhsa_user_sgpr_kernarg_segment_ptr 1
		.amdhsa_user_sgpr_dispatch_id 0
		.amdhsa_user_sgpr_flat_scratch_init 0
		.amdhsa_user_sgpr_kernarg_preload_length 0
		.amdhsa_user_sgpr_kernarg_preload_offset 0
		.amdhsa_user_sgpr_private_segment_size 0
		.amdhsa_uses_dynamic_stack 0
		.amdhsa_system_sgpr_private_segment_wavefront_offset 0
		.amdhsa_system_sgpr_workgroup_id_x 1
		.amdhsa_system_sgpr_workgroup_id_y 0
		.amdhsa_system_sgpr_workgroup_id_z 0
		.amdhsa_system_sgpr_workgroup_info 0
		.amdhsa_system_vgpr_workitem_id 0
		.amdhsa_next_free_vgpr 4
		.amdhsa_next_free_sgpr 9
		.amdhsa_accum_offset 4
		.amdhsa_reserve_vcc 1
		.amdhsa_reserve_flat_scratch 0
		.amdhsa_float_round_mode_32 0
		.amdhsa_float_round_mode_16_64 0
		.amdhsa_float_denorm_mode_32 3
		.amdhsa_float_denorm_mode_16_64 3
		.amdhsa_dx10_clamp 1
		.amdhsa_ieee_mode 1
		.amdhsa_fp16_overflow 0
		.amdhsa_tg_split 0
		.amdhsa_exception_fp_ieee_invalid_op 0
		.amdhsa_exception_fp_denorm_src 0
		.amdhsa_exception_fp_ieee_div_zero 0
		.amdhsa_exception_fp_ieee_overflow 0
		.amdhsa_exception_fp_ieee_underflow 0
		.amdhsa_exception_fp_ieee_inexact 0
		.amdhsa_exception_int_div_zero 0
	.end_amdhsa_kernel
	.section	.text._ZN2at6native29vectorized_elementwise_kernelILi2ENS0_11FillFunctorIN3c107complexINS3_4HalfEEEEESt5arrayIPcLm1EEEEviT0_T1_,"axG",@progbits,_ZN2at6native29vectorized_elementwise_kernelILi2ENS0_11FillFunctorIN3c107complexINS3_4HalfEEEEESt5arrayIPcLm1EEEEviT0_T1_,comdat
.Lfunc_end75:
	.size	_ZN2at6native29vectorized_elementwise_kernelILi2ENS0_11FillFunctorIN3c107complexINS3_4HalfEEEEESt5arrayIPcLm1EEEEviT0_T1_, .Lfunc_end75-_ZN2at6native29vectorized_elementwise_kernelILi2ENS0_11FillFunctorIN3c107complexINS3_4HalfEEEEESt5arrayIPcLm1EEEEviT0_T1_
                                        ; -- End function
	.section	.AMDGPU.csdata,"",@progbits
; Kernel info:
; codeLenInByte = 396
; NumSgprs: 13
; NumVgprs: 4
; NumAgprs: 0
; TotalNumVgprs: 4
; ScratchSize: 0
; MemoryBound: 0
; FloatMode: 240
; IeeeMode: 1
; LDSByteSize: 0 bytes/workgroup (compile time only)
; SGPRBlocks: 1
; VGPRBlocks: 0
; NumSGPRsForWavesPerEU: 13
; NumVGPRsForWavesPerEU: 4
; AccumOffset: 4
; Occupancy: 8
; WaveLimiterHint : 1
; COMPUTE_PGM_RSRC2:SCRATCH_EN: 0
; COMPUTE_PGM_RSRC2:USER_SGPR: 6
; COMPUTE_PGM_RSRC2:TRAP_HANDLER: 0
; COMPUTE_PGM_RSRC2:TGID_X_EN: 1
; COMPUTE_PGM_RSRC2:TGID_Y_EN: 0
; COMPUTE_PGM_RSRC2:TGID_Z_EN: 0
; COMPUTE_PGM_RSRC2:TIDIG_COMP_CNT: 0
; COMPUTE_PGM_RSRC3_GFX90A:ACCUM_OFFSET: 0
; COMPUTE_PGM_RSRC3_GFX90A:TG_SPLIT: 0
	.section	.text._ZN2at6native27unrolled_elementwise_kernelINS0_11FillFunctorIN3c107complexINS3_4HalfEEEEESt5arrayIPcLm1EELi4E23TrivialOffsetCalculatorILi0EjESB_ILi1EjENS0_6memory15LoadWithoutCastENSE_16StoreWithoutCastEEEviT_T0_T2_T3_T4_T5_,"axG",@progbits,_ZN2at6native27unrolled_elementwise_kernelINS0_11FillFunctorIN3c107complexINS3_4HalfEEEEESt5arrayIPcLm1EELi4E23TrivialOffsetCalculatorILi0EjESB_ILi1EjENS0_6memory15LoadWithoutCastENSE_16StoreWithoutCastEEEviT_T0_T2_T3_T4_T5_,comdat
	.protected	_ZN2at6native27unrolled_elementwise_kernelINS0_11FillFunctorIN3c107complexINS3_4HalfEEEEESt5arrayIPcLm1EELi4E23TrivialOffsetCalculatorILi0EjESB_ILi1EjENS0_6memory15LoadWithoutCastENSE_16StoreWithoutCastEEEviT_T0_T2_T3_T4_T5_ ; -- Begin function _ZN2at6native27unrolled_elementwise_kernelINS0_11FillFunctorIN3c107complexINS3_4HalfEEEEESt5arrayIPcLm1EELi4E23TrivialOffsetCalculatorILi0EjESB_ILi1EjENS0_6memory15LoadWithoutCastENSE_16StoreWithoutCastEEEviT_T0_T2_T3_T4_T5_
	.globl	_ZN2at6native27unrolled_elementwise_kernelINS0_11FillFunctorIN3c107complexINS3_4HalfEEEEESt5arrayIPcLm1EELi4E23TrivialOffsetCalculatorILi0EjESB_ILi1EjENS0_6memory15LoadWithoutCastENSE_16StoreWithoutCastEEEviT_T0_T2_T3_T4_T5_
	.p2align	8
	.type	_ZN2at6native27unrolled_elementwise_kernelINS0_11FillFunctorIN3c107complexINS3_4HalfEEEEESt5arrayIPcLm1EELi4E23TrivialOffsetCalculatorILi0EjESB_ILi1EjENS0_6memory15LoadWithoutCastENSE_16StoreWithoutCastEEEviT_T0_T2_T3_T4_T5_,@function
_ZN2at6native27unrolled_elementwise_kernelINS0_11FillFunctorIN3c107complexINS3_4HalfEEEEESt5arrayIPcLm1EELi4E23TrivialOffsetCalculatorILi0EjESB_ILi1EjENS0_6memory15LoadWithoutCastENSE_16StoreWithoutCastEEEviT_T0_T2_T3_T4_T5_: ; @_ZN2at6native27unrolled_elementwise_kernelINS0_11FillFunctorIN3c107complexINS3_4HalfEEEEESt5arrayIPcLm1EELi4E23TrivialOffsetCalculatorILi0EjESB_ILi1EjENS0_6memory15LoadWithoutCastENSE_16StoreWithoutCastEEEviT_T0_T2_T3_T4_T5_
; %bb.0:
	s_load_dwordx4 s[0:3], s[4:5], 0x0
	s_lshl_b32 s6, s6, 10
	s_waitcnt lgkmcnt(0)
	s_sub_i32 s0, s0, s6
	v_cmp_gt_i32_e32 vcc, s0, v0
	s_and_saveexec_b64 s[4:5], vcc
	s_cbranch_execnz .LBB76_5
; %bb.1:
	s_or_b64 exec, exec, s[4:5]
	v_cmp_gt_i32_e32 vcc, s0, v0
	s_and_saveexec_b64 s[4:5], vcc
	s_cbranch_execnz .LBB76_6
.LBB76_2:
	s_or_b64 exec, exec, s[4:5]
	v_cmp_gt_i32_e32 vcc, s0, v0
	s_and_saveexec_b64 s[4:5], vcc
	s_cbranch_execnz .LBB76_7
.LBB76_3:
	s_or_b64 exec, exec, s[4:5]
	v_cmp_gt_i32_e32 vcc, s0, v0
	s_and_saveexec_b64 s[4:5], vcc
	s_cbranch_execnz .LBB76_8
.LBB76_4:
	s_endpgm
.LBB76_5:
	v_or_b32_e32 v2, s6, v0
	v_mov_b32_e32 v3, 0
	v_lshlrev_b64 v[2:3], 2, v[2:3]
	v_mov_b32_e32 v1, s3
	v_add_co_u32_e32 v2, vcc, s2, v2
	v_addc_co_u32_e32 v3, vcc, v1, v3, vcc
	v_or_b32_e32 v0, 0x100, v0
	v_mov_b32_e32 v1, s1
	global_store_dword v[2:3], v1, off
	s_or_b64 exec, exec, s[4:5]
	v_cmp_gt_i32_e32 vcc, s0, v0
	s_and_saveexec_b64 s[4:5], vcc
	s_cbranch_execz .LBB76_2
.LBB76_6:
	v_add_u32_e32 v2, 0x100, v0
	v_add_u32_e32 v0, s6, v0
	v_mov_b32_e32 v1, 0
	v_lshlrev_b64 v[0:1], 2, v[0:1]
	v_mov_b32_e32 v3, s3
	v_add_co_u32_e32 v0, vcc, s2, v0
	v_addc_co_u32_e32 v1, vcc, v3, v1, vcc
	v_mov_b32_e32 v3, s1
	global_store_dword v[0:1], v3, off
	v_mov_b32_e32 v0, v2
	s_or_b64 exec, exec, s[4:5]
	v_cmp_gt_i32_e32 vcc, s0, v0
	s_and_saveexec_b64 s[4:5], vcc
	s_cbranch_execz .LBB76_3
.LBB76_7:
	v_add_u32_e32 v2, 0x100, v0
	v_add_u32_e32 v0, s6, v0
	v_mov_b32_e32 v1, 0
	v_lshlrev_b64 v[0:1], 2, v[0:1]
	v_mov_b32_e32 v3, s3
	v_add_co_u32_e32 v0, vcc, s2, v0
	v_addc_co_u32_e32 v1, vcc, v3, v1, vcc
	v_mov_b32_e32 v3, s1
	global_store_dword v[0:1], v3, off
	v_mov_b32_e32 v0, v2
	s_or_b64 exec, exec, s[4:5]
	v_cmp_gt_i32_e32 vcc, s0, v0
	s_and_saveexec_b64 s[4:5], vcc
	s_cbranch_execz .LBB76_4
.LBB76_8:
	v_add_u32_e32 v0, s6, v0
	v_mov_b32_e32 v1, 0
	v_lshlrev_b64 v[0:1], 2, v[0:1]
	v_mov_b32_e32 v2, s3
	v_add_co_u32_e32 v0, vcc, s2, v0
	v_addc_co_u32_e32 v1, vcc, v2, v1, vcc
	v_mov_b32_e32 v2, s1
	global_store_dword v[0:1], v2, off
	s_endpgm
	.section	.rodata,"a",@progbits
	.p2align	6, 0x0
	.amdhsa_kernel _ZN2at6native27unrolled_elementwise_kernelINS0_11FillFunctorIN3c107complexINS3_4HalfEEEEESt5arrayIPcLm1EELi4E23TrivialOffsetCalculatorILi0EjESB_ILi1EjENS0_6memory15LoadWithoutCastENSE_16StoreWithoutCastEEEviT_T0_T2_T3_T4_T5_
		.amdhsa_group_segment_fixed_size 0
		.amdhsa_private_segment_fixed_size 0
		.amdhsa_kernarg_size 20
		.amdhsa_user_sgpr_count 6
		.amdhsa_user_sgpr_private_segment_buffer 1
		.amdhsa_user_sgpr_dispatch_ptr 0
		.amdhsa_user_sgpr_queue_ptr 0
		.amdhsa_user_sgpr_kernarg_segment_ptr 1
		.amdhsa_user_sgpr_dispatch_id 0
		.amdhsa_user_sgpr_flat_scratch_init 0
		.amdhsa_user_sgpr_kernarg_preload_length 0
		.amdhsa_user_sgpr_kernarg_preload_offset 0
		.amdhsa_user_sgpr_private_segment_size 0
		.amdhsa_uses_dynamic_stack 0
		.amdhsa_system_sgpr_private_segment_wavefront_offset 0
		.amdhsa_system_sgpr_workgroup_id_x 1
		.amdhsa_system_sgpr_workgroup_id_y 0
		.amdhsa_system_sgpr_workgroup_id_z 0
		.amdhsa_system_sgpr_workgroup_info 0
		.amdhsa_system_vgpr_workitem_id 0
		.amdhsa_next_free_vgpr 4
		.amdhsa_next_free_sgpr 7
		.amdhsa_accum_offset 4
		.amdhsa_reserve_vcc 1
		.amdhsa_reserve_flat_scratch 0
		.amdhsa_float_round_mode_32 0
		.amdhsa_float_round_mode_16_64 0
		.amdhsa_float_denorm_mode_32 3
		.amdhsa_float_denorm_mode_16_64 3
		.amdhsa_dx10_clamp 1
		.amdhsa_ieee_mode 1
		.amdhsa_fp16_overflow 0
		.amdhsa_tg_split 0
		.amdhsa_exception_fp_ieee_invalid_op 0
		.amdhsa_exception_fp_denorm_src 0
		.amdhsa_exception_fp_ieee_div_zero 0
		.amdhsa_exception_fp_ieee_overflow 0
		.amdhsa_exception_fp_ieee_underflow 0
		.amdhsa_exception_fp_ieee_inexact 0
		.amdhsa_exception_int_div_zero 0
	.end_amdhsa_kernel
	.section	.text._ZN2at6native27unrolled_elementwise_kernelINS0_11FillFunctorIN3c107complexINS3_4HalfEEEEESt5arrayIPcLm1EELi4E23TrivialOffsetCalculatorILi0EjESB_ILi1EjENS0_6memory15LoadWithoutCastENSE_16StoreWithoutCastEEEviT_T0_T2_T3_T4_T5_,"axG",@progbits,_ZN2at6native27unrolled_elementwise_kernelINS0_11FillFunctorIN3c107complexINS3_4HalfEEEEESt5arrayIPcLm1EELi4E23TrivialOffsetCalculatorILi0EjESB_ILi1EjENS0_6memory15LoadWithoutCastENSE_16StoreWithoutCastEEEviT_T0_T2_T3_T4_T5_,comdat
.Lfunc_end76:
	.size	_ZN2at6native27unrolled_elementwise_kernelINS0_11FillFunctorIN3c107complexINS3_4HalfEEEEESt5arrayIPcLm1EELi4E23TrivialOffsetCalculatorILi0EjESB_ILi1EjENS0_6memory15LoadWithoutCastENSE_16StoreWithoutCastEEEviT_T0_T2_T3_T4_T5_, .Lfunc_end76-_ZN2at6native27unrolled_elementwise_kernelINS0_11FillFunctorIN3c107complexINS3_4HalfEEEEESt5arrayIPcLm1EELi4E23TrivialOffsetCalculatorILi0EjESB_ILi1EjENS0_6memory15LoadWithoutCastENSE_16StoreWithoutCastEEEviT_T0_T2_T3_T4_T5_
                                        ; -- End function
	.section	.AMDGPU.csdata,"",@progbits
; Kernel info:
; codeLenInByte = 328
; NumSgprs: 11
; NumVgprs: 4
; NumAgprs: 0
; TotalNumVgprs: 4
; ScratchSize: 0
; MemoryBound: 0
; FloatMode: 240
; IeeeMode: 1
; LDSByteSize: 0 bytes/workgroup (compile time only)
; SGPRBlocks: 1
; VGPRBlocks: 0
; NumSGPRsForWavesPerEU: 11
; NumVGPRsForWavesPerEU: 4
; AccumOffset: 4
; Occupancy: 8
; WaveLimiterHint : 0
; COMPUTE_PGM_RSRC2:SCRATCH_EN: 0
; COMPUTE_PGM_RSRC2:USER_SGPR: 6
; COMPUTE_PGM_RSRC2:TRAP_HANDLER: 0
; COMPUTE_PGM_RSRC2:TGID_X_EN: 1
; COMPUTE_PGM_RSRC2:TGID_Y_EN: 0
; COMPUTE_PGM_RSRC2:TGID_Z_EN: 0
; COMPUTE_PGM_RSRC2:TIDIG_COMP_CNT: 0
; COMPUTE_PGM_RSRC3_GFX90A:ACCUM_OFFSET: 0
; COMPUTE_PGM_RSRC3_GFX90A:TG_SPLIT: 0
	.section	.text._ZN2at6native32elementwise_kernel_manual_unrollILi128ELi4EZNS0_22gpu_kernel_impl_nocastINS0_11FillFunctorIN3c107complexINS4_4HalfEEEEEEEvRNS_18TensorIteratorBaseERKT_EUlibE_EEviT1_,"axG",@progbits,_ZN2at6native32elementwise_kernel_manual_unrollILi128ELi4EZNS0_22gpu_kernel_impl_nocastINS0_11FillFunctorIN3c107complexINS4_4HalfEEEEEEEvRNS_18TensorIteratorBaseERKT_EUlibE_EEviT1_,comdat
	.protected	_ZN2at6native32elementwise_kernel_manual_unrollILi128ELi4EZNS0_22gpu_kernel_impl_nocastINS0_11FillFunctorIN3c107complexINS4_4HalfEEEEEEEvRNS_18TensorIteratorBaseERKT_EUlibE_EEviT1_ ; -- Begin function _ZN2at6native32elementwise_kernel_manual_unrollILi128ELi4EZNS0_22gpu_kernel_impl_nocastINS0_11FillFunctorIN3c107complexINS4_4HalfEEEEEEEvRNS_18TensorIteratorBaseERKT_EUlibE_EEviT1_
	.globl	_ZN2at6native32elementwise_kernel_manual_unrollILi128ELi4EZNS0_22gpu_kernel_impl_nocastINS0_11FillFunctorIN3c107complexINS4_4HalfEEEEEEEvRNS_18TensorIteratorBaseERKT_EUlibE_EEviT1_
	.p2align	8
	.type	_ZN2at6native32elementwise_kernel_manual_unrollILi128ELi4EZNS0_22gpu_kernel_impl_nocastINS0_11FillFunctorIN3c107complexINS4_4HalfEEEEEEEvRNS_18TensorIteratorBaseERKT_EUlibE_EEviT1_,@function
_ZN2at6native32elementwise_kernel_manual_unrollILi128ELi4EZNS0_22gpu_kernel_impl_nocastINS0_11FillFunctorIN3c107complexINS4_4HalfEEEEEEEvRNS_18TensorIteratorBaseERKT_EUlibE_EEviT1_: ; @_ZN2at6native32elementwise_kernel_manual_unrollILi128ELi4EZNS0_22gpu_kernel_impl_nocastINS0_11FillFunctorIN3c107complexINS4_4HalfEEEEEEEvRNS_18TensorIteratorBaseERKT_EUlibE_EEviT1_
; %bb.0:
	s_load_dword s48, s[4:5], 0x0
	s_load_dword s33, s[4:5], 0x8
	s_or_b32 s4, s4, 8
	v_lshl_or_b32 v4, s6, 9, v0
	v_or_b32_e32 v8, 0x180, v4
	s_waitcnt lgkmcnt(0)
	v_cmp_le_i32_e32 vcc, s48, v8
	s_add_i32 s46, s33, -1
	s_cmp_gt_u32 s46, 1
	s_cselect_b64 s[6:7], -1, 0
	s_and_saveexec_b64 s[0:1], vcc
	s_xor_b64 s[24:25], exec, s[0:1]
	s_cbranch_execz .LBB77_7
; %bb.1:
	s_load_dwordx4 s[0:3], s[4:5], 0x4
	s_load_dwordx2 s[30:31], s[4:5], 0x14
	s_load_dwordx2 s[28:29], s[4:5], 0xc4
	;; [unrolled: 1-line block ×3, first 2 shown]
	s_load_dword s47, s[4:5], 0x110
	s_cmp_lg_u32 s33, 0
	s_cselect_b64 s[38:39], -1, 0
	s_add_u32 s36, s4, 0xc4
	s_addc_u32 s37, s5, 0
	s_min_u32 s49, s46, 15
	s_cmp_gt_u32 s33, 1
	s_cselect_b64 s[34:35], -1, 0
	v_cmp_gt_i32_e32 vcc, s48, v4
	s_and_saveexec_b64 s[40:41], vcc
	s_cbranch_execz .LBB77_14
; %bb.2:
	s_andn2_b64 vcc, exec, s[6:7]
	s_cbranch_vccnz .LBB77_21
; %bb.3:
	s_andn2_b64 vcc, exec, s[38:39]
	s_cbranch_vccnz .LBB77_69
; %bb.4:
	s_add_i32 s51, s49, 1
	s_mov_b32 s50, 0
	s_cmp_eq_u32 s46, 2
	v_mov_b32_e32 v0, 0
	s_cbranch_scc1 .LBB77_71
; %bb.5:
	s_and_b32 s50, s51, 28
	s_mov_b32 s52, 0
	v_mov_b32_e32 v0, 0
	s_mov_b64 s[42:43], s[4:5]
	s_mov_b64 s[44:45], s[36:37]
	v_mov_b32_e32 v2, v4
.LBB77_6:                               ; =>This Inner Loop Header: Depth=1
	s_load_dwordx8 s[8:15], s[42:43], 0x4
	s_load_dwordx4 s[16:19], s[42:43], 0x24
	s_load_dwordx4 s[20:23], s[44:45], 0x0
	s_add_u32 s42, s42, 48
	s_addc_u32 s43, s43, 0
	s_waitcnt lgkmcnt(0)
	v_mul_hi_u32 v1, s9, v2
	v_add_u32_e32 v1, v2, v1
	v_lshrrev_b32_e32 v1, s10, v1
	v_mul_lo_u32 v3, v1, s8
	v_mul_hi_u32 v5, s12, v1
	v_sub_u32_e32 v2, v2, v3
	v_add_u32_e32 v3, v1, v5
	v_lshrrev_b32_e32 v3, s13, v3
	v_mul_lo_u32 v5, v3, s11
	v_mul_hi_u32 v6, s15, v3
	v_sub_u32_e32 v1, v1, v5
	v_add_u32_e32 v5, v3, v6
	v_mul_lo_u32 v2, v2, s20
	v_mul_lo_u32 v1, v1, s21
	v_lshrrev_b32_e32 v5, s16, v5
	v_add3_u32 v0, v2, v0, v1
	v_mul_hi_u32 v2, s18, v5
	v_add_u32_e32 v2, v5, v2
	v_mul_lo_u32 v1, v5, s14
	v_lshrrev_b32_e32 v2, s19, v2
	s_add_i32 s52, s52, 4
	v_sub_u32_e32 v1, v3, v1
	v_mul_lo_u32 v3, v2, s17
	s_add_u32 s44, s44, 16
	v_sub_u32_e32 v3, v5, v3
	s_addc_u32 s45, s45, 0
	v_mul_lo_u32 v1, v1, s22
	v_mul_lo_u32 v3, v3, s23
	s_cmp_lg_u32 s50, s52
	v_add3_u32 v0, v1, v0, v3
	s_cbranch_scc1 .LBB77_6
	s_branch .LBB77_72
.LBB77_7:
	s_andn2_saveexec_b64 s[0:1], s[24:25]
	s_cbranch_execz .LBB77_97
.LBB77_8:
	v_cndmask_b32_e64 v0, 0, 1, s[6:7]
	v_cmp_ne_u32_e64 s[0:1], 1, v0
	s_andn2_b64 vcc, exec, s[6:7]
	s_cbranch_vccnz .LBB77_20
; %bb.9:
	s_mov_b32 s24, 0
	s_cmp_eq_u32 s33, 0
	v_mov_b32_e32 v0, 0
	s_cbranch_scc1 .LBB77_26
; %bb.10:
	s_min_u32 s25, s46, 15
	s_add_i32 s25, s25, 1
	s_cmp_eq_u32 s46, 2
	v_mov_b32_e32 v0, 0
	s_cbranch_scc1 .LBB77_23
; %bb.11:
	s_add_u32 s2, s4, 0xc4
	s_addc_u32 s3, s5, 0
	s_and_b32 s24, s25, 28
	s_mov_b32 s26, 0
	v_mov_b32_e32 v0, 0
	s_mov_b64 s[6:7], s[4:5]
	v_mov_b32_e32 v2, v4
.LBB77_12:                              ; =>This Inner Loop Header: Depth=1
	s_load_dwordx8 s[8:15], s[6:7], 0x4
	s_load_dwordx4 s[16:19], s[6:7], 0x24
	s_load_dwordx4 s[20:23], s[2:3], 0x0
	s_add_u32 s6, s6, 48
	s_addc_u32 s7, s7, 0
	s_waitcnt lgkmcnt(0)
	v_mul_hi_u32 v1, s9, v2
	v_add_u32_e32 v1, v2, v1
	v_lshrrev_b32_e32 v1, s10, v1
	v_mul_lo_u32 v3, v1, s8
	v_mul_hi_u32 v5, s12, v1
	v_sub_u32_e32 v2, v2, v3
	v_add_u32_e32 v3, v1, v5
	v_lshrrev_b32_e32 v3, s13, v3
	v_mul_lo_u32 v5, v3, s11
	v_mul_hi_u32 v6, s15, v3
	v_sub_u32_e32 v1, v1, v5
	v_add_u32_e32 v5, v3, v6
	v_mul_lo_u32 v2, v2, s20
	v_mul_lo_u32 v1, v1, s21
	v_lshrrev_b32_e32 v5, s16, v5
	v_add3_u32 v0, v2, v0, v1
	v_mul_hi_u32 v2, s18, v5
	v_add_u32_e32 v2, v5, v2
	v_mul_lo_u32 v1, v5, s14
	v_lshrrev_b32_e32 v2, s19, v2
	s_add_i32 s26, s26, 4
	v_sub_u32_e32 v1, v3, v1
	v_mul_lo_u32 v3, v2, s17
	s_add_u32 s2, s2, 16
	v_sub_u32_e32 v3, v5, v3
	s_addc_u32 s3, s3, 0
	v_mul_lo_u32 v1, v1, s22
	v_mul_lo_u32 v3, v3, s23
	s_cmp_lg_u32 s24, s26
	v_add3_u32 v0, v1, v0, v3
	s_cbranch_scc1 .LBB77_12
; %bb.13:
	s_and_b32 s8, s25, 3
	s_cmp_eq_u32 s8, 0
	s_cbranch_scc0 .LBB77_24
	s_branch .LBB77_26
.LBB77_14:
	s_or_b64 exec, exec, s[40:41]
	v_cmp_gt_i32_e32 vcc, s48, v4
	s_and_saveexec_b64 s[40:41], vcc
	s_cbranch_execz .LBB77_79
.LBB77_15:
	s_andn2_b64 vcc, exec, s[6:7]
	s_cbranch_vccnz .LBB77_22
; %bb.16:
	s_andn2_b64 vcc, exec, s[38:39]
	s_cbranch_vccnz .LBB77_70
; %bb.17:
	s_add_i32 s51, s49, 1
	s_mov_b32 s50, 0
	s_cmp_eq_u32 s46, 2
	v_mov_b32_e32 v0, 0
	s_cbranch_scc1 .LBB77_87
; %bb.18:
	s_and_b32 s50, s51, 28
	s_mov_b32 s52, 0
	v_mov_b32_e32 v0, 0
	s_mov_b64 s[42:43], s[4:5]
	s_mov_b64 s[44:45], s[36:37]
	v_mov_b32_e32 v2, v4
.LBB77_19:                              ; =>This Inner Loop Header: Depth=1
	s_load_dwordx8 s[8:15], s[42:43], 0x4
	s_load_dwordx4 s[16:19], s[42:43], 0x24
	s_load_dwordx4 s[20:23], s[44:45], 0x0
	s_add_u32 s42, s42, 48
	s_addc_u32 s43, s43, 0
	s_waitcnt lgkmcnt(0)
	v_mul_hi_u32 v1, s9, v2
	v_add_u32_e32 v1, v2, v1
	v_lshrrev_b32_e32 v1, s10, v1
	v_mul_lo_u32 v3, v1, s8
	v_mul_hi_u32 v5, s12, v1
	v_sub_u32_e32 v2, v2, v3
	v_add_u32_e32 v3, v1, v5
	v_lshrrev_b32_e32 v3, s13, v3
	v_mul_lo_u32 v5, v3, s11
	v_mul_hi_u32 v6, s15, v3
	v_sub_u32_e32 v1, v1, v5
	v_add_u32_e32 v5, v3, v6
	v_mul_lo_u32 v2, v2, s20
	v_mul_lo_u32 v1, v1, s21
	v_lshrrev_b32_e32 v5, s16, v5
	v_add3_u32 v0, v2, v0, v1
	v_mul_hi_u32 v2, s18, v5
	v_add_u32_e32 v2, v5, v2
	v_mul_lo_u32 v1, v5, s14
	v_lshrrev_b32_e32 v2, s19, v2
	s_add_i32 s52, s52, 4
	v_sub_u32_e32 v1, v3, v1
	v_mul_lo_u32 v3, v2, s17
	s_add_u32 s44, s44, 16
	v_sub_u32_e32 v3, v5, v3
	s_addc_u32 s45, s45, 0
	v_mul_lo_u32 v1, v1, s22
	v_mul_lo_u32 v3, v3, s23
	s_cmp_eq_u32 s50, s52
	v_add3_u32 v0, v1, v0, v3
	s_cbranch_scc0 .LBB77_19
	s_branch .LBB77_88
.LBB77_20:
                                        ; implicit-def: $vgpr0
	s_branch .LBB77_27
.LBB77_21:
                                        ; implicit-def: $vgpr0
	s_branch .LBB77_76
.LBB77_22:
                                        ; implicit-def: $vgpr0
	s_branch .LBB77_92
.LBB77_23:
	v_mov_b32_e32 v2, v4
	s_and_b32 s8, s25, 3
	s_cmp_eq_u32 s8, 0
	s_cbranch_scc1 .LBB77_26
.LBB77_24:
	s_lshl_b32 s2, s24, 2
	s_add_u32 s2, s2, s4
	s_addc_u32 s3, 0, s5
	s_add_u32 s2, s2, 0xc4
	s_addc_u32 s3, s3, 0
	s_mul_i32 s6, s24, 12
	s_add_u32 s6, s4, s6
	s_addc_u32 s7, 0, s5
.LBB77_25:                              ; =>This Inner Loop Header: Depth=1
	s_load_dwordx2 s[10:11], s[6:7], 0x4
	s_load_dword s9, s[6:7], 0xc
	s_load_dword s12, s[2:3], 0x0
	s_add_u32 s6, s6, 12
	s_addc_u32 s7, s7, 0
	s_waitcnt lgkmcnt(0)
	v_mul_hi_u32 v1, s11, v2
	v_add_u32_e32 v1, v2, v1
	v_lshrrev_b32_e32 v1, s9, v1
	s_add_u32 s2, s2, 4
	v_mul_lo_u32 v3, v1, s10
	s_addc_u32 s3, s3, 0
	s_add_i32 s8, s8, -1
	v_sub_u32_e32 v3, v2, v3
	s_cmp_lg_u32 s8, 0
	v_mov_b32_e32 v2, v1
	v_mad_u64_u32 v[0:1], s[10:11], v3, s12, v[0:1]
	s_cbranch_scc1 .LBB77_25
.LBB77_26:
	s_cbranch_execnz .LBB77_29
.LBB77_27:
	s_load_dwordx4 s[8:11], s[4:5], 0x4
	s_load_dword s2, s[4:5], 0xc4
	s_cmp_lt_u32 s33, 2
	s_waitcnt lgkmcnt(0)
	v_mul_hi_u32 v0, s9, v4
	v_add_u32_e32 v0, v4, v0
	v_lshrrev_b32_e32 v1, s10, v0
	v_mul_lo_u32 v0, v1, s8
	v_sub_u32_e32 v0, v4, v0
	v_mul_lo_u32 v0, v0, s2
	s_cbranch_scc1 .LBB77_29
; %bb.28:
	s_load_dwordx4 s[8:11], s[4:5], 0x10
	s_load_dword s2, s[4:5], 0xc8
	s_waitcnt lgkmcnt(0)
	v_mul_hi_u32 v2, s9, v1
	v_add_u32_e32 v2, v1, v2
	v_lshrrev_b32_e32 v2, s10, v2
	v_mul_lo_u32 v2, v2, s8
	v_sub_u32_e32 v1, v1, v2
	v_mad_u64_u32 v[0:1], s[2:3], v1, s2, v[0:1]
.LBB77_29:
	s_and_b64 vcc, exec, s[0:1]
	v_add_u32_e32 v1, 0x80, v4
	s_cbranch_vccnz .LBB77_35
; %bb.30:
	s_mov_b32 s24, 0
	s_cmp_eq_u32 s33, 0
	v_mov_b32_e32 v2, 0
	s_cbranch_scc1 .LBB77_39
; %bb.31:
	s_min_u32 s25, s46, 15
	s_add_i32 s25, s25, 1
	s_cmp_eq_u32 s46, 2
	v_mov_b32_e32 v2, 0
	s_cbranch_scc1 .LBB77_36
; %bb.32:
	s_add_u32 s2, s4, 0xc4
	s_addc_u32 s3, s5, 0
	s_and_b32 s24, s25, 28
	s_mov_b32 s26, 0
	v_mov_b32_e32 v2, 0
	s_mov_b64 s[6:7], s[4:5]
	v_mov_b32_e32 v5, v1
.LBB77_33:                              ; =>This Inner Loop Header: Depth=1
	s_load_dwordx8 s[8:15], s[6:7], 0x4
	s_load_dwordx4 s[16:19], s[6:7], 0x24
	s_load_dwordx4 s[20:23], s[2:3], 0x0
	s_add_u32 s6, s6, 48
	s_addc_u32 s7, s7, 0
	s_waitcnt lgkmcnt(0)
	v_mul_hi_u32 v3, s9, v5
	v_add_u32_e32 v3, v5, v3
	v_lshrrev_b32_e32 v3, s10, v3
	v_mul_lo_u32 v6, v3, s8
	v_mul_hi_u32 v7, s12, v3
	v_sub_u32_e32 v5, v5, v6
	v_add_u32_e32 v6, v3, v7
	v_lshrrev_b32_e32 v6, s13, v6
	v_mul_lo_u32 v7, v6, s11
	v_mul_hi_u32 v9, s15, v6
	v_sub_u32_e32 v3, v3, v7
	v_add_u32_e32 v7, v6, v9
	v_mul_lo_u32 v5, v5, s20
	v_mul_lo_u32 v3, v3, s21
	v_lshrrev_b32_e32 v7, s16, v7
	v_add3_u32 v2, v5, v2, v3
	v_mul_hi_u32 v5, s18, v7
	v_add_u32_e32 v5, v7, v5
	v_mul_lo_u32 v3, v7, s14
	v_lshrrev_b32_e32 v5, s19, v5
	s_add_i32 s26, s26, 4
	v_sub_u32_e32 v3, v6, v3
	v_mul_lo_u32 v6, v5, s17
	s_add_u32 s2, s2, 16
	v_sub_u32_e32 v6, v7, v6
	s_addc_u32 s3, s3, 0
	v_mul_lo_u32 v3, v3, s22
	v_mul_lo_u32 v6, v6, s23
	s_cmp_lg_u32 s24, s26
	v_add3_u32 v2, v3, v2, v6
	s_cbranch_scc1 .LBB77_33
; %bb.34:
	s_and_b32 s8, s25, 3
	s_cmp_eq_u32 s8, 0
	s_cbranch_scc0 .LBB77_37
	s_branch .LBB77_39
.LBB77_35:
                                        ; implicit-def: $vgpr2
	s_branch .LBB77_40
.LBB77_36:
	v_mov_b32_e32 v5, v1
	s_and_b32 s8, s25, 3
	s_cmp_eq_u32 s8, 0
	s_cbranch_scc1 .LBB77_39
.LBB77_37:
	s_lshl_b32 s2, s24, 2
	s_add_u32 s2, s2, s4
	s_addc_u32 s3, 0, s5
	s_add_u32 s2, s2, 0xc4
	s_addc_u32 s3, s3, 0
	s_mul_i32 s6, s24, 12
	s_add_u32 s6, s4, s6
	s_addc_u32 s7, 0, s5
.LBB77_38:                              ; =>This Inner Loop Header: Depth=1
	s_load_dwordx2 s[10:11], s[6:7], 0x4
	s_load_dword s9, s[6:7], 0xc
	s_load_dword s12, s[2:3], 0x0
	s_add_u32 s6, s6, 12
	s_addc_u32 s7, s7, 0
	s_waitcnt lgkmcnt(0)
	v_mul_hi_u32 v3, s11, v5
	v_add_u32_e32 v3, v5, v3
	v_lshrrev_b32_e32 v3, s9, v3
	s_add_u32 s2, s2, 4
	v_mul_lo_u32 v6, v3, s10
	s_addc_u32 s3, s3, 0
	s_add_i32 s8, s8, -1
	v_sub_u32_e32 v6, v5, v6
	s_cmp_lg_u32 s8, 0
	v_mov_b32_e32 v5, v3
	v_mad_u64_u32 v[2:3], s[10:11], v6, s12, v[2:3]
	s_cbranch_scc1 .LBB77_38
.LBB77_39:
	s_cbranch_execnz .LBB77_42
.LBB77_40:
	s_load_dwordx4 s[8:11], s[4:5], 0x4
	s_load_dword s2, s[4:5], 0xc4
	s_cmp_lt_u32 s33, 2
	s_waitcnt lgkmcnt(0)
	v_mul_hi_u32 v2, s9, v1
	v_add_u32_e32 v2, v1, v2
	v_lshrrev_b32_e32 v3, s10, v2
	v_mul_lo_u32 v2, v3, s8
	v_sub_u32_e32 v1, v1, v2
	v_mul_lo_u32 v2, v1, s2
	s_cbranch_scc1 .LBB77_42
; %bb.41:
	s_load_dwordx4 s[8:11], s[4:5], 0x10
	s_load_dword s2, s[4:5], 0xc8
	s_waitcnt lgkmcnt(0)
	v_mul_hi_u32 v1, s9, v3
	v_add_u32_e32 v1, v3, v1
	v_lshrrev_b32_e32 v1, s10, v1
	v_mul_lo_u32 v1, v1, s8
	v_sub_u32_e32 v1, v3, v1
	v_mad_u64_u32 v[2:3], s[2:3], v1, s2, v[2:3]
.LBB77_42:
	s_and_b64 vcc, exec, s[0:1]
	v_add_u32_e32 v1, 0x100, v4
	s_cbranch_vccnz .LBB77_48
; %bb.43:
	s_mov_b32 s24, 0
	s_cmp_eq_u32 s33, 0
	v_mov_b32_e32 v4, 0
	s_cbranch_scc1 .LBB77_52
; %bb.44:
	s_min_u32 s25, s46, 15
	s_add_i32 s25, s25, 1
	s_cmp_eq_u32 s46, 2
	v_mov_b32_e32 v4, 0
	s_cbranch_scc1 .LBB77_49
; %bb.45:
	s_add_u32 s2, s4, 0xc4
	s_addc_u32 s3, s5, 0
	s_and_b32 s24, s25, 28
	s_mov_b32 s26, 0
	v_mov_b32_e32 v4, 0
	s_mov_b64 s[6:7], s[4:5]
	v_mov_b32_e32 v3, v1
.LBB77_46:                              ; =>This Inner Loop Header: Depth=1
	s_load_dwordx8 s[8:15], s[6:7], 0x4
	s_load_dwordx4 s[16:19], s[6:7], 0x24
	s_load_dwordx4 s[20:23], s[2:3], 0x0
	s_add_u32 s6, s6, 48
	s_addc_u32 s7, s7, 0
	s_waitcnt lgkmcnt(0)
	v_mul_hi_u32 v5, s9, v3
	v_add_u32_e32 v5, v3, v5
	v_lshrrev_b32_e32 v5, s10, v5
	v_mul_lo_u32 v6, v5, s8
	v_mul_hi_u32 v7, s12, v5
	v_sub_u32_e32 v3, v3, v6
	v_add_u32_e32 v6, v5, v7
	v_lshrrev_b32_e32 v6, s13, v6
	v_mul_lo_u32 v7, v6, s11
	v_mul_hi_u32 v9, s15, v6
	v_sub_u32_e32 v5, v5, v7
	v_add_u32_e32 v7, v6, v9
	v_mul_lo_u32 v3, v3, s20
	v_mul_lo_u32 v5, v5, s21
	v_lshrrev_b32_e32 v7, s16, v7
	v_add3_u32 v4, v3, v4, v5
	v_mul_lo_u32 v3, v7, s14
	v_mul_hi_u32 v5, s18, v7
	v_sub_u32_e32 v3, v6, v3
	v_add_u32_e32 v5, v7, v5
	v_mul_lo_u32 v6, v3, s22
	v_lshrrev_b32_e32 v3, s19, v5
	s_add_i32 s26, s26, 4
	v_mul_lo_u32 v5, v3, s17
	s_add_u32 s2, s2, 16
	v_sub_u32_e32 v5, v7, v5
	s_addc_u32 s3, s3, 0
	v_mul_lo_u32 v5, v5, s23
	s_cmp_lg_u32 s24, s26
	v_add3_u32 v4, v6, v4, v5
	s_cbranch_scc1 .LBB77_46
; %bb.47:
	s_and_b32 s8, s25, 3
	s_cmp_eq_u32 s8, 0
	s_cbranch_scc0 .LBB77_50
	s_branch .LBB77_52
.LBB77_48:
                                        ; implicit-def: $vgpr4
	s_branch .LBB77_53
.LBB77_49:
	v_mov_b32_e32 v3, v1
	s_and_b32 s8, s25, 3
	s_cmp_eq_u32 s8, 0
	s_cbranch_scc1 .LBB77_52
.LBB77_50:
	s_lshl_b32 s2, s24, 2
	s_add_u32 s2, s2, s4
	s_addc_u32 s3, 0, s5
	s_add_u32 s2, s2, 0xc4
	s_addc_u32 s3, s3, 0
	s_mul_i32 s6, s24, 12
	s_add_u32 s6, s4, s6
	s_addc_u32 s7, 0, s5
.LBB77_51:                              ; =>This Inner Loop Header: Depth=1
	s_load_dwordx2 s[10:11], s[6:7], 0x4
	s_load_dword s9, s[6:7], 0xc
	s_load_dword s12, s[2:3], 0x0
	s_add_u32 s6, s6, 12
	s_addc_u32 s7, s7, 0
	s_waitcnt lgkmcnt(0)
	v_mul_hi_u32 v5, s11, v3
	v_add_u32_e32 v5, v3, v5
	v_lshrrev_b32_e32 v5, s9, v5
	s_add_u32 s2, s2, 4
	v_mul_lo_u32 v6, v5, s10
	s_addc_u32 s3, s3, 0
	s_add_i32 s8, s8, -1
	v_sub_u32_e32 v6, v3, v6
	s_cmp_lg_u32 s8, 0
	v_mov_b32_e32 v3, v5
	v_mad_u64_u32 v[4:5], s[10:11], v6, s12, v[4:5]
	s_cbranch_scc1 .LBB77_51
.LBB77_52:
	s_cbranch_execnz .LBB77_55
.LBB77_53:
	s_load_dwordx4 s[8:11], s[4:5], 0x4
	s_load_dword s2, s[4:5], 0xc4
	s_cmp_lt_u32 s33, 2
	s_waitcnt lgkmcnt(0)
	v_mul_hi_u32 v3, s9, v1
	v_add_u32_e32 v3, v1, v3
	v_lshrrev_b32_e32 v3, s10, v3
	v_mul_lo_u32 v4, v3, s8
	v_sub_u32_e32 v1, v1, v4
	v_mul_lo_u32 v4, v1, s2
	s_cbranch_scc1 .LBB77_55
; %bb.54:
	s_load_dwordx4 s[8:11], s[4:5], 0x10
	s_load_dword s2, s[4:5], 0xc8
	s_waitcnt lgkmcnt(0)
	v_mul_hi_u32 v1, s9, v3
	v_add_u32_e32 v1, v3, v1
	v_lshrrev_b32_e32 v1, s10, v1
	v_mul_lo_u32 v1, v1, s8
	v_sub_u32_e32 v1, v3, v1
	v_mad_u64_u32 v[4:5], s[2:3], v1, s2, v[4:5]
.LBB77_55:
	s_and_b64 vcc, exec, s[0:1]
	s_cbranch_vccnz .LBB77_61
; %bb.56:
	s_mov_b32 s22, 0
	s_cmp_eq_u32 s33, 0
	v_mov_b32_e32 v6, 0
	s_cbranch_scc1 .LBB77_65
; %bb.57:
	s_min_u32 s23, s46, 15
	s_add_i32 s23, s23, 1
	s_cmp_eq_u32 s46, 2
	v_mov_b32_e32 v6, 0
	s_cbranch_scc1 .LBB77_62
; %bb.58:
	s_add_u32 s6, s4, 0xc4
	s_addc_u32 s7, s5, 0
	s_and_b32 s22, s23, 28
	s_mov_b32 s24, 0
	v_mov_b32_e32 v6, 0
	s_mov_b64 s[20:21], s[4:5]
	v_mov_b32_e32 v1, v8
.LBB77_59:                              ; =>This Inner Loop Header: Depth=1
	s_load_dwordx8 s[8:15], s[20:21], 0x4
	s_load_dwordx4 s[0:3], s[20:21], 0x24
	s_load_dwordx4 s[16:19], s[6:7], 0x0
	s_add_u32 s20, s20, 48
	s_addc_u32 s21, s21, 0
	s_waitcnt lgkmcnt(0)
	v_mul_hi_u32 v3, s9, v1
	v_add_u32_e32 v3, v1, v3
	v_lshrrev_b32_e32 v3, s10, v3
	v_mul_lo_u32 v5, v3, s8
	v_mul_hi_u32 v7, s12, v3
	v_sub_u32_e32 v1, v1, v5
	v_add_u32_e32 v5, v3, v7
	v_lshrrev_b32_e32 v5, s13, v5
	v_mul_lo_u32 v7, v5, s11
	v_mul_hi_u32 v9, s15, v5
	v_sub_u32_e32 v3, v3, v7
	v_add_u32_e32 v7, v5, v9
	v_mul_lo_u32 v1, v1, s16
	v_mul_lo_u32 v3, v3, s17
	v_lshrrev_b32_e32 v7, s0, v7
	v_add3_u32 v3, v1, v6, v3
	v_mul_lo_u32 v1, v7, s14
	v_mul_hi_u32 v6, s2, v7
	v_sub_u32_e32 v1, v5, v1
	v_add_u32_e32 v5, v7, v6
	v_mul_lo_u32 v6, v1, s18
	v_lshrrev_b32_e32 v1, s3, v5
	s_add_i32 s24, s24, 4
	v_mul_lo_u32 v5, v1, s1
	s_add_u32 s6, s6, 16
	v_sub_u32_e32 v5, v7, v5
	s_addc_u32 s7, s7, 0
	v_mul_lo_u32 v5, v5, s19
	s_cmp_lg_u32 s22, s24
	v_add3_u32 v6, v6, v3, v5
	s_cbranch_scc1 .LBB77_59
; %bb.60:
	s_and_b32 s6, s23, 3
	s_cmp_eq_u32 s6, 0
	s_cbranch_scc0 .LBB77_63
	s_branch .LBB77_65
.LBB77_61:
                                        ; implicit-def: $vgpr6
	s_branch .LBB77_66
.LBB77_62:
	v_mov_b32_e32 v1, v8
	s_and_b32 s6, s23, 3
	s_cmp_eq_u32 s6, 0
	s_cbranch_scc1 .LBB77_65
.LBB77_63:
	s_lshl_b32 s0, s22, 2
	s_add_u32 s0, s0, s4
	s_addc_u32 s1, 0, s5
	s_add_u32 s0, s0, 0xc4
	s_addc_u32 s1, s1, 0
	s_mul_i32 s2, s22, 12
	s_add_u32 s2, s4, s2
	s_addc_u32 s3, 0, s5
.LBB77_64:                              ; =>This Inner Loop Header: Depth=1
	s_load_dwordx2 s[8:9], s[2:3], 0x4
	s_load_dword s7, s[2:3], 0xc
	s_load_dword s10, s[0:1], 0x0
	s_add_u32 s2, s2, 12
	s_addc_u32 s3, s3, 0
	s_waitcnt lgkmcnt(0)
	v_mul_hi_u32 v3, s9, v1
	v_add_u32_e32 v3, v1, v3
	v_lshrrev_b32_e32 v3, s7, v3
	s_add_u32 s0, s0, 4
	v_mul_lo_u32 v5, v3, s8
	s_addc_u32 s1, s1, 0
	s_add_i32 s6, s6, -1
	v_sub_u32_e32 v5, v1, v5
	s_cmp_lg_u32 s6, 0
	v_mov_b32_e32 v1, v3
	v_mad_u64_u32 v[6:7], s[8:9], v5, s10, v[6:7]
	s_cbranch_scc1 .LBB77_64
.LBB77_65:
	s_cbranch_execnz .LBB77_68
.LBB77_66:
	s_load_dwordx4 s[0:3], s[4:5], 0x4
	s_waitcnt lgkmcnt(0)
	s_load_dword s3, s[4:5], 0xc4
	s_cmp_lt_u32 s33, 2
	v_mul_hi_u32 v1, s1, v8
	v_add_u32_e32 v1, v8, v1
	v_lshrrev_b32_e32 v1, s2, v1
	v_mul_lo_u32 v3, v1, s0
	v_sub_u32_e32 v3, v8, v3
	s_waitcnt lgkmcnt(0)
	v_mul_lo_u32 v6, v3, s3
	s_cbranch_scc1 .LBB77_68
; %bb.67:
	s_load_dwordx4 s[0:3], s[4:5], 0x10
	s_waitcnt lgkmcnt(0)
	s_load_dword s3, s[4:5], 0xc8
	v_mul_hi_u32 v3, s1, v1
	v_add_u32_e32 v3, v1, v3
	v_lshrrev_b32_e32 v3, s2, v3
	v_mul_lo_u32 v3, v3, s0
	v_sub_u32_e32 v1, v1, v3
	s_waitcnt lgkmcnt(0)
	v_mad_u64_u32 v[6:7], s[0:1], v1, s3, v[6:7]
.LBB77_68:
	s_load_dword s2, s[4:5], 0x110
	s_load_dwordx2 s[0:1], s[4:5], 0x108
	s_waitcnt lgkmcnt(0)
	v_mov_b32_e32 v1, s2
	s_nop 0
	global_store_dword v0, v1, s[0:1]
	global_store_dword v2, v1, s[0:1]
	;; [unrolled: 1-line block ×4, first 2 shown]
	s_endpgm
.LBB77_69:
	v_mov_b32_e32 v0, 0
	s_branch .LBB77_75
.LBB77_70:
	v_mov_b32_e32 v0, 0
	s_branch .LBB77_91
.LBB77_71:
	v_mov_b32_e32 v2, v4
.LBB77_72:
	s_and_b32 s12, s51, 3
	s_cmp_eq_u32 s12, 0
	s_cbranch_scc1 .LBB77_75
; %bb.73:
	s_lshl_b32 s8, s50, 2
	s_add_u32 s8, s8, s4
	s_addc_u32 s9, s5, 0
	s_add_u32 s8, s8, 0xc4
	s_addc_u32 s9, s9, 0
	s_mul_i32 s10, s50, 12
	s_add_u32 s10, s4, s10
	s_addc_u32 s11, s5, 0
.LBB77_74:                              ; =>This Inner Loop Header: Depth=1
	s_load_dwordx2 s[14:15], s[10:11], 0x4
	s_load_dword s13, s[10:11], 0xc
	s_load_dword s16, s[8:9], 0x0
	s_add_u32 s10, s10, 12
	s_addc_u32 s11, s11, 0
	s_waitcnt lgkmcnt(0)
	v_mul_hi_u32 v1, s15, v2
	v_add_u32_e32 v1, v2, v1
	v_lshrrev_b32_e32 v1, s13, v1
	s_add_u32 s8, s8, 4
	v_mul_lo_u32 v3, v1, s14
	s_addc_u32 s9, s9, 0
	s_add_i32 s12, s12, -1
	v_sub_u32_e32 v3, v2, v3
	s_cmp_lg_u32 s12, 0
	v_mov_b32_e32 v2, v1
	v_mad_u64_u32 v[0:1], s[14:15], v3, s16, v[0:1]
	s_cbranch_scc1 .LBB77_74
.LBB77_75:
	s_cbranch_execnz .LBB77_78
.LBB77_76:
	s_waitcnt lgkmcnt(0)
	v_mul_hi_u32 v0, s1, v4
	v_add_u32_e32 v0, v4, v0
	v_lshrrev_b32_e32 v1, s2, v0
	v_mul_lo_u32 v0, v1, s0
	v_sub_u32_e32 v0, v4, v0
	s_andn2_b64 vcc, exec, s[34:35]
	v_mul_lo_u32 v0, v0, s28
	s_cbranch_vccnz .LBB77_78
; %bb.77:
	v_mul_hi_u32 v2, s30, v1
	v_add_u32_e32 v2, v1, v2
	v_lshrrev_b32_e32 v2, s31, v2
	v_mul_lo_u32 v2, v2, s3
	v_sub_u32_e32 v1, v1, v2
	v_mad_u64_u32 v[0:1], s[8:9], v1, s29, v[0:1]
.LBB77_78:
	s_waitcnt lgkmcnt(0)
	v_mov_b32_e32 v1, s47
	v_add_u32_e32 v4, 0x80, v4
	global_store_dword v0, v1, s[26:27]
	s_or_b64 exec, exec, s[40:41]
	v_cmp_gt_i32_e32 vcc, s48, v4
	s_and_saveexec_b64 s[40:41], vcc
	s_cbranch_execnz .LBB77_15
.LBB77_79:
	s_or_b64 exec, exec, s[40:41]
	v_cmp_gt_i32_e32 vcc, s48, v4
	s_and_saveexec_b64 s[40:41], vcc
	s_cbranch_execz .LBB77_95
.LBB77_80:
	s_andn2_b64 vcc, exec, s[6:7]
	s_cbranch_vccnz .LBB77_85
; %bb.81:
	s_andn2_b64 vcc, exec, s[38:39]
	s_cbranch_vccnz .LBB77_86
; %bb.82:
	s_add_i32 s51, s49, 1
	s_mov_b32 s50, 0
	s_cmp_eq_u32 s46, 2
	v_mov_b32_e32 v0, 0
	s_cbranch_scc1 .LBB77_98
; %bb.83:
	s_and_b32 s50, s51, 28
	s_mov_b32 s52, 0
	v_mov_b32_e32 v0, 0
	s_mov_b64 s[42:43], s[4:5]
	s_mov_b64 s[44:45], s[36:37]
	v_mov_b32_e32 v2, v4
.LBB77_84:                              ; =>This Inner Loop Header: Depth=1
	s_load_dwordx8 s[8:15], s[42:43], 0x4
	s_load_dwordx4 s[16:19], s[42:43], 0x24
	s_load_dwordx4 s[20:23], s[44:45], 0x0
	s_add_u32 s42, s42, 48
	s_addc_u32 s43, s43, 0
	s_waitcnt lgkmcnt(0)
	v_mul_hi_u32 v1, s9, v2
	v_add_u32_e32 v1, v2, v1
	v_lshrrev_b32_e32 v1, s10, v1
	v_mul_lo_u32 v3, v1, s8
	v_mul_hi_u32 v5, s12, v1
	v_sub_u32_e32 v2, v2, v3
	v_add_u32_e32 v3, v1, v5
	v_lshrrev_b32_e32 v3, s13, v3
	v_mul_lo_u32 v5, v3, s11
	v_mul_hi_u32 v6, s15, v3
	v_sub_u32_e32 v1, v1, v5
	v_add_u32_e32 v5, v3, v6
	v_mul_lo_u32 v2, v2, s20
	v_mul_lo_u32 v1, v1, s21
	v_lshrrev_b32_e32 v5, s16, v5
	v_add3_u32 v0, v2, v0, v1
	v_mul_hi_u32 v2, s18, v5
	v_add_u32_e32 v2, v5, v2
	v_mul_lo_u32 v1, v5, s14
	v_lshrrev_b32_e32 v2, s19, v2
	s_add_i32 s52, s52, 4
	v_sub_u32_e32 v1, v3, v1
	v_mul_lo_u32 v3, v2, s17
	s_add_u32 s44, s44, 16
	v_sub_u32_e32 v3, v5, v3
	s_addc_u32 s45, s45, 0
	v_mul_lo_u32 v1, v1, s22
	v_mul_lo_u32 v3, v3, s23
	s_cmp_eq_u32 s50, s52
	v_add3_u32 v0, v1, v0, v3
	s_cbranch_scc0 .LBB77_84
	s_branch .LBB77_99
.LBB77_85:
                                        ; implicit-def: $vgpr0
	s_branch .LBB77_103
.LBB77_86:
	v_mov_b32_e32 v0, 0
	s_branch .LBB77_102
.LBB77_87:
	v_mov_b32_e32 v2, v4
.LBB77_88:
	s_and_b32 s12, s51, 3
	s_cmp_eq_u32 s12, 0
	s_cbranch_scc1 .LBB77_91
; %bb.89:
	s_lshl_b32 s8, s50, 2
	s_add_u32 s8, s8, s4
	s_addc_u32 s9, s5, 0
	s_add_u32 s8, s8, 0xc4
	s_addc_u32 s9, s9, 0
	s_mul_i32 s10, s50, 12
	s_add_u32 s10, s4, s10
	s_addc_u32 s11, s5, 0
.LBB77_90:                              ; =>This Inner Loop Header: Depth=1
	s_load_dwordx2 s[14:15], s[10:11], 0x4
	s_load_dword s13, s[10:11], 0xc
	s_load_dword s16, s[8:9], 0x0
	s_add_u32 s10, s10, 12
	s_addc_u32 s11, s11, 0
	s_waitcnt lgkmcnt(0)
	v_mul_hi_u32 v1, s15, v2
	v_add_u32_e32 v1, v2, v1
	v_lshrrev_b32_e32 v1, s13, v1
	s_add_u32 s8, s8, 4
	v_mul_lo_u32 v3, v1, s14
	s_addc_u32 s9, s9, 0
	s_add_i32 s12, s12, -1
	v_sub_u32_e32 v3, v2, v3
	s_cmp_lg_u32 s12, 0
	v_mov_b32_e32 v2, v1
	v_mad_u64_u32 v[0:1], s[14:15], v3, s16, v[0:1]
	s_cbranch_scc1 .LBB77_90
.LBB77_91:
	s_cbranch_execnz .LBB77_94
.LBB77_92:
	s_waitcnt lgkmcnt(0)
	v_mul_hi_u32 v0, s1, v4
	v_add_u32_e32 v0, v4, v0
	v_lshrrev_b32_e32 v1, s2, v0
	v_mul_lo_u32 v0, v1, s0
	v_sub_u32_e32 v0, v4, v0
	s_andn2_b64 vcc, exec, s[34:35]
	v_mul_lo_u32 v0, v0, s28
	s_cbranch_vccnz .LBB77_94
; %bb.93:
	v_mul_hi_u32 v2, s30, v1
	v_add_u32_e32 v2, v1, v2
	v_lshrrev_b32_e32 v2, s31, v2
	v_mul_lo_u32 v2, v2, s3
	v_sub_u32_e32 v1, v1, v2
	v_mad_u64_u32 v[0:1], s[8:9], v1, s29, v[0:1]
.LBB77_94:
	s_waitcnt lgkmcnt(0)
	v_mov_b32_e32 v1, s47
	v_add_u32_e32 v4, 0x80, v4
	global_store_dword v0, v1, s[26:27]
	s_or_b64 exec, exec, s[40:41]
	v_cmp_gt_i32_e32 vcc, s48, v4
	s_and_saveexec_b64 s[40:41], vcc
	s_cbranch_execnz .LBB77_80
.LBB77_95:
	s_or_b64 exec, exec, s[40:41]
	v_cmp_gt_i32_e32 vcc, s48, v4
	s_and_saveexec_b64 s[40:41], vcc
	s_cbranch_execnz .LBB77_106
.LBB77_96:
	s_or_b64 exec, exec, s[40:41]
                                        ; implicit-def: $vgpr8
                                        ; implicit-def: $vgpr4
	s_waitcnt lgkmcnt(0)
	s_andn2_saveexec_b64 s[0:1], s[24:25]
	s_cbranch_execnz .LBB77_8
.LBB77_97:
	s_endpgm
.LBB77_98:
	v_mov_b32_e32 v2, v4
.LBB77_99:
	s_and_b32 s12, s51, 3
	s_cmp_eq_u32 s12, 0
	s_cbranch_scc1 .LBB77_102
; %bb.100:
	s_lshl_b32 s8, s50, 2
	s_add_u32 s8, s8, s4
	s_addc_u32 s9, s5, 0
	s_add_u32 s8, s8, 0xc4
	s_addc_u32 s9, s9, 0
	s_mul_i32 s10, s50, 12
	s_add_u32 s10, s4, s10
	s_addc_u32 s11, s5, 0
.LBB77_101:                             ; =>This Inner Loop Header: Depth=1
	s_load_dwordx2 s[14:15], s[10:11], 0x4
	s_load_dword s13, s[10:11], 0xc
	s_load_dword s16, s[8:9], 0x0
	s_add_u32 s10, s10, 12
	s_addc_u32 s11, s11, 0
	s_waitcnt lgkmcnt(0)
	v_mul_hi_u32 v1, s15, v2
	v_add_u32_e32 v1, v2, v1
	v_lshrrev_b32_e32 v1, s13, v1
	s_add_u32 s8, s8, 4
	v_mul_lo_u32 v3, v1, s14
	s_addc_u32 s9, s9, 0
	s_add_i32 s12, s12, -1
	v_sub_u32_e32 v3, v2, v3
	s_cmp_lg_u32 s12, 0
	v_mov_b32_e32 v2, v1
	v_mad_u64_u32 v[0:1], s[14:15], v3, s16, v[0:1]
	s_cbranch_scc1 .LBB77_101
.LBB77_102:
	s_cbranch_execnz .LBB77_105
.LBB77_103:
	s_waitcnt lgkmcnt(0)
	v_mul_hi_u32 v0, s1, v4
	v_add_u32_e32 v0, v4, v0
	v_lshrrev_b32_e32 v1, s2, v0
	v_mul_lo_u32 v0, v1, s0
	v_sub_u32_e32 v0, v4, v0
	s_andn2_b64 vcc, exec, s[34:35]
	v_mul_lo_u32 v0, v0, s28
	s_cbranch_vccnz .LBB77_105
; %bb.104:
	v_mul_hi_u32 v2, s30, v1
	v_add_u32_e32 v2, v1, v2
	v_lshrrev_b32_e32 v2, s31, v2
	v_mul_lo_u32 v2, v2, s3
	v_sub_u32_e32 v1, v1, v2
	v_mad_u64_u32 v[0:1], s[8:9], v1, s29, v[0:1]
.LBB77_105:
	s_waitcnt lgkmcnt(0)
	v_mov_b32_e32 v1, s47
	v_add_u32_e32 v4, 0x80, v4
	global_store_dword v0, v1, s[26:27]
	s_or_b64 exec, exec, s[40:41]
	v_cmp_gt_i32_e32 vcc, s48, v4
	s_and_saveexec_b64 s[40:41], vcc
	s_cbranch_execz .LBB77_96
.LBB77_106:
	s_andn2_b64 vcc, exec, s[6:7]
	s_cbranch_vccnz .LBB77_111
; %bb.107:
	s_andn2_b64 vcc, exec, s[38:39]
	s_cbranch_vccnz .LBB77_112
; %bb.108:
	s_add_i32 s49, s49, 1
	s_mov_b32 s42, 0
	s_cmp_eq_u32 s46, 2
	v_mov_b32_e32 v0, 0
	s_cbranch_scc1 .LBB77_113
; %bb.109:
	s_and_b32 s42, s49, 28
	s_mov_b32 s43, 0
	v_mov_b32_e32 v0, 0
	s_mov_b64 s[38:39], s[4:5]
	v_mov_b32_e32 v2, v4
.LBB77_110:                             ; =>This Inner Loop Header: Depth=1
	s_load_dwordx8 s[8:15], s[38:39], 0x4
	s_load_dwordx4 s[16:19], s[38:39], 0x24
	s_load_dwordx4 s[20:23], s[36:37], 0x0
	s_add_u32 s38, s38, 48
	s_addc_u32 s39, s39, 0
	s_waitcnt lgkmcnt(0)
	v_mul_hi_u32 v1, s9, v2
	v_add_u32_e32 v1, v2, v1
	v_lshrrev_b32_e32 v1, s10, v1
	v_mul_lo_u32 v3, v1, s8
	v_mul_hi_u32 v5, s12, v1
	v_sub_u32_e32 v2, v2, v3
	v_add_u32_e32 v3, v1, v5
	v_lshrrev_b32_e32 v3, s13, v3
	v_mul_lo_u32 v5, v3, s11
	v_mul_hi_u32 v6, s15, v3
	v_sub_u32_e32 v1, v1, v5
	v_add_u32_e32 v5, v3, v6
	v_mul_lo_u32 v2, v2, s20
	v_mul_lo_u32 v1, v1, s21
	v_lshrrev_b32_e32 v5, s16, v5
	v_add3_u32 v0, v2, v0, v1
	v_mul_hi_u32 v2, s18, v5
	v_add_u32_e32 v2, v5, v2
	v_mul_lo_u32 v1, v5, s14
	v_lshrrev_b32_e32 v2, s19, v2
	s_add_i32 s43, s43, 4
	v_sub_u32_e32 v1, v3, v1
	v_mul_lo_u32 v3, v2, s17
	s_add_u32 s36, s36, 16
	v_sub_u32_e32 v3, v5, v3
	s_addc_u32 s37, s37, 0
	v_mul_lo_u32 v1, v1, s22
	v_mul_lo_u32 v3, v3, s23
	s_cmp_eq_u32 s42, s43
	v_add3_u32 v0, v1, v0, v3
	s_cbranch_scc0 .LBB77_110
	s_branch .LBB77_114
.LBB77_111:
                                        ; implicit-def: $vgpr0
	s_branch .LBB77_118
.LBB77_112:
	v_mov_b32_e32 v0, 0
	s_branch .LBB77_117
.LBB77_113:
	v_mov_b32_e32 v2, v4
.LBB77_114:
	s_and_b32 s12, s49, 3
	s_cmp_eq_u32 s12, 0
	s_cbranch_scc1 .LBB77_117
; %bb.115:
	s_lshl_b32 s8, s42, 2
	s_add_u32 s8, s8, s4
	s_addc_u32 s9, s5, 0
	s_add_u32 s8, s8, 0xc4
	s_addc_u32 s9, s9, 0
	s_mul_i32 s10, s42, 12
	s_add_u32 s10, s4, s10
	s_addc_u32 s11, s5, 0
.LBB77_116:                             ; =>This Inner Loop Header: Depth=1
	s_load_dwordx2 s[14:15], s[10:11], 0x4
	s_load_dword s13, s[10:11], 0xc
	s_load_dword s16, s[8:9], 0x0
	s_add_u32 s10, s10, 12
	s_addc_u32 s11, s11, 0
	s_waitcnt lgkmcnt(0)
	v_mul_hi_u32 v1, s15, v2
	v_add_u32_e32 v1, v2, v1
	v_lshrrev_b32_e32 v1, s13, v1
	s_add_u32 s8, s8, 4
	v_mul_lo_u32 v3, v1, s14
	s_addc_u32 s9, s9, 0
	s_add_i32 s12, s12, -1
	v_sub_u32_e32 v3, v2, v3
	s_cmp_lg_u32 s12, 0
	v_mov_b32_e32 v2, v1
	v_mad_u64_u32 v[0:1], s[14:15], v3, s16, v[0:1]
	s_cbranch_scc1 .LBB77_116
.LBB77_117:
	s_cbranch_execnz .LBB77_120
.LBB77_118:
	s_waitcnt lgkmcnt(0)
	v_mul_hi_u32 v0, s1, v4
	v_add_u32_e32 v0, v4, v0
	v_lshrrev_b32_e32 v1, s2, v0
	v_mul_lo_u32 v0, v1, s0
	v_sub_u32_e32 v0, v4, v0
	s_andn2_b64 vcc, exec, s[34:35]
	v_mul_lo_u32 v0, v0, s28
	s_cbranch_vccnz .LBB77_120
; %bb.119:
	v_mul_hi_u32 v2, s30, v1
	v_add_u32_e32 v2, v1, v2
	v_lshrrev_b32_e32 v2, s31, v2
	v_mul_lo_u32 v2, v2, s3
	v_sub_u32_e32 v1, v1, v2
	v_mad_u64_u32 v[0:1], s[0:1], v1, s29, v[0:1]
.LBB77_120:
	s_waitcnt lgkmcnt(0)
	v_mov_b32_e32 v1, s47
	global_store_dword v0, v1, s[26:27]
	s_or_b64 exec, exec, s[40:41]
                                        ; implicit-def: $vgpr8
                                        ; implicit-def: $vgpr4
	s_andn2_saveexec_b64 s[0:1], s[24:25]
	s_cbranch_execz .LBB77_97
	s_branch .LBB77_8
	.section	.rodata,"a",@progbits
	.p2align	6, 0x0
	.amdhsa_kernel _ZN2at6native32elementwise_kernel_manual_unrollILi128ELi4EZNS0_22gpu_kernel_impl_nocastINS0_11FillFunctorIN3c107complexINS4_4HalfEEEEEEEvRNS_18TensorIteratorBaseERKT_EUlibE_EEviT1_
		.amdhsa_group_segment_fixed_size 0
		.amdhsa_private_segment_fixed_size 0
		.amdhsa_kernarg_size 288
		.amdhsa_user_sgpr_count 6
		.amdhsa_user_sgpr_private_segment_buffer 1
		.amdhsa_user_sgpr_dispatch_ptr 0
		.amdhsa_user_sgpr_queue_ptr 0
		.amdhsa_user_sgpr_kernarg_segment_ptr 1
		.amdhsa_user_sgpr_dispatch_id 0
		.amdhsa_user_sgpr_flat_scratch_init 0
		.amdhsa_user_sgpr_kernarg_preload_length 0
		.amdhsa_user_sgpr_kernarg_preload_offset 0
		.amdhsa_user_sgpr_private_segment_size 0
		.amdhsa_uses_dynamic_stack 0
		.amdhsa_system_sgpr_private_segment_wavefront_offset 0
		.amdhsa_system_sgpr_workgroup_id_x 1
		.amdhsa_system_sgpr_workgroup_id_y 0
		.amdhsa_system_sgpr_workgroup_id_z 0
		.amdhsa_system_sgpr_workgroup_info 0
		.amdhsa_system_vgpr_workitem_id 0
		.amdhsa_next_free_vgpr 10
		.amdhsa_next_free_sgpr 53
		.amdhsa_accum_offset 12
		.amdhsa_reserve_vcc 1
		.amdhsa_reserve_flat_scratch 0
		.amdhsa_float_round_mode_32 0
		.amdhsa_float_round_mode_16_64 0
		.amdhsa_float_denorm_mode_32 3
		.amdhsa_float_denorm_mode_16_64 3
		.amdhsa_dx10_clamp 1
		.amdhsa_ieee_mode 1
		.amdhsa_fp16_overflow 0
		.amdhsa_tg_split 0
		.amdhsa_exception_fp_ieee_invalid_op 0
		.amdhsa_exception_fp_denorm_src 0
		.amdhsa_exception_fp_ieee_div_zero 0
		.amdhsa_exception_fp_ieee_overflow 0
		.amdhsa_exception_fp_ieee_underflow 0
		.amdhsa_exception_fp_ieee_inexact 0
		.amdhsa_exception_int_div_zero 0
	.end_amdhsa_kernel
	.section	.text._ZN2at6native32elementwise_kernel_manual_unrollILi128ELi4EZNS0_22gpu_kernel_impl_nocastINS0_11FillFunctorIN3c107complexINS4_4HalfEEEEEEEvRNS_18TensorIteratorBaseERKT_EUlibE_EEviT1_,"axG",@progbits,_ZN2at6native32elementwise_kernel_manual_unrollILi128ELi4EZNS0_22gpu_kernel_impl_nocastINS0_11FillFunctorIN3c107complexINS4_4HalfEEEEEEEvRNS_18TensorIteratorBaseERKT_EUlibE_EEviT1_,comdat
.Lfunc_end77:
	.size	_ZN2at6native32elementwise_kernel_manual_unrollILi128ELi4EZNS0_22gpu_kernel_impl_nocastINS0_11FillFunctorIN3c107complexINS4_4HalfEEEEEEEvRNS_18TensorIteratorBaseERKT_EUlibE_EEviT1_, .Lfunc_end77-_ZN2at6native32elementwise_kernel_manual_unrollILi128ELi4EZNS0_22gpu_kernel_impl_nocastINS0_11FillFunctorIN3c107complexINS4_4HalfEEEEEEEvRNS_18TensorIteratorBaseERKT_EUlibE_EEviT1_
                                        ; -- End function
	.section	.AMDGPU.csdata,"",@progbits
; Kernel info:
; codeLenInByte = 4928
; NumSgprs: 57
; NumVgprs: 10
; NumAgprs: 0
; TotalNumVgprs: 10
; ScratchSize: 0
; MemoryBound: 0
; FloatMode: 240
; IeeeMode: 1
; LDSByteSize: 0 bytes/workgroup (compile time only)
; SGPRBlocks: 7
; VGPRBlocks: 1
; NumSGPRsForWavesPerEU: 57
; NumVGPRsForWavesPerEU: 10
; AccumOffset: 12
; Occupancy: 8
; WaveLimiterHint : 1
; COMPUTE_PGM_RSRC2:SCRATCH_EN: 0
; COMPUTE_PGM_RSRC2:USER_SGPR: 6
; COMPUTE_PGM_RSRC2:TRAP_HANDLER: 0
; COMPUTE_PGM_RSRC2:TGID_X_EN: 1
; COMPUTE_PGM_RSRC2:TGID_Y_EN: 0
; COMPUTE_PGM_RSRC2:TGID_Z_EN: 0
; COMPUTE_PGM_RSRC2:TIDIG_COMP_CNT: 0
; COMPUTE_PGM_RSRC3_GFX90A:ACCUM_OFFSET: 2
; COMPUTE_PGM_RSRC3_GFX90A:TG_SPLIT: 0
	.section	.text._ZN2at6native32elementwise_kernel_manual_unrollILi128ELi4EZNS0_15gpu_kernel_implINS0_11FillFunctorIN3c107complexINS4_4HalfEEEEEEEvRNS_18TensorIteratorBaseERKT_EUlibE_EEviT1_,"axG",@progbits,_ZN2at6native32elementwise_kernel_manual_unrollILi128ELi4EZNS0_15gpu_kernel_implINS0_11FillFunctorIN3c107complexINS4_4HalfEEEEEEEvRNS_18TensorIteratorBaseERKT_EUlibE_EEviT1_,comdat
	.protected	_ZN2at6native32elementwise_kernel_manual_unrollILi128ELi4EZNS0_15gpu_kernel_implINS0_11FillFunctorIN3c107complexINS4_4HalfEEEEEEEvRNS_18TensorIteratorBaseERKT_EUlibE_EEviT1_ ; -- Begin function _ZN2at6native32elementwise_kernel_manual_unrollILi128ELi4EZNS0_15gpu_kernel_implINS0_11FillFunctorIN3c107complexINS4_4HalfEEEEEEEvRNS_18TensorIteratorBaseERKT_EUlibE_EEviT1_
	.globl	_ZN2at6native32elementwise_kernel_manual_unrollILi128ELi4EZNS0_15gpu_kernel_implINS0_11FillFunctorIN3c107complexINS4_4HalfEEEEEEEvRNS_18TensorIteratorBaseERKT_EUlibE_EEviT1_
	.p2align	8
	.type	_ZN2at6native32elementwise_kernel_manual_unrollILi128ELi4EZNS0_15gpu_kernel_implINS0_11FillFunctorIN3c107complexINS4_4HalfEEEEEEEvRNS_18TensorIteratorBaseERKT_EUlibE_EEviT1_,@function
_ZN2at6native32elementwise_kernel_manual_unrollILi128ELi4EZNS0_15gpu_kernel_implINS0_11FillFunctorIN3c107complexINS4_4HalfEEEEEEEvRNS_18TensorIteratorBaseERKT_EUlibE_EEviT1_: ; @_ZN2at6native32elementwise_kernel_manual_unrollILi128ELi4EZNS0_15gpu_kernel_implINS0_11FillFunctorIN3c107complexINS4_4HalfEEEEEEEvRNS_18TensorIteratorBaseERKT_EUlibE_EEviT1_
; %bb.0:
	s_load_dword s48, s[4:5], 0x0
	s_load_dwordx4 s[8:11], s[4:5], 0x8
	s_load_dword s33, s[4:5], 0x18
	v_lshl_or_b32 v20, s6, 9, v0
	v_or_b32_e32 v0, 0x180, v20
	s_waitcnt lgkmcnt(0)
	v_cmp_le_i32_e32 vcc, s48, v0
	s_mov_b64 s[6:7], 0
	s_mov_b64 s[0:1], 0
	s_and_saveexec_b64 s[2:3], vcc
	s_xor_b64 s[12:13], exec, s[2:3]
	s_cbranch_execz .LBB78_404
; %bb.1:
	v_cvt_f32_f16_e32 v6, s11
	s_and_b32 s0, s11, 0x7fff7fff
	s_cmp_lg_u32 s0, 0
	s_cselect_b64 s[0:1], -1, 0
	v_and_b32_e32 v2, 0x400000, v6
	v_cndmask_b32_e64 v13, 0, 1, s[0:1]
	v_bfe_u32 v1, v6, 23, 8
	s_movk_i32 s0, 0xff
	v_cmp_ne_u32_e32 vcc, 0, v2
	v_and_b32_e32 v2, 0x3fffff, v6
	v_cmp_eq_u32_e64 s[4:5], s0, v1
	v_or_b32_e32 v1, v1, v2
	v_cmp_ne_u32_e64 s[0:1], 0, v1
	v_readfirstlane_b32 s16, v6
	s_lshr_b32 s30, s11, 16
	s_and_b64 s[0:1], vcc, s[0:1]
	s_and_b32 s31, s16, 0x7fffffff
	s_cmp_lt_u32 s31, 0x43800000
	s_cselect_b64 s[26:27], -1, 0
	s_cmp_gt_u32 s31, 0x3bffffff
	v_cndmask_b32_e64 v1, 0, 1, s[0:1]
	s_cselect_b64 s[2:3], -1, 0
	s_bfe_u32 s0, s16, 0x10014
	s_add_i32 s17, s16, s0
	s_add_i32 s0, s17, 0x487ffff
	s_lshr_b32 s59, s0, 20
	s_mov_b32 s0, 0x46000000
	v_add_f32_e64 v17, |v6|, s0
	v_readfirstlane_b32 s0, v17
	s_and_b32 s0, s0, 0xff
	s_cmp_lg_u32 s0, 0
	s_cselect_b64 s[28:29], -1, 0
	s_cmp_gt_u32 s31, 0x477fffff
	s_cselect_b64 s[14:15], -1, 0
	s_cmp_lt_u32 s31, 0x47800000
	s_movk_i32 s0, 0x80
	s_cselect_b64 s[22:23], -1, 0
	s_cmp_gt_u32 s31, 0x37ffffff
	v_and_b32_sdwa v14, v6, s0 dst_sel:DWORD dst_unused:UNUSED_PAD src0_sel:BYTE_3 src1_sel:DWORD
	s_cselect_b64 s[0:1], -1, 0
	s_bfe_u32 s18, s16, 0x10015
	s_add_i32 s34, s16, s18
	s_add_i32 s16, s34, 0x88fffff
	s_lshr_b32 s57, s16, 21
	s_mov_b32 s16, 0x42800000
	v_add_f32_e64 v16, |v6|, s16
	v_readfirstlane_b32 s16, v16
	s_and_b32 s16, s16, 0xff
	s_cmp_lg_u32 s16, 0
	s_cselect_b64 s[24:25], -1, 0
	s_cmp_gt_u32 s31, 0x43efffff
	s_cselect_b64 s[18:19], -1, 0
	s_cmp_lt_u32 s31, 0x3c800000
	s_cselect_b64 s[20:21], -1, 0
	s_add_i32 s17, s17, 0x407ffff
	s_lshr_b32 s16, s17, 20
	s_and_b32 s17, s17, 0xff00000
	s_cmp_lg_u32 s17, 0x7f00000
	v_lshrrev_b32_e32 v0, 23, v6
	s_cselect_b32 s55, s16, 0x7e
	s_mov_b32 s16, 0x46800000
	s_cmp_lt_u32 s31, 0x38800000
	v_cvt_f32_f16_e32 v7, s30
	v_add_u32_e32 v19, v0, v1
	v_add_f32_e64 v0, |v6|, s16
	s_cselect_b64 s[16:17], -1, 0
	s_add_i32 s34, s34, 0x80fffff
	s_lshr_b32 s52, s34, 21
	s_cmp_gt_u32 s31, 0x7f800000
	s_movk_i32 s31, 0x7f
	s_cselect_b32 s58, s31, 0x7e
	s_mov_b32 s31, 0x43000000
	v_readfirstlane_b32 s56, v0
	v_add_f32_e64 v0, |v6|, s31
	v_bfe_u32 v4, v7, 16, 1
	v_readfirstlane_b32 s53, v0
	v_bfe_u32 v0, v6, 16, 1
	v_add_u32_e32 v4, v7, v4
	v_add_u32_e32 v0, v6, v0
	;; [unrolled: 1-line block ×4, first 2 shown]
	v_and_b32_e32 v5, 0xffff0000, v4
	v_cvt_i32_f32_e32 v4, v6
	v_cvt_u32_f32_e32 v8, v6
	v_lshrrev_b32_e32 v0, 16, v0
	v_mov_b32_e32 v1, 0x7fc0
	v_cmp_o_f16_e64 vcc, s11, s11
	v_cndmask_b32_e32 v15, v1, v0, vcc
	v_mov_b32_e32 v10, 0x7fc00000
	v_cmp_o_f16_e64 vcc, s30, s30
	s_movk_i32 s31, 0x7c
	v_cndmask_b32_e32 v5, v10, v5, vcc
	v_mov_b32_e32 v9, 0
	v_cvt_u16_f16_e32 v18, s11
	s_cselect_b32 s54, 0x7f, s31
	v_cvt_f64_f32_e32 v[0:1], v6
	v_cvt_f64_f32_e32 v[2:3], v7
	v_or_b32_e32 v21, v5, v15
	v_ashrrev_i32_e32 v5, 31, v4
	v_cvt_i16_f16_e32 v12, s11
	v_cmp_gt_i32_e32 vcc, s48, v20
	s_mov_b64 s[36:37], -1
	s_mov_b64 s[38:39], 0
	s_mov_b64 s[30:31], 0
	s_and_saveexec_b64 s[34:35], vcc
	s_cbranch_execz .LBB78_100
; %bb.2:
	v_mul_lo_u32 v10, v20, s10
	v_ashrrev_i32_e32 v11, 31, v10
	v_mov_b32_e32 v22, s9
	v_add_co_u32_e32 v10, vcc, s8, v10
	v_addc_co_u32_e32 v11, vcc, v22, v11, vcc
	v_mov_b32_e32 v22, 11
	v_cmp_lt_i16_sdwa s[30:31], s33, v22 src0_sel:BYTE_0 src1_sel:DWORD
	s_and_b64 vcc, exec, s[30:31]
	s_cbranch_vccnz .LBB78_9
; %bb.3:
	v_mov_b32_e32 v22, 25
	v_cmp_gt_i16_sdwa s[30:31], s33, v22 src0_sel:BYTE_0 src1_sel:DWORD
	s_and_b64 vcc, exec, s[30:31]
	s_cbranch_vccz .LBB78_12
; %bb.4:
	v_mov_b32_e32 v22, 28
	v_cmp_gt_i16_sdwa s[30:31], s33, v22 src0_sel:BYTE_0 src1_sel:DWORD
	s_and_b64 vcc, exec, s[30:31]
	s_cbranch_vccz .LBB78_13
	;; [unrolled: 5-line block ×4, first 2 shown]
; %bb.7:
	v_mov_b32_e32 v22, 46
	v_cmp_eq_u16_sdwa s[36:37], s33, v22 src0_sel:BYTE_0 src1_sel:DWORD
	s_mov_b64 s[40:41], 0
	s_mov_b64 s[30:31], -1
	s_and_b64 vcc, exec, s[36:37]
	s_mov_b64 s[36:37], 0
	s_cbranch_vccz .LBB78_16
; %bb.8:
	global_store_dword v[10:11], v21, off
	s_mov_b64 s[36:37], -1
	s_mov_b64 s[30:31], 0
	s_branch .LBB78_16
.LBB78_9:
	s_mov_b64 s[30:31], 0
	s_mov_b64 s[36:37], 0
	s_cbranch_execnz .LBB78_60
.LBB78_10:
	s_andn2_b64 vcc, exec, s[36:37]
	s_cbranch_vccnz .LBB78_98
.LBB78_11:
	v_add_u32_e32 v20, 0x80, v20
	s_mov_b64 s[36:37], -1
	s_branch .LBB78_99
.LBB78_12:
	s_mov_b64 s[30:31], 0
	s_mov_b64 s[36:37], 0
	s_cbranch_execnz .LBB78_38
	s_branch .LBB78_59
.LBB78_13:
	s_mov_b64 s[40:41], -1
	s_mov_b64 s[30:31], 0
	s_mov_b64 s[36:37], 0
	s_branch .LBB78_24
.LBB78_14:
	s_mov_b64 s[40:41], -1
	s_mov_b64 s[30:31], 0
	s_mov_b64 s[36:37], 0
	s_branch .LBB78_20
.LBB78_15:
	s_mov_b64 s[40:41], -1
	s_mov_b64 s[30:31], 0
	s_mov_b64 s[36:37], 0
.LBB78_16:
	s_and_b64 vcc, exec, s[40:41]
	s_cbranch_vccz .LBB78_19
; %bb.17:
	v_mov_b32_e32 v22, 44
	v_cmp_eq_u16_sdwa s[40:41], s33, v22 src0_sel:BYTE_0 src1_sel:DWORD
	s_mov_b64 s[30:31], -1
	s_and_b64 vcc, exec, s[40:41]
	s_cbranch_vccz .LBB78_19
; %bb.18:
	v_mov_b32_e32 v22, 0xff
	v_cndmask_b32_e64 v22, v19, v22, s[4:5]
	global_store_byte v[10:11], v22, off
	s_mov_b64 s[36:37], -1
	s_mov_b64 s[30:31], 0
.LBB78_19:
	s_mov_b64 s[40:41], 0
.LBB78_20:
	s_and_b64 vcc, exec, s[40:41]
	s_cbranch_vccz .LBB78_23
; %bb.21:
	v_mov_b32_e32 v22, 29
	v_cmp_eq_u16_sdwa s[40:41], s33, v22 src0_sel:BYTE_0 src1_sel:DWORD
	s_mov_b64 s[30:31], -1
	s_and_b64 vcc, exec, s[40:41]
	s_cbranch_vccz .LBB78_23
; %bb.22:
	global_store_dwordx2 v[10:11], v[8:9], off
	s_mov_b64 s[36:37], -1
	s_mov_b64 s[30:31], 0
.LBB78_23:
	s_mov_b64 s[40:41], 0
.LBB78_24:
	s_and_b64 vcc, exec, s[40:41]
	s_cbranch_vccz .LBB78_37
; %bb.25:
	v_mov_b32_e32 v22, 27
	v_cmp_lt_i16_sdwa s[40:41], s33, v22 src0_sel:BYTE_0 src1_sel:DWORD
	s_mov_b64 s[36:37], -1
	s_and_b64 vcc, exec, s[40:41]
	s_cbranch_vccnz .LBB78_31
; %bb.26:
	v_cmp_gt_i16_sdwa s[40:41], s33, v22 src0_sel:BYTE_0 src1_sel:DWORD
	s_and_b64 vcc, exec, s[40:41]
	s_cbranch_vccz .LBB78_28
; %bb.27:
	s_mov_b64 s[36:37], 0
	global_store_dword v[10:11], v8, off
.LBB78_28:
	s_andn2_b64 vcc, exec, s[36:37]
	s_cbranch_vccnz .LBB78_30
; %bb.29:
	global_store_short v[10:11], v18, off
.LBB78_30:
	s_mov_b64 s[36:37], 0
.LBB78_31:
	s_andn2_b64 vcc, exec, s[36:37]
	s_cbranch_vccnz .LBB78_36
; %bb.32:
	s_andn2_b64 vcc, exec, s[26:27]
	v_mov_b32_e32 v22, 0x80
	s_cbranch_vccnz .LBB78_35
; %bb.33:
	s_or_b64 s[36:37], s[2:3], s[28:29]
	s_andn2_b64 vcc, exec, s[36:37]
	v_mov_b32_e32 v22, 0
	s_cbranch_vccnz .LBB78_35
; %bb.34:
	v_mov_b32_e32 v22, s59
	v_cndmask_b32_e64 v22, v17, v22, s[2:3]
	v_or_b32_e32 v22, v22, v14
.LBB78_35:
	global_store_byte v[10:11], v22, off
.LBB78_36:
	s_mov_b64 s[36:37], -1
.LBB78_37:
	s_branch .LBB78_59
.LBB78_38:
	v_mov_b32_e32 v22, 22
	v_cmp_gt_i16_sdwa s[42:43], s33, v22 src0_sel:BYTE_0 src1_sel:DWORD
	s_mov_b64 s[40:41], -1
	s_and_b64 vcc, exec, s[42:43]
	s_cbranch_vccz .LBB78_51
; %bb.39:
	v_mov_b32_e32 v22, 24
	v_cmp_lt_i16_sdwa s[40:41], s33, v22 src0_sel:BYTE_0 src1_sel:DWORD
	s_mov_b64 s[36:37], -1
	s_and_b64 vcc, exec, s[40:41]
	s_cbranch_vccnz .LBB78_48
; %bb.40:
	v_cmp_gt_i16_sdwa s[40:41], s33, v22 src0_sel:BYTE_0 src1_sel:DWORD
	s_and_b64 vcc, exec, s[40:41]
	s_cbranch_vccz .LBB78_45
; %bb.41:
	s_andn2_b64 vcc, exec, s[22:23]
	v_mov_b32_e32 v22, 0x80
	s_cbranch_vccnz .LBB78_44
; %bb.42:
	s_or_b64 s[36:37], s[0:1], s[24:25]
	s_andn2_b64 vcc, exec, s[36:37]
	v_mov_b32_e32 v22, 0
	s_cbranch_vccnz .LBB78_44
; %bb.43:
	v_mov_b32_e32 v22, s57
	v_cndmask_b32_e64 v22, v16, v22, s[0:1]
	v_or_b32_e32 v22, v22, v14
.LBB78_44:
	s_mov_b64 s[36:37], 0
	global_store_byte v[10:11], v22, off
.LBB78_45:
	s_and_b64 vcc, exec, s[36:37]
	s_cbranch_vccz .LBB78_47
; %bb.46:
	s_and_b64 s[36:37], s[20:21], exec
	s_cselect_b32 s40, s56, s55
	s_and_b64 s[36:37], s[18:19], exec
	s_cselect_b32 s36, s58, s40
	v_or_b32_e32 v22, s36, v14
	global_store_byte v[10:11], v22, off
.LBB78_47:
	s_mov_b64 s[36:37], 0
.LBB78_48:
	s_andn2_b64 vcc, exec, s[36:37]
	s_cbranch_vccnz .LBB78_50
; %bb.49:
	s_and_b64 s[36:37], s[16:17], exec
	s_cselect_b32 s40, s53, s52
	s_and_b64 s[36:37], s[14:15], exec
	s_cselect_b32 s36, s54, s40
	v_or_b32_e32 v22, s36, v14
	global_store_byte v[10:11], v22, off
.LBB78_50:
	s_mov_b64 s[40:41], 0
	s_mov_b64 s[36:37], -1
.LBB78_51:
	s_andn2_b64 vcc, exec, s[40:41]
	s_cbranch_vccnz .LBB78_59
; %bb.52:
	v_mov_b32_e32 v22, 14
	v_cmp_gt_i16_sdwa s[42:43], s33, v22 src0_sel:BYTE_0 src1_sel:DWORD
	s_mov_b64 s[40:41], -1
	s_and_b64 vcc, exec, s[42:43]
	s_cbranch_vccz .LBB78_56
; %bb.53:
	v_mov_b32_e32 v22, 15
	v_cmp_eq_u16_sdwa s[40:41], s33, v22 src0_sel:BYTE_0 src1_sel:DWORD
	s_mov_b64 s[30:31], -1
	s_and_b64 vcc, exec, s[40:41]
	s_cbranch_vccz .LBB78_55
; %bb.54:
	global_store_short v[10:11], v15, off
	s_mov_b64 s[36:37], -1
	s_mov_b64 s[30:31], 0
.LBB78_55:
	s_mov_b64 s[40:41], 0
.LBB78_56:
	s_and_b64 vcc, exec, s[40:41]
	s_cbranch_vccz .LBB78_59
; %bb.57:
	v_mov_b32_e32 v22, 11
	v_cmp_eq_u16_sdwa s[40:41], s33, v22 src0_sel:BYTE_0 src1_sel:DWORD
	s_mov_b64 s[30:31], -1
	s_and_b64 vcc, exec, s[40:41]
	s_cbranch_vccz .LBB78_59
; %bb.58:
	s_mov_b64 s[36:37], -1
	s_mov_b64 s[30:31], 0
	global_store_byte v[10:11], v13, off
.LBB78_59:
	s_branch .LBB78_10
.LBB78_60:
	v_mov_b32_e32 v22, 5
	v_cmp_lt_i16_sdwa s[40:41], s33, v22 src0_sel:BYTE_0 src1_sel:DWORD
	s_mov_b64 s[36:37], -1
	s_and_b64 vcc, exec, s[40:41]
	s_cbranch_vccnz .LBB78_81
; %bb.61:
	v_mov_b32_e32 v22, 8
	v_cmp_lt_i16_sdwa s[40:41], s33, v22 src0_sel:BYTE_0 src1_sel:DWORD
	s_and_b64 vcc, exec, s[40:41]
	s_cbranch_vccnz .LBB78_71
; %bb.62:
	v_mov_b32_e32 v22, 9
	v_cmp_lt_i16_sdwa s[40:41], s33, v22 src0_sel:BYTE_0 src1_sel:DWORD
	s_and_b64 vcc, exec, s[40:41]
	s_cbranch_vccnz .LBB78_68
; %bb.63:
	v_cmp_gt_i16_sdwa s[40:41], s33, v22 src0_sel:BYTE_0 src1_sel:DWORD
	s_and_b64 vcc, exec, s[40:41]
	s_cbranch_vccz .LBB78_65
; %bb.64:
	global_store_dwordx4 v[10:11], v[0:3], off
	s_mov_b64 s[36:37], 0
.LBB78_65:
	s_andn2_b64 vcc, exec, s[36:37]
	s_cbranch_vccnz .LBB78_67
; %bb.66:
	global_store_dwordx2 v[10:11], v[6:7], off
.LBB78_67:
	s_mov_b64 s[36:37], 0
.LBB78_68:
	s_andn2_b64 vcc, exec, s[36:37]
	s_cbranch_vccnz .LBB78_70
; %bb.69:
	v_mov_b32_e32 v22, s11
	global_store_dword v[10:11], v22, off
.LBB78_70:
	s_mov_b64 s[36:37], 0
.LBB78_71:
	s_andn2_b64 vcc, exec, s[36:37]
	s_cbranch_vccnz .LBB78_80
; %bb.72:
	v_mov_b32_e32 v22, 6
	v_cmp_lt_i16_sdwa s[40:41], s33, v22 src0_sel:BYTE_0 src1_sel:DWORD
	s_mov_b64 s[36:37], -1
	s_and_b64 vcc, exec, s[40:41]
	s_cbranch_vccnz .LBB78_78
; %bb.73:
	v_cmp_gt_i16_sdwa s[40:41], s33, v22 src0_sel:BYTE_0 src1_sel:DWORD
	s_and_b64 vcc, exec, s[40:41]
	s_cbranch_vccz .LBB78_75
; %bb.74:
	global_store_dwordx2 v[10:11], v[0:1], off
	s_mov_b64 s[36:37], 0
.LBB78_75:
	s_andn2_b64 vcc, exec, s[36:37]
	s_cbranch_vccnz .LBB78_77
; %bb.76:
	global_store_dword v[10:11], v6, off
.LBB78_77:
	s_mov_b64 s[36:37], 0
.LBB78_78:
	s_andn2_b64 vcc, exec, s[36:37]
	s_cbranch_vccnz .LBB78_80
; %bb.79:
	v_mov_b32_e32 v22, s11
	global_store_short v[10:11], v22, off
.LBB78_80:
	s_mov_b64 s[36:37], 0
.LBB78_81:
	s_andn2_b64 vcc, exec, s[36:37]
	s_cbranch_vccnz .LBB78_97
; %bb.82:
	v_mov_b32_e32 v22, 2
	v_cmp_lt_i16_sdwa s[40:41], s33, v22 src0_sel:BYTE_0 src1_sel:DWORD
	s_mov_b64 s[36:37], -1
	s_and_b64 vcc, exec, s[40:41]
	s_cbranch_vccnz .LBB78_92
; %bb.83:
	v_mov_b32_e32 v22, 3
	v_cmp_lt_i16_sdwa s[40:41], s33, v22 src0_sel:BYTE_0 src1_sel:DWORD
	s_and_b64 vcc, exec, s[40:41]
	s_cbranch_vccnz .LBB78_89
; %bb.84:
	v_cmp_gt_i16_sdwa s[40:41], s33, v22 src0_sel:BYTE_0 src1_sel:DWORD
	s_and_b64 vcc, exec, s[40:41]
	s_cbranch_vccz .LBB78_86
; %bb.85:
	global_store_dwordx2 v[10:11], v[4:5], off
	s_mov_b64 s[36:37], 0
.LBB78_86:
	s_andn2_b64 vcc, exec, s[36:37]
	s_cbranch_vccnz .LBB78_88
; %bb.87:
	global_store_dword v[10:11], v4, off
.LBB78_88:
	s_mov_b64 s[36:37], 0
.LBB78_89:
	s_andn2_b64 vcc, exec, s[36:37]
	s_cbranch_vccnz .LBB78_91
; %bb.90:
	global_store_short v[10:11], v12, off
.LBB78_91:
	s_mov_b64 s[36:37], 0
.LBB78_92:
	s_andn2_b64 vcc, exec, s[36:37]
	s_cbranch_vccnz .LBB78_97
; %bb.93:
	v_mov_b32_e32 v22, 0
	v_cmp_gt_i16_sdwa s[40:41], s33, v22 src0_sel:BYTE_0 src1_sel:DWORD
	s_mov_b64 s[36:37], -1
	s_and_b64 vcc, exec, s[40:41]
	s_cbranch_vccz .LBB78_95
; %bb.94:
	global_store_byte v[10:11], v12, off
	s_mov_b64 s[36:37], 0
.LBB78_95:
	s_andn2_b64 vcc, exec, s[36:37]
	s_cbranch_vccnz .LBB78_97
; %bb.96:
	global_store_byte v[10:11], v4, off
.LBB78_97:
	s_branch .LBB78_11
.LBB78_98:
	s_mov_b64 s[36:37], 0
                                        ; implicit-def: $vgpr20
.LBB78_99:
	s_and_b64 s[30:31], s[30:31], exec
	s_orn2_b64 s[36:37], s[36:37], exec
.LBB78_100:
	s_or_b64 exec, exec, s[34:35]
	s_mov_b64 s[40:41], 0
                                        ; implicit-def: $vgpr22
                                        ; implicit-def: $vgpr10_vgpr11
	s_and_saveexec_b64 s[34:35], s[36:37]
	s_cbranch_execz .LBB78_109
; %bb.101:
	v_cmp_gt_i32_e32 vcc, s48, v20
	s_mov_b64 s[42:43], -1
	s_mov_b64 s[36:37], s[30:31]
	s_and_saveexec_b64 s[38:39], vcc
	s_cbranch_execz .LBB78_204
; %bb.102:
	v_mul_lo_u32 v10, v20, s10
	v_ashrrev_i32_e32 v11, 31, v10
	v_mov_b32_e32 v22, s9
	v_add_co_u32_e32 v10, vcc, s8, v10
	v_addc_co_u32_e32 v11, vcc, v22, v11, vcc
	v_mov_b32_e32 v22, 11
	v_cmp_lt_i16_sdwa s[36:37], s33, v22 src0_sel:BYTE_0 src1_sel:DWORD
	s_and_b64 vcc, exec, s[36:37]
	s_cbranch_vccnz .LBB78_112
; %bb.103:
	v_mov_b32_e32 v22, 25
	v_cmp_gt_i16_sdwa s[36:37], s33, v22 src0_sel:BYTE_0 src1_sel:DWORD
	s_and_b64 vcc, exec, s[36:37]
	s_cbranch_vccz .LBB78_115
; %bb.104:
	v_mov_b32_e32 v22, 28
	v_cmp_gt_i16_sdwa s[36:37], s33, v22 src0_sel:BYTE_0 src1_sel:DWORD
	s_and_b64 vcc, exec, s[36:37]
	s_cbranch_vccz .LBB78_116
	;; [unrolled: 5-line block ×4, first 2 shown]
; %bb.107:
	v_mov_b32_e32 v22, 46
	v_cmp_eq_u16_sdwa s[40:41], s33, v22 src0_sel:BYTE_0 src1_sel:DWORD
	s_mov_b64 s[42:43], 0
	s_mov_b64 s[36:37], -1
	s_and_b64 vcc, exec, s[40:41]
	s_mov_b64 s[40:41], 0
	s_cbranch_vccz .LBB78_119
; %bb.108:
	global_store_dword v[10:11], v21, off
	s_mov_b64 s[40:41], -1
	s_mov_b64 s[36:37], 0
	s_branch .LBB78_119
.LBB78_109:
	s_or_b64 exec, exec, s[34:35]
	s_mov_b64 s[0:1], 0
	s_and_saveexec_b64 s[2:3], s[30:31]
	s_cbranch_execnz .LBB78_364
.LBB78_110:
	s_or_b64 exec, exec, s[2:3]
	s_and_saveexec_b64 s[2:3], s[38:39]
	s_xor_b64 s[2:3], exec, s[2:3]
	s_cbranch_execz .LBB78_365
.LBB78_111:
	global_store_byte v[10:11], v13, off
	s_or_b64 exec, exec, s[2:3]
	s_and_saveexec_b64 s[2:3], s[40:41]
	s_xor_b64 s[2:3], exec, s[2:3]
	s_cbranch_execz .LBB78_403
	s_branch .LBB78_366
.LBB78_112:
	s_mov_b64 s[36:37], s[30:31]
	s_and_b64 vcc, exec, s[42:43]
	s_cbranch_vccnz .LBB78_164
.LBB78_113:
	s_andn2_b64 vcc, exec, s[40:41]
	s_cbranch_vccnz .LBB78_202
.LBB78_114:
	v_add_u32_e32 v20, 0x80, v20
	s_mov_b64 s[40:41], -1
	s_branch .LBB78_203
.LBB78_115:
	s_mov_b64 s[36:37], s[30:31]
	s_branch .LBB78_141
.LBB78_116:
	s_mov_b64 s[36:37], s[30:31]
	s_branch .LBB78_127
.LBB78_117:
	s_mov_b64 s[36:37], s[30:31]
	s_branch .LBB78_123
.LBB78_118:
	s_mov_b64 s[36:37], s[30:31]
.LBB78_119:
	s_and_b64 vcc, exec, s[42:43]
	s_cbranch_vccz .LBB78_122
; %bb.120:
	v_mov_b32_e32 v22, 44
	v_cmp_eq_u16_sdwa s[42:43], s33, v22 src0_sel:BYTE_0 src1_sel:DWORD
	s_mov_b64 s[36:37], -1
	s_and_b64 vcc, exec, s[42:43]
	s_cbranch_vccz .LBB78_122
; %bb.121:
	v_mov_b32_e32 v22, 0xff
	v_cndmask_b32_e64 v22, v19, v22, s[4:5]
	s_mov_b64 s[40:41], -1
	s_mov_b64 s[36:37], 0
	global_store_byte v[10:11], v22, off
.LBB78_122:
	s_mov_b64 s[42:43], 0
.LBB78_123:
	s_and_b64 vcc, exec, s[42:43]
	s_cbranch_vccz .LBB78_126
; %bb.124:
	v_mov_b32_e32 v22, 29
	v_cmp_eq_u16_sdwa s[42:43], s33, v22 src0_sel:BYTE_0 src1_sel:DWORD
	s_mov_b64 s[36:37], -1
	s_and_b64 vcc, exec, s[42:43]
	s_cbranch_vccz .LBB78_126
; %bb.125:
	global_store_dwordx2 v[10:11], v[8:9], off
	s_mov_b64 s[40:41], -1
	s_mov_b64 s[36:37], 0
.LBB78_126:
	s_mov_b64 s[42:43], 0
.LBB78_127:
	s_and_b64 vcc, exec, s[42:43]
	s_cbranch_vccz .LBB78_140
; %bb.128:
	v_mov_b32_e32 v22, 27
	v_cmp_lt_i16_sdwa s[42:43], s33, v22 src0_sel:BYTE_0 src1_sel:DWORD
	s_mov_b64 s[40:41], -1
	s_and_b64 vcc, exec, s[42:43]
	s_cbranch_vccnz .LBB78_134
; %bb.129:
	v_cmp_gt_i16_sdwa s[42:43], s33, v22 src0_sel:BYTE_0 src1_sel:DWORD
	s_and_b64 vcc, exec, s[42:43]
	s_cbranch_vccz .LBB78_131
; %bb.130:
	s_mov_b64 s[40:41], 0
	global_store_dword v[10:11], v8, off
.LBB78_131:
	s_andn2_b64 vcc, exec, s[40:41]
	s_cbranch_vccnz .LBB78_133
; %bb.132:
	global_store_short v[10:11], v18, off
.LBB78_133:
	s_mov_b64 s[40:41], 0
.LBB78_134:
	s_andn2_b64 vcc, exec, s[40:41]
	s_cbranch_vccnz .LBB78_139
; %bb.135:
	s_andn2_b64 vcc, exec, s[26:27]
	v_mov_b32_e32 v22, 0x80
	s_cbranch_vccnz .LBB78_138
; %bb.136:
	s_or_b64 s[40:41], s[2:3], s[28:29]
	s_andn2_b64 vcc, exec, s[40:41]
	v_mov_b32_e32 v22, 0
	s_cbranch_vccnz .LBB78_138
; %bb.137:
	v_mov_b32_e32 v22, s59
	v_cndmask_b32_e64 v22, v17, v22, s[2:3]
	v_or_b32_e32 v22, v22, v14
.LBB78_138:
	global_store_byte v[10:11], v22, off
.LBB78_139:
	s_mov_b64 s[40:41], -1
.LBB78_140:
	s_mov_b64 s[42:43], 0
.LBB78_141:
	s_and_b64 vcc, exec, s[42:43]
	s_cbranch_vccz .LBB78_163
; %bb.142:
	v_mov_b32_e32 v22, 22
	v_cmp_gt_i16_sdwa s[44:45], s33, v22 src0_sel:BYTE_0 src1_sel:DWORD
	s_mov_b64 s[42:43], -1
	s_and_b64 vcc, exec, s[44:45]
	s_cbranch_vccz .LBB78_155
; %bb.143:
	v_mov_b32_e32 v22, 24
	v_cmp_lt_i16_sdwa s[42:43], s33, v22 src0_sel:BYTE_0 src1_sel:DWORD
	s_mov_b64 s[40:41], -1
	s_and_b64 vcc, exec, s[42:43]
	s_cbranch_vccnz .LBB78_152
; %bb.144:
	v_cmp_gt_i16_sdwa s[42:43], s33, v22 src0_sel:BYTE_0 src1_sel:DWORD
	s_and_b64 vcc, exec, s[42:43]
	s_cbranch_vccz .LBB78_149
; %bb.145:
	s_andn2_b64 vcc, exec, s[22:23]
	v_mov_b32_e32 v22, 0x80
	s_cbranch_vccnz .LBB78_148
; %bb.146:
	s_or_b64 s[40:41], s[0:1], s[24:25]
	s_andn2_b64 vcc, exec, s[40:41]
	v_mov_b32_e32 v22, 0
	s_cbranch_vccnz .LBB78_148
; %bb.147:
	v_mov_b32_e32 v22, s57
	v_cndmask_b32_e64 v22, v16, v22, s[0:1]
	v_or_b32_e32 v22, v22, v14
.LBB78_148:
	s_mov_b64 s[40:41], 0
	global_store_byte v[10:11], v22, off
.LBB78_149:
	s_and_b64 vcc, exec, s[40:41]
	s_cbranch_vccz .LBB78_151
; %bb.150:
	s_and_b64 s[40:41], s[20:21], exec
	s_cselect_b32 s42, s56, s55
	s_and_b64 s[40:41], s[18:19], exec
	s_cselect_b32 s40, s58, s42
	v_or_b32_e32 v22, s40, v14
	global_store_byte v[10:11], v22, off
.LBB78_151:
	s_mov_b64 s[40:41], 0
.LBB78_152:
	s_andn2_b64 vcc, exec, s[40:41]
	s_cbranch_vccnz .LBB78_154
; %bb.153:
	s_and_b64 s[40:41], s[16:17], exec
	s_cselect_b32 s42, s53, s52
	s_and_b64 s[40:41], s[14:15], exec
	s_cselect_b32 s40, s54, s42
	v_or_b32_e32 v22, s40, v14
	global_store_byte v[10:11], v22, off
.LBB78_154:
	s_mov_b64 s[42:43], 0
	s_mov_b64 s[40:41], -1
.LBB78_155:
	s_andn2_b64 vcc, exec, s[42:43]
	s_cbranch_vccnz .LBB78_163
; %bb.156:
	v_mov_b32_e32 v22, 14
	v_cmp_gt_i16_sdwa s[44:45], s33, v22 src0_sel:BYTE_0 src1_sel:DWORD
	s_mov_b64 s[42:43], -1
	s_and_b64 vcc, exec, s[44:45]
	s_cbranch_vccz .LBB78_160
; %bb.157:
	v_mov_b32_e32 v22, 15
	v_cmp_eq_u16_sdwa s[42:43], s33, v22 src0_sel:BYTE_0 src1_sel:DWORD
	s_mov_b64 s[36:37], -1
	s_and_b64 vcc, exec, s[42:43]
	s_cbranch_vccz .LBB78_159
; %bb.158:
	global_store_short v[10:11], v15, off
	s_mov_b64 s[40:41], -1
	s_mov_b64 s[36:37], 0
.LBB78_159:
	s_mov_b64 s[42:43], 0
.LBB78_160:
	s_and_b64 vcc, exec, s[42:43]
	s_cbranch_vccz .LBB78_163
; %bb.161:
	v_mov_b32_e32 v22, 11
	v_cmp_eq_u16_sdwa s[42:43], s33, v22 src0_sel:BYTE_0 src1_sel:DWORD
	s_mov_b64 s[36:37], -1
	s_and_b64 vcc, exec, s[42:43]
	s_cbranch_vccz .LBB78_163
; %bb.162:
	s_mov_b64 s[40:41], -1
	s_mov_b64 s[36:37], 0
	global_store_byte v[10:11], v13, off
.LBB78_163:
	s_branch .LBB78_113
.LBB78_164:
	v_mov_b32_e32 v22, 5
	v_cmp_lt_i16_sdwa s[42:43], s33, v22 src0_sel:BYTE_0 src1_sel:DWORD
	s_mov_b64 s[40:41], -1
	s_and_b64 vcc, exec, s[42:43]
	s_cbranch_vccnz .LBB78_185
; %bb.165:
	v_mov_b32_e32 v22, 8
	v_cmp_lt_i16_sdwa s[42:43], s33, v22 src0_sel:BYTE_0 src1_sel:DWORD
	s_and_b64 vcc, exec, s[42:43]
	s_cbranch_vccnz .LBB78_175
; %bb.166:
	v_mov_b32_e32 v22, 9
	v_cmp_lt_i16_sdwa s[42:43], s33, v22 src0_sel:BYTE_0 src1_sel:DWORD
	s_and_b64 vcc, exec, s[42:43]
	s_cbranch_vccnz .LBB78_172
; %bb.167:
	v_cmp_gt_i16_sdwa s[42:43], s33, v22 src0_sel:BYTE_0 src1_sel:DWORD
	s_and_b64 vcc, exec, s[42:43]
	s_cbranch_vccz .LBB78_169
; %bb.168:
	s_mov_b64 s[40:41], 0
	global_store_dwordx4 v[10:11], v[0:3], off
.LBB78_169:
	s_andn2_b64 vcc, exec, s[40:41]
	s_cbranch_vccnz .LBB78_171
; %bb.170:
	global_store_dwordx2 v[10:11], v[6:7], off
.LBB78_171:
	s_mov_b64 s[40:41], 0
.LBB78_172:
	s_andn2_b64 vcc, exec, s[40:41]
	s_cbranch_vccnz .LBB78_174
; %bb.173:
	v_mov_b32_e32 v22, s11
	global_store_dword v[10:11], v22, off
.LBB78_174:
	s_mov_b64 s[40:41], 0
.LBB78_175:
	s_andn2_b64 vcc, exec, s[40:41]
	s_cbranch_vccnz .LBB78_184
; %bb.176:
	v_mov_b32_e32 v22, 6
	v_cmp_lt_i16_sdwa s[42:43], s33, v22 src0_sel:BYTE_0 src1_sel:DWORD
	s_mov_b64 s[40:41], -1
	s_and_b64 vcc, exec, s[42:43]
	s_cbranch_vccnz .LBB78_182
; %bb.177:
	v_cmp_gt_i16_sdwa s[42:43], s33, v22 src0_sel:BYTE_0 src1_sel:DWORD
	s_and_b64 vcc, exec, s[42:43]
	s_cbranch_vccz .LBB78_179
; %bb.178:
	s_mov_b64 s[40:41], 0
	global_store_dwordx2 v[10:11], v[0:1], off
.LBB78_179:
	s_andn2_b64 vcc, exec, s[40:41]
	s_cbranch_vccnz .LBB78_181
; %bb.180:
	global_store_dword v[10:11], v6, off
.LBB78_181:
	s_mov_b64 s[40:41], 0
.LBB78_182:
	s_andn2_b64 vcc, exec, s[40:41]
	s_cbranch_vccnz .LBB78_184
; %bb.183:
	v_mov_b32_e32 v22, s11
	global_store_short v[10:11], v22, off
.LBB78_184:
	s_mov_b64 s[40:41], 0
.LBB78_185:
	s_andn2_b64 vcc, exec, s[40:41]
	s_cbranch_vccnz .LBB78_201
; %bb.186:
	v_mov_b32_e32 v22, 2
	v_cmp_lt_i16_sdwa s[42:43], s33, v22 src0_sel:BYTE_0 src1_sel:DWORD
	s_mov_b64 s[40:41], -1
	s_and_b64 vcc, exec, s[42:43]
	s_cbranch_vccnz .LBB78_196
; %bb.187:
	v_mov_b32_e32 v22, 3
	v_cmp_lt_i16_sdwa s[42:43], s33, v22 src0_sel:BYTE_0 src1_sel:DWORD
	s_and_b64 vcc, exec, s[42:43]
	s_cbranch_vccnz .LBB78_193
; %bb.188:
	v_cmp_gt_i16_sdwa s[42:43], s33, v22 src0_sel:BYTE_0 src1_sel:DWORD
	s_and_b64 vcc, exec, s[42:43]
	s_cbranch_vccz .LBB78_190
; %bb.189:
	s_mov_b64 s[40:41], 0
	global_store_dwordx2 v[10:11], v[4:5], off
.LBB78_190:
	s_andn2_b64 vcc, exec, s[40:41]
	s_cbranch_vccnz .LBB78_192
; %bb.191:
	global_store_dword v[10:11], v4, off
.LBB78_192:
	s_mov_b64 s[40:41], 0
.LBB78_193:
	s_andn2_b64 vcc, exec, s[40:41]
	s_cbranch_vccnz .LBB78_195
; %bb.194:
	global_store_short v[10:11], v12, off
.LBB78_195:
	s_mov_b64 s[40:41], 0
.LBB78_196:
	s_andn2_b64 vcc, exec, s[40:41]
	s_cbranch_vccnz .LBB78_201
; %bb.197:
	v_mov_b32_e32 v22, 0
	v_cmp_gt_i16_sdwa s[42:43], s33, v22 src0_sel:BYTE_0 src1_sel:DWORD
	s_mov_b64 s[40:41], -1
	s_and_b64 vcc, exec, s[42:43]
	s_cbranch_vccz .LBB78_199
; %bb.198:
	s_mov_b64 s[40:41], 0
	global_store_byte v[10:11], v12, off
.LBB78_199:
	s_andn2_b64 vcc, exec, s[40:41]
	s_cbranch_vccnz .LBB78_201
; %bb.200:
	global_store_byte v[10:11], v4, off
.LBB78_201:
	s_branch .LBB78_114
.LBB78_202:
	s_mov_b64 s[40:41], 0
                                        ; implicit-def: $vgpr20
.LBB78_203:
	s_andn2_b64 s[42:43], s[30:31], exec
	s_and_b64 s[36:37], s[36:37], exec
	s_or_b64 s[36:37], s[42:43], s[36:37]
	s_orn2_b64 s[42:43], s[40:41], exec
.LBB78_204:
	s_or_b64 exec, exec, s[38:39]
	s_mov_b64 s[44:45], 0
	s_mov_b64 s[40:41], 0
                                        ; implicit-def: $vgpr22
                                        ; implicit-def: $vgpr10_vgpr11
	s_and_saveexec_b64 s[38:39], s[42:43]
	s_cbranch_execz .LBB78_363
; %bb.205:
	v_cmp_gt_i32_e32 vcc, s48, v20
	s_mov_b64 s[46:47], -1
	s_mov_b64 s[42:43], s[36:37]
	s_and_saveexec_b64 s[40:41], vcc
	s_cbranch_execz .LBB78_306
; %bb.206:
	v_mul_lo_u32 v10, v20, s10
	v_ashrrev_i32_e32 v11, 31, v10
	v_mov_b32_e32 v22, s9
	v_add_co_u32_e32 v10, vcc, s8, v10
	v_addc_co_u32_e32 v11, vcc, v22, v11, vcc
	v_mov_b32_e32 v22, 11
	v_cmp_lt_i16_sdwa s[42:43], s33, v22 src0_sel:BYTE_0 src1_sel:DWORD
	s_and_b64 vcc, exec, s[42:43]
	s_cbranch_vccnz .LBB78_213
; %bb.207:
	v_mov_b32_e32 v22, 25
	v_cmp_gt_i16_sdwa s[42:43], s33, v22 src0_sel:BYTE_0 src1_sel:DWORD
	s_and_b64 vcc, exec, s[42:43]
	s_cbranch_vccz .LBB78_214
; %bb.208:
	v_mov_b32_e32 v22, 28
	v_cmp_gt_i16_sdwa s[42:43], s33, v22 src0_sel:BYTE_0 src1_sel:DWORD
	s_and_b64 vcc, exec, s[42:43]
	s_cbranch_vccz .LBB78_215
	;; [unrolled: 5-line block ×4, first 2 shown]
; %bb.211:
	v_mov_b32_e32 v22, 46
	v_cmp_eq_u16_sdwa s[44:45], s33, v22 src0_sel:BYTE_0 src1_sel:DWORD
	s_mov_b64 s[46:47], 0
	s_mov_b64 s[42:43], -1
	s_and_b64 vcc, exec, s[44:45]
	s_mov_b64 s[44:45], 0
	s_cbranch_vccz .LBB78_218
; %bb.212:
	global_store_dword v[10:11], v21, off
	s_mov_b64 s[44:45], -1
	s_mov_b64 s[42:43], 0
	s_branch .LBB78_218
.LBB78_213:
	s_mov_b64 s[42:43], s[36:37]
	s_branch .LBB78_263
.LBB78_214:
	s_mov_b64 s[42:43], s[36:37]
	s_branch .LBB78_240
.LBB78_215:
	s_mov_b64 s[42:43], s[36:37]
	s_branch .LBB78_226
.LBB78_216:
	s_mov_b64 s[42:43], s[36:37]
	s_branch .LBB78_222
.LBB78_217:
	s_mov_b64 s[42:43], s[36:37]
.LBB78_218:
	s_and_b64 vcc, exec, s[46:47]
	s_cbranch_vccz .LBB78_221
; %bb.219:
	v_mov_b32_e32 v22, 44
	v_cmp_eq_u16_sdwa s[46:47], s33, v22 src0_sel:BYTE_0 src1_sel:DWORD
	s_mov_b64 s[42:43], -1
	s_and_b64 vcc, exec, s[46:47]
	s_cbranch_vccz .LBB78_221
; %bb.220:
	v_mov_b32_e32 v22, 0xff
	v_cndmask_b32_e64 v22, v19, v22, s[4:5]
	s_mov_b64 s[44:45], -1
	s_mov_b64 s[42:43], 0
	global_store_byte v[10:11], v22, off
.LBB78_221:
	s_mov_b64 s[46:47], 0
.LBB78_222:
	s_and_b64 vcc, exec, s[46:47]
	s_cbranch_vccz .LBB78_225
; %bb.223:
	v_mov_b32_e32 v22, 29
	v_cmp_eq_u16_sdwa s[46:47], s33, v22 src0_sel:BYTE_0 src1_sel:DWORD
	s_mov_b64 s[42:43], -1
	s_and_b64 vcc, exec, s[46:47]
	s_cbranch_vccz .LBB78_225
; %bb.224:
	global_store_dwordx2 v[10:11], v[8:9], off
	s_mov_b64 s[44:45], -1
	s_mov_b64 s[42:43], 0
.LBB78_225:
	s_mov_b64 s[46:47], 0
.LBB78_226:
	s_and_b64 vcc, exec, s[46:47]
	s_cbranch_vccz .LBB78_239
; %bb.227:
	v_mov_b32_e32 v22, 27
	v_cmp_lt_i16_sdwa s[46:47], s33, v22 src0_sel:BYTE_0 src1_sel:DWORD
	s_mov_b64 s[44:45], -1
	s_and_b64 vcc, exec, s[46:47]
	s_cbranch_vccnz .LBB78_233
; %bb.228:
	v_cmp_gt_i16_sdwa s[46:47], s33, v22 src0_sel:BYTE_0 src1_sel:DWORD
	s_and_b64 vcc, exec, s[46:47]
	s_cbranch_vccz .LBB78_230
; %bb.229:
	s_mov_b64 s[44:45], 0
	global_store_dword v[10:11], v8, off
.LBB78_230:
	s_andn2_b64 vcc, exec, s[44:45]
	s_cbranch_vccnz .LBB78_232
; %bb.231:
	global_store_short v[10:11], v18, off
.LBB78_232:
	s_mov_b64 s[44:45], 0
.LBB78_233:
	s_andn2_b64 vcc, exec, s[44:45]
	s_cbranch_vccnz .LBB78_238
; %bb.234:
	s_andn2_b64 vcc, exec, s[26:27]
	v_mov_b32_e32 v22, 0x80
	s_cbranch_vccnz .LBB78_237
; %bb.235:
	s_or_b64 s[44:45], s[2:3], s[28:29]
	s_andn2_b64 vcc, exec, s[44:45]
	v_mov_b32_e32 v22, 0
	s_cbranch_vccnz .LBB78_237
; %bb.236:
	v_mov_b32_e32 v22, s59
	v_cndmask_b32_e64 v22, v17, v22, s[2:3]
	v_or_b32_e32 v22, v22, v14
.LBB78_237:
	global_store_byte v[10:11], v22, off
.LBB78_238:
	s_mov_b64 s[44:45], -1
.LBB78_239:
	s_mov_b64 s[46:47], 0
.LBB78_240:
	s_and_b64 vcc, exec, s[46:47]
	s_cbranch_vccz .LBB78_262
; %bb.241:
	v_mov_b32_e32 v22, 22
	v_cmp_gt_i16_sdwa s[50:51], s33, v22 src0_sel:BYTE_0 src1_sel:DWORD
	s_mov_b64 s[46:47], -1
	s_and_b64 vcc, exec, s[50:51]
	s_cbranch_vccz .LBB78_254
; %bb.242:
	v_mov_b32_e32 v22, 24
	v_cmp_lt_i16_sdwa s[46:47], s33, v22 src0_sel:BYTE_0 src1_sel:DWORD
	s_mov_b64 s[44:45], -1
	s_and_b64 vcc, exec, s[46:47]
	s_cbranch_vccnz .LBB78_251
; %bb.243:
	v_cmp_gt_i16_sdwa s[46:47], s33, v22 src0_sel:BYTE_0 src1_sel:DWORD
	s_and_b64 vcc, exec, s[46:47]
	s_cbranch_vccz .LBB78_248
; %bb.244:
	s_andn2_b64 vcc, exec, s[22:23]
	v_mov_b32_e32 v22, 0x80
	s_cbranch_vccnz .LBB78_247
; %bb.245:
	s_or_b64 s[44:45], s[0:1], s[24:25]
	s_andn2_b64 vcc, exec, s[44:45]
	v_mov_b32_e32 v22, 0
	s_cbranch_vccnz .LBB78_247
; %bb.246:
	v_mov_b32_e32 v22, s57
	v_cndmask_b32_e64 v22, v16, v22, s[0:1]
	v_or_b32_e32 v22, v22, v14
.LBB78_247:
	s_mov_b64 s[44:45], 0
	global_store_byte v[10:11], v22, off
.LBB78_248:
	s_and_b64 vcc, exec, s[44:45]
	s_cbranch_vccz .LBB78_250
; %bb.249:
	s_and_b64 s[44:45], s[20:21], exec
	s_cselect_b32 s46, s56, s55
	s_and_b64 s[44:45], s[18:19], exec
	s_cselect_b32 s44, s58, s46
	v_or_b32_e32 v22, s44, v14
	global_store_byte v[10:11], v22, off
.LBB78_250:
	s_mov_b64 s[44:45], 0
.LBB78_251:
	s_andn2_b64 vcc, exec, s[44:45]
	s_cbranch_vccnz .LBB78_253
; %bb.252:
	s_and_b64 s[44:45], s[16:17], exec
	s_cselect_b32 s46, s53, s52
	s_and_b64 s[44:45], s[14:15], exec
	s_cselect_b32 s44, s54, s46
	v_or_b32_e32 v22, s44, v14
	global_store_byte v[10:11], v22, off
.LBB78_253:
	s_mov_b64 s[46:47], 0
	s_mov_b64 s[44:45], -1
.LBB78_254:
	s_andn2_b64 vcc, exec, s[46:47]
	s_cbranch_vccnz .LBB78_262
; %bb.255:
	v_mov_b32_e32 v22, 14
	v_cmp_gt_i16_sdwa s[50:51], s33, v22 src0_sel:BYTE_0 src1_sel:DWORD
	s_mov_b64 s[46:47], -1
	s_and_b64 vcc, exec, s[50:51]
	s_cbranch_vccz .LBB78_259
; %bb.256:
	v_mov_b32_e32 v22, 15
	v_cmp_eq_u16_sdwa s[46:47], s33, v22 src0_sel:BYTE_0 src1_sel:DWORD
	s_mov_b64 s[42:43], -1
	s_and_b64 vcc, exec, s[46:47]
	s_cbranch_vccz .LBB78_258
; %bb.257:
	global_store_short v[10:11], v15, off
	s_mov_b64 s[44:45], -1
	s_mov_b64 s[42:43], 0
.LBB78_258:
	s_mov_b64 s[46:47], 0
.LBB78_259:
	s_and_b64 vcc, exec, s[46:47]
	s_cbranch_vccz .LBB78_262
; %bb.260:
	v_mov_b32_e32 v22, 11
	v_cmp_eq_u16_sdwa s[46:47], s33, v22 src0_sel:BYTE_0 src1_sel:DWORD
	s_mov_b64 s[42:43], -1
	s_and_b64 vcc, exec, s[46:47]
	s_cbranch_vccz .LBB78_262
; %bb.261:
	s_mov_b64 s[44:45], -1
	s_mov_b64 s[42:43], 0
	global_store_byte v[10:11], v13, off
.LBB78_262:
	s_mov_b64 s[46:47], 0
.LBB78_263:
	s_and_b64 vcc, exec, s[46:47]
	s_cbranch_vccz .LBB78_302
; %bb.264:
	v_mov_b32_e32 v22, 5
	v_cmp_lt_i16_sdwa s[46:47], s33, v22 src0_sel:BYTE_0 src1_sel:DWORD
	s_mov_b64 s[44:45], -1
	s_and_b64 vcc, exec, s[46:47]
	s_cbranch_vccnz .LBB78_285
; %bb.265:
	v_mov_b32_e32 v22, 8
	v_cmp_lt_i16_sdwa s[46:47], s33, v22 src0_sel:BYTE_0 src1_sel:DWORD
	s_and_b64 vcc, exec, s[46:47]
	s_cbranch_vccnz .LBB78_275
; %bb.266:
	v_mov_b32_e32 v22, 9
	v_cmp_lt_i16_sdwa s[46:47], s33, v22 src0_sel:BYTE_0 src1_sel:DWORD
	s_and_b64 vcc, exec, s[46:47]
	s_cbranch_vccnz .LBB78_272
; %bb.267:
	v_cmp_gt_i16_sdwa s[46:47], s33, v22 src0_sel:BYTE_0 src1_sel:DWORD
	s_and_b64 vcc, exec, s[46:47]
	s_cbranch_vccz .LBB78_269
; %bb.268:
	s_mov_b64 s[44:45], 0
	global_store_dwordx4 v[10:11], v[0:3], off
.LBB78_269:
	s_andn2_b64 vcc, exec, s[44:45]
	s_cbranch_vccnz .LBB78_271
; %bb.270:
	global_store_dwordx2 v[10:11], v[6:7], off
.LBB78_271:
	s_mov_b64 s[44:45], 0
.LBB78_272:
	s_andn2_b64 vcc, exec, s[44:45]
	s_cbranch_vccnz .LBB78_274
; %bb.273:
	v_mov_b32_e32 v22, s11
	global_store_dword v[10:11], v22, off
.LBB78_274:
	s_mov_b64 s[44:45], 0
.LBB78_275:
	s_andn2_b64 vcc, exec, s[44:45]
	s_cbranch_vccnz .LBB78_284
; %bb.276:
	v_mov_b32_e32 v22, 6
	v_cmp_lt_i16_sdwa s[46:47], s33, v22 src0_sel:BYTE_0 src1_sel:DWORD
	s_mov_b64 s[44:45], -1
	s_and_b64 vcc, exec, s[46:47]
	s_cbranch_vccnz .LBB78_282
; %bb.277:
	v_cmp_gt_i16_sdwa s[46:47], s33, v22 src0_sel:BYTE_0 src1_sel:DWORD
	s_and_b64 vcc, exec, s[46:47]
	s_cbranch_vccz .LBB78_279
; %bb.278:
	s_mov_b64 s[44:45], 0
	global_store_dwordx2 v[10:11], v[0:1], off
.LBB78_279:
	s_andn2_b64 vcc, exec, s[44:45]
	s_cbranch_vccnz .LBB78_281
; %bb.280:
	global_store_dword v[10:11], v6, off
.LBB78_281:
	s_mov_b64 s[44:45], 0
.LBB78_282:
	s_andn2_b64 vcc, exec, s[44:45]
	s_cbranch_vccnz .LBB78_284
; %bb.283:
	v_mov_b32_e32 v22, s11
	global_store_short v[10:11], v22, off
.LBB78_284:
	s_mov_b64 s[44:45], 0
.LBB78_285:
	s_andn2_b64 vcc, exec, s[44:45]
	s_cbranch_vccnz .LBB78_301
; %bb.286:
	v_mov_b32_e32 v22, 2
	v_cmp_lt_i16_sdwa s[46:47], s33, v22 src0_sel:BYTE_0 src1_sel:DWORD
	s_mov_b64 s[44:45], -1
	s_and_b64 vcc, exec, s[46:47]
	s_cbranch_vccnz .LBB78_296
; %bb.287:
	v_mov_b32_e32 v22, 3
	v_cmp_lt_i16_sdwa s[46:47], s33, v22 src0_sel:BYTE_0 src1_sel:DWORD
	s_and_b64 vcc, exec, s[46:47]
	s_cbranch_vccnz .LBB78_293
; %bb.288:
	v_cmp_gt_i16_sdwa s[46:47], s33, v22 src0_sel:BYTE_0 src1_sel:DWORD
	s_and_b64 vcc, exec, s[46:47]
	s_cbranch_vccz .LBB78_290
; %bb.289:
	s_mov_b64 s[44:45], 0
	global_store_dwordx2 v[10:11], v[4:5], off
.LBB78_290:
	s_andn2_b64 vcc, exec, s[44:45]
	s_cbranch_vccnz .LBB78_292
; %bb.291:
	global_store_dword v[10:11], v4, off
.LBB78_292:
	s_mov_b64 s[44:45], 0
.LBB78_293:
	s_andn2_b64 vcc, exec, s[44:45]
	s_cbranch_vccnz .LBB78_295
; %bb.294:
	global_store_short v[10:11], v12, off
.LBB78_295:
	s_mov_b64 s[44:45], 0
.LBB78_296:
	s_andn2_b64 vcc, exec, s[44:45]
	s_cbranch_vccnz .LBB78_301
; %bb.297:
	v_mov_b32_e32 v22, 0
	v_cmp_gt_i16_sdwa s[46:47], s33, v22 src0_sel:BYTE_0 src1_sel:DWORD
	s_mov_b64 s[44:45], -1
	s_and_b64 vcc, exec, s[46:47]
	s_cbranch_vccz .LBB78_299
; %bb.298:
	s_mov_b64 s[44:45], 0
	global_store_byte v[10:11], v12, off
.LBB78_299:
	s_andn2_b64 vcc, exec, s[44:45]
	s_cbranch_vccnz .LBB78_301
; %bb.300:
	global_store_byte v[10:11], v4, off
.LBB78_301:
	s_mov_b64 s[44:45], -1
.LBB78_302:
	s_andn2_b64 vcc, exec, s[44:45]
	s_cbranch_vccnz .LBB78_304
; %bb.303:
	v_add_u32_e32 v20, 0x80, v20
	s_mov_b64 s[44:45], -1
	s_branch .LBB78_305
.LBB78_304:
	s_mov_b64 s[44:45], 0
                                        ; implicit-def: $vgpr20
.LBB78_305:
	s_andn2_b64 s[46:47], s[36:37], exec
	s_and_b64 s[42:43], s[42:43], exec
	s_or_b64 s[42:43], s[46:47], s[42:43]
	s_orn2_b64 s[46:47], s[44:45], exec
.LBB78_306:
	s_or_b64 exec, exec, s[40:41]
	s_mov_b64 s[44:45], 0
	s_mov_b64 s[50:51], 0
                                        ; implicit-def: $vgpr22
                                        ; implicit-def: $vgpr10_vgpr11
	s_and_saveexec_b64 s[40:41], s[46:47]
	s_cbranch_execz .LBB78_362
; %bb.307:
	v_cmp_gt_i32_e32 vcc, s48, v20
	s_mov_b64 s[48:49], 0
	s_mov_b64 s[46:47], s[42:43]
                                        ; implicit-def: $vgpr22
                                        ; implicit-def: $vgpr10_vgpr11
	s_and_saveexec_b64 s[44:45], vcc
	s_cbranch_execz .LBB78_361
; %bb.308:
	v_mul_lo_u32 v10, v20, s10
	v_ashrrev_i32_e32 v11, 31, v10
	v_mov_b32_e32 v20, s9
	v_add_co_u32_e32 v10, vcc, s8, v10
	v_addc_co_u32_e32 v11, vcc, v20, v11, vcc
	v_mov_b32_e32 v20, 0xff
	v_and_b32_e32 v22, s33, v20
	v_cmp_gt_i16_e32 vcc, 11, v22
	s_cbranch_vccnz .LBB78_358
; %bb.309:
	v_cmp_lt_i16_e32 vcc, 25, v22
	s_mov_b64 s[48:49], -1
	s_mov_b64 s[46:47], s[42:43]
	s_cbranch_vccz .LBB78_337
; %bb.310:
	v_cmp_lt_i16_e32 vcc, 28, v22
	s_mov_b64 s[46:47], s[42:43]
	s_cbranch_vccz .LBB78_324
; %bb.311:
	v_cmp_lt_i16_e32 vcc, 43, v22
	;; [unrolled: 4-line block ×3, first 2 shown]
	s_mov_b64 s[46:47], s[42:43]
	s_cbranch_vccz .LBB78_316
; %bb.313:
	v_cmp_eq_u16_e32 vcc, 46, v22
	s_mov_b64 s[46:47], -1
	s_cbranch_vccz .LBB78_315
; %bb.314:
	global_store_dword v[10:11], v21, off
	s_mov_b64 s[46:47], 0
.LBB78_315:
	s_mov_b64 s[48:49], 0
.LBB78_316:
	s_and_b64 vcc, exec, s[48:49]
	s_cbranch_vccz .LBB78_319
; %bb.317:
	v_cmp_eq_u16_e32 vcc, 44, v22
	s_mov_b64 s[46:47], -1
	s_cbranch_vccz .LBB78_319
; %bb.318:
	v_mov_b32_e32 v20, 0xff
	v_cndmask_b32_e64 v19, v19, v20, s[4:5]
	global_store_byte v[10:11], v19, off
	s_mov_b64 s[46:47], 0
.LBB78_319:
	s_mov_b64 s[48:49], 0
.LBB78_320:
	s_and_b64 vcc, exec, s[48:49]
	s_cbranch_vccz .LBB78_323
; %bb.321:
	v_cmp_eq_u16_e32 vcc, 29, v22
	s_mov_b64 s[46:47], -1
	s_cbranch_vccz .LBB78_323
; %bb.322:
	global_store_dwordx2 v[10:11], v[8:9], off
	s_mov_b64 s[46:47], 0
.LBB78_323:
	s_mov_b64 s[48:49], 0
.LBB78_324:
	s_and_b64 vcc, exec, s[48:49]
	s_cbranch_vccz .LBB78_336
; %bb.325:
	v_cmp_gt_i16_e32 vcc, 27, v22
	s_mov_b64 s[4:5], -1
	s_cbranch_vccnz .LBB78_331
; %bb.326:
	v_cmp_lt_i16_e32 vcc, 27, v22
	s_cbranch_vccz .LBB78_328
; %bb.327:
	s_mov_b64 s[4:5], 0
	global_store_dword v[10:11], v8, off
.LBB78_328:
	s_andn2_b64 vcc, exec, s[4:5]
	s_cbranch_vccnz .LBB78_330
; %bb.329:
	global_store_short v[10:11], v18, off
.LBB78_330:
	s_mov_b64 s[4:5], 0
.LBB78_331:
	s_andn2_b64 vcc, exec, s[4:5]
	s_cbranch_vccnz .LBB78_336
; %bb.332:
	s_andn2_b64 vcc, exec, s[26:27]
	v_mov_b32_e32 v8, 0x80
	s_cbranch_vccnz .LBB78_335
; %bb.333:
	s_or_b64 s[4:5], s[2:3], s[28:29]
	s_andn2_b64 vcc, exec, s[4:5]
	v_mov_b32_e32 v8, 0
	s_cbranch_vccnz .LBB78_335
; %bb.334:
	v_mov_b32_e32 v8, s59
	v_cndmask_b32_e64 v8, v17, v8, s[2:3]
	v_or_b32_e32 v8, v8, v14
.LBB78_335:
	global_store_byte v[10:11], v8, off
.LBB78_336:
	s_mov_b64 s[48:49], 0
.LBB78_337:
	s_mov_b64 s[2:3], 0
	s_and_b64 vcc, exec, s[48:49]
	s_cbranch_vccz .LBB78_359
; %bb.338:
	v_cmp_lt_i16_e32 vcc, 22, v22
	s_mov_b64 s[4:5], -1
	s_cbranch_vccz .LBB78_351
; %bb.339:
	v_cmp_gt_i16_e32 vcc, 24, v22
	s_cbranch_vccnz .LBB78_348
; %bb.340:
	v_cmp_lt_i16_e32 vcc, 24, v22
	s_cbranch_vccz .LBB78_345
; %bb.341:
	s_andn2_b64 vcc, exec, s[22:23]
	v_mov_b32_e32 v8, 0x80
	s_cbranch_vccnz .LBB78_344
; %bb.342:
	s_or_b64 s[4:5], s[0:1], s[24:25]
	s_andn2_b64 vcc, exec, s[4:5]
	v_mov_b32_e32 v8, 0
	s_cbranch_vccnz .LBB78_344
; %bb.343:
	v_mov_b32_e32 v8, s57
	v_cndmask_b32_e64 v8, v16, v8, s[0:1]
	v_or_b32_e32 v8, v8, v14
.LBB78_344:
	s_mov_b64 s[4:5], 0
	global_store_byte v[10:11], v8, off
.LBB78_345:
	s_and_b64 vcc, exec, s[4:5]
	s_cbranch_vccz .LBB78_347
; %bb.346:
	s_and_b64 s[0:1], s[20:21], exec
	s_cselect_b32 s4, s56, s55
	s_and_b64 s[0:1], s[18:19], exec
	s_cselect_b32 s0, s58, s4
	v_or_b32_e32 v8, s0, v14
	global_store_byte v[10:11], v8, off
.LBB78_347:
	s_mov_b64 s[4:5], 0
.LBB78_348:
	s_andn2_b64 vcc, exec, s[4:5]
	s_cbranch_vccnz .LBB78_350
; %bb.349:
	s_and_b64 s[0:1], s[16:17], exec
	s_cselect_b32 s4, s53, s52
	s_and_b64 s[0:1], s[14:15], exec
	s_cselect_b32 s0, s54, s4
	v_or_b32_e32 v8, s0, v14
	global_store_byte v[10:11], v8, off
.LBB78_350:
	s_mov_b64 s[4:5], 0
.LBB78_351:
	s_andn2_b64 vcc, exec, s[4:5]
	s_mov_b64 s[0:1], 0
	s_cbranch_vccnz .LBB78_360
; %bb.352:
	v_cmp_lt_i16_e32 vcc, 14, v22
	s_mov_b64 s[4:5], -1
	s_cbranch_vccz .LBB78_356
; %bb.353:
	v_cmp_eq_u16_e32 vcc, 15, v22
	s_mov_b64 s[46:47], -1
	s_cbranch_vccz .LBB78_355
; %bb.354:
	global_store_short v[10:11], v15, off
	s_mov_b64 s[46:47], 0
.LBB78_355:
	s_mov_b64 s[4:5], 0
.LBB78_356:
	s_and_b64 vcc, exec, s[4:5]
	s_cbranch_vccz .LBB78_360
; %bb.357:
	v_cmp_ne_u16_e32 vcc, 11, v22
	s_andn2_b64 s[4:5], s[46:47], exec
	s_and_b64 s[14:15], vcc, exec
	s_mov_b64 s[0:1], -1
	s_or_b64 s[46:47], s[4:5], s[14:15]
	s_branch .LBB78_360
.LBB78_358:
	s_mov_b64 s[0:1], 0
	s_mov_b64 s[2:3], -1
	s_mov_b64 s[46:47], s[42:43]
	s_branch .LBB78_360
.LBB78_359:
	s_mov_b64 s[0:1], 0
.LBB78_360:
	s_and_b64 s[50:51], s[2:3], exec
	s_and_b64 s[48:49], s[0:1], exec
	s_andn2_b64 s[0:1], s[42:43], exec
	s_and_b64 s[2:3], s[46:47], exec
	s_or_b64 s[46:47], s[0:1], s[2:3]
.LBB78_361:
	s_or_b64 exec, exec, s[44:45]
	s_andn2_b64 s[0:1], s[42:43], exec
	s_and_b64 s[2:3], s[46:47], exec
	s_and_b64 s[50:51], s[50:51], exec
	;; [unrolled: 1-line block ×3, first 2 shown]
	s_or_b64 s[42:43], s[0:1], s[2:3]
.LBB78_362:
	s_or_b64 exec, exec, s[40:41]
	s_andn2_b64 s[0:1], s[36:37], exec
	s_and_b64 s[2:3], s[42:43], exec
	s_and_b64 s[40:41], s[50:51], exec
	;; [unrolled: 1-line block ×3, first 2 shown]
	s_or_b64 s[36:37], s[0:1], s[2:3]
.LBB78_363:
	s_or_b64 exec, exec, s[38:39]
	s_andn2_b64 s[0:1], s[30:31], exec
	s_and_b64 s[2:3], s[36:37], exec
	s_and_b64 s[40:41], s[40:41], exec
	;; [unrolled: 1-line block ×3, first 2 shown]
	s_or_b64 s[30:31], s[0:1], s[2:3]
	s_or_b64 exec, exec, s[34:35]
	s_mov_b64 s[0:1], 0
	s_and_saveexec_b64 s[2:3], s[30:31]
	s_cbranch_execz .LBB78_110
.LBB78_364:
	s_mov_b64 s[0:1], exec
	s_andn2_b64 s[38:39], s[38:39], exec
	s_trap 2
	s_or_b64 exec, exec, s[2:3]
	s_and_saveexec_b64 s[2:3], s[38:39]
	s_xor_b64 s[2:3], exec, s[2:3]
	s_cbranch_execnz .LBB78_111
.LBB78_365:
	s_or_b64 exec, exec, s[2:3]
	s_and_saveexec_b64 s[2:3], s[40:41]
	s_xor_b64 s[2:3], exec, s[2:3]
	s_cbranch_execz .LBB78_403
.LBB78_366:
	v_cmp_gt_i16_e32 vcc, 5, v22
	s_mov_b64 s[4:5], -1
	s_cbranch_vccnz .LBB78_387
; %bb.367:
	v_cmp_gt_i16_e32 vcc, 8, v22
	s_cbranch_vccnz .LBB78_377
; %bb.368:
	v_cmp_gt_i16_e32 vcc, 9, v22
	s_cbranch_vccnz .LBB78_374
; %bb.369:
	v_cmp_lt_i16_e32 vcc, 9, v22
	s_cbranch_vccz .LBB78_371
; %bb.370:
	s_mov_b64 s[4:5], 0
	global_store_dwordx4 v[10:11], v[0:3], off
.LBB78_371:
	s_andn2_b64 vcc, exec, s[4:5]
	s_cbranch_vccnz .LBB78_373
; %bb.372:
	global_store_dwordx2 v[10:11], v[6:7], off
.LBB78_373:
	s_mov_b64 s[4:5], 0
.LBB78_374:
	s_andn2_b64 vcc, exec, s[4:5]
	s_cbranch_vccnz .LBB78_376
; %bb.375:
	v_mov_b32_e32 v2, s11
	global_store_dword v[10:11], v2, off
.LBB78_376:
	s_mov_b64 s[4:5], 0
.LBB78_377:
	s_andn2_b64 vcc, exec, s[4:5]
	s_cbranch_vccnz .LBB78_386
; %bb.378:
	v_cmp_gt_i16_e32 vcc, 6, v22
	s_mov_b64 s[4:5], -1
	s_cbranch_vccnz .LBB78_384
; %bb.379:
	v_cmp_lt_i16_e32 vcc, 6, v22
	s_cbranch_vccz .LBB78_381
; %bb.380:
	s_mov_b64 s[4:5], 0
	global_store_dwordx2 v[10:11], v[0:1], off
.LBB78_381:
	s_andn2_b64 vcc, exec, s[4:5]
	s_cbranch_vccnz .LBB78_383
; %bb.382:
	global_store_dword v[10:11], v6, off
.LBB78_383:
	s_mov_b64 s[4:5], 0
.LBB78_384:
	s_andn2_b64 vcc, exec, s[4:5]
	s_cbranch_vccnz .LBB78_386
; %bb.385:
	v_mov_b32_e32 v0, s11
	global_store_short v[10:11], v0, off
.LBB78_386:
	s_mov_b64 s[4:5], 0
.LBB78_387:
	s_andn2_b64 vcc, exec, s[4:5]
	s_cbranch_vccnz .LBB78_403
; %bb.388:
	v_cmp_gt_i16_e32 vcc, 2, v22
	s_mov_b64 s[4:5], -1
	s_cbranch_vccnz .LBB78_398
; %bb.389:
	v_cmp_gt_i16_e32 vcc, 3, v22
	s_cbranch_vccnz .LBB78_395
; %bb.390:
	v_cmp_lt_i16_e32 vcc, 3, v22
	s_cbranch_vccz .LBB78_392
; %bb.391:
	s_mov_b64 s[4:5], 0
	global_store_dwordx2 v[10:11], v[4:5], off
.LBB78_392:
	s_andn2_b64 vcc, exec, s[4:5]
	s_cbranch_vccnz .LBB78_394
; %bb.393:
	global_store_dword v[10:11], v4, off
.LBB78_394:
	s_mov_b64 s[4:5], 0
.LBB78_395:
	s_andn2_b64 vcc, exec, s[4:5]
	s_cbranch_vccnz .LBB78_397
; %bb.396:
	global_store_short v[10:11], v12, off
.LBB78_397:
	s_mov_b64 s[4:5], 0
.LBB78_398:
	s_andn2_b64 vcc, exec, s[4:5]
	s_cbranch_vccnz .LBB78_403
; %bb.399:
	v_cmp_lt_i16_e32 vcc, 0, v22
	s_mov_b64 s[4:5], -1
	s_cbranch_vccz .LBB78_401
; %bb.400:
	s_mov_b64 s[4:5], 0
	global_store_byte v[10:11], v12, off
.LBB78_401:
	s_andn2_b64 vcc, exec, s[4:5]
	s_cbranch_vccnz .LBB78_403
; %bb.402:
	global_store_byte v[10:11], v4, off
.LBB78_403:
	s_or_b64 exec, exec, s[2:3]
	s_and_b64 s[0:1], s[0:1], exec
                                        ; implicit-def: $vgpr20
.LBB78_404:
	s_or_saveexec_b64 s[2:3], s[12:13]
	s_mov_b64 s[12:13], 0
                                        ; implicit-def: $vgpr2
                                        ; implicit-def: $vgpr0_vgpr1
	s_xor_b64 exec, exec, s[2:3]
	s_cbranch_execz .LBB78_412
; %bb.405:
	v_mul_lo_u32 v2, s10, v20
	v_ashrrev_i32_e32 v1, 31, v2
	v_mov_b32_e32 v3, s9
	v_add_co_u32_e32 v0, vcc, s8, v2
	v_addc_co_u32_e32 v1, vcc, v3, v1, vcc
	v_mov_b32_e32 v3, 11
	v_cmp_lt_i16_sdwa s[4:5], s33, v3 src0_sel:BYTE_0 src1_sel:DWORD
	s_and_b64 vcc, exec, s[4:5]
	s_cbranch_vccnz .LBB78_415
; %bb.406:
	v_mov_b32_e32 v3, 25
	v_cmp_gt_i16_sdwa s[4:5], s33, v3 src0_sel:BYTE_0 src1_sel:DWORD
	s_mov_b64 s[14:15], -1
	s_and_b64 vcc, exec, s[4:5]
	s_mov_b64 s[4:5], 0
	s_cbranch_vccz .LBB78_448
; %bb.407:
	v_mov_b32_e32 v3, 28
	v_cmp_gt_i16_sdwa s[4:5], s33, v3 src0_sel:BYTE_0 src1_sel:DWORD
	s_and_b64 vcc, exec, s[4:5]
	s_cbranch_vccz .LBB78_417
; %bb.408:
	v_mov_b32_e32 v3, 43
	v_cmp_gt_i16_sdwa s[4:5], s33, v3 src0_sel:BYTE_0 src1_sel:DWORD
	s_and_b64 vcc, exec, s[4:5]
	;; [unrolled: 5-line block ×3, first 2 shown]
	s_cbranch_vccz .LBB78_419
; %bb.410:
	v_mov_b32_e32 v3, 46
	v_cmp_eq_u16_sdwa s[12:13], s33, v3 src0_sel:BYTE_0 src1_sel:DWORD
	s_mov_b64 s[4:5], -1
	s_mov_b64 s[14:15], 0
	s_and_b64 vcc, exec, s[12:13]
	s_mov_b64 s[12:13], 0
	s_cbranch_vccz .LBB78_420
; %bb.411:
	s_lshr_b32 s4, s11, 16
	v_cvt_f32_f16_e32 v4, s4
	v_cvt_f32_f16_e32 v3, s11
	v_cmp_o_f16_e64 vcc, s4, s4
	s_mov_b64 s[4:5], 0
	v_bfe_u32 v6, v4, 16, 1
	v_bfe_u32 v5, v3, 16, 1
	v_add_u32_e32 v4, v4, v6
	v_add_u32_e32 v3, v3, v5
	;; [unrolled: 1-line block ×4, first 2 shown]
	v_and_b32_e32 v4, 0xffff0000, v4
	v_mov_b32_e32 v5, 0x7fc00000
	v_lshrrev_b32_e32 v3, 16, v3
	v_cndmask_b32_e32 v4, v5, v4, vcc
	v_mov_b32_e32 v5, 0x7fc0
	v_cmp_o_f16_e64 vcc, s11, s11
	v_cndmask_b32_e32 v3, v5, v3, vcc
	v_or_b32_e32 v3, v4, v3
	global_store_dword v[0:1], v3, off
	s_mov_b64 s[12:13], -1
	s_branch .LBB78_420
.LBB78_412:
	s_or_b64 exec, exec, s[2:3]
	s_and_saveexec_b64 s[2:3], s[0:1]
	s_cbranch_execz .LBB78_842
.LBB78_413:
	; divergent unreachable
	s_or_b64 exec, exec, s[2:3]
	s_and_saveexec_b64 s[0:1], s[6:7]
	s_xor_b64 s[0:1], exec, s[0:1]
	s_cbranch_execnz .LBB78_843
.LBB78_414:
	s_or_b64 exec, exec, s[0:1]
	s_and_saveexec_b64 s[0:1], s[12:13]
	s_cbranch_execnz .LBB78_844
	s_branch .LBB78_881
.LBB78_415:
	s_mov_b64 s[4:5], s[0:1]
	s_cbranch_execnz .LBB78_498
.LBB78_416:
	s_andn2_b64 vcc, exec, s[12:13]
	s_cbranch_vccz .LBB78_536
	s_branch .LBB78_840
.LBB78_417:
	s_mov_b64 s[4:5], 0
	s_branch .LBB78_429
.LBB78_418:
	s_mov_b64 s[4:5], 0
	s_and_b64 vcc, exec, s[14:15]
	s_cbranch_vccnz .LBB78_426
	s_branch .LBB78_428
.LBB78_419:
	s_mov_b64 s[4:5], 0
.LBB78_420:
	s_and_b64 vcc, exec, s[14:15]
	s_cbranch_vccz .LBB78_425
; %bb.421:
	v_mov_b32_e32 v3, 44
	v_cmp_eq_u16_sdwa s[14:15], s33, v3 src0_sel:BYTE_0 src1_sel:DWORD
	s_mov_b64 s[4:5], -1
	s_and_b64 vcc, exec, s[14:15]
	s_cbranch_vccz .LBB78_425
; %bb.422:
	v_cvt_f32_f16_e32 v3, s11
	v_mov_b32_e32 v4, 0xff
	v_readfirstlane_b32 s4, v3
	s_bfe_u32 s5, s4, 0x80017
	s_cmpk_eq_i32 s5, 0xff
	s_cbranch_scc1 .LBB78_424
; %bb.423:
	s_bitcmp1_b32 s4, 22
	s_cselect_b64 s[12:13], -1, 0
	s_and_b32 s4, s4, 0x3fffff
	s_or_b32 s4, s5, s4
	s_cmp_lg_u32 s4, 0
	s_cselect_b64 s[4:5], -1, 0
	s_and_b64 s[4:5], s[12:13], s[4:5]
	v_lshrrev_b32_e32 v3, 23, v3
	v_cndmask_b32_e64 v4, 0, 1, s[4:5]
	v_add_u32_e32 v4, v3, v4
.LBB78_424:
	s_mov_b64 s[4:5], 0
	s_mov_b64 s[12:13], -1
	global_store_byte v[0:1], v4, off
.LBB78_425:
	s_branch .LBB78_428
.LBB78_426:
	v_mov_b32_e32 v3, 29
	v_cmp_eq_u16_sdwa s[14:15], s33, v3 src0_sel:BYTE_0 src1_sel:DWORD
	s_mov_b64 s[4:5], -1
	s_and_b64 vcc, exec, s[14:15]
	s_cbranch_vccz .LBB78_428
; %bb.427:
	v_cvt_f32_f16_e32 v3, s11
	v_mov_b32_e32 v5, 0
	s_mov_b64 s[4:5], 0
	s_mov_b64 s[12:13], -1
	v_cvt_u32_f32_e32 v4, v3
	s_mov_b64 s[14:15], 0
	global_store_dwordx2 v[0:1], v[4:5], off
	s_branch .LBB78_429
.LBB78_428:
	s_mov_b64 s[14:15], 0
.LBB78_429:
	s_and_b64 vcc, exec, s[14:15]
	s_cbranch_vccz .LBB78_447
; %bb.430:
	v_mov_b32_e32 v3, 27
	v_cmp_lt_i16_sdwa s[14:15], s33, v3 src0_sel:BYTE_0 src1_sel:DWORD
	s_mov_b64 s[12:13], -1
	s_and_b64 vcc, exec, s[14:15]
	s_cbranch_vccnz .LBB78_436
; %bb.431:
	v_cmp_gt_i16_sdwa s[14:15], s33, v3 src0_sel:BYTE_0 src1_sel:DWORD
	s_and_b64 vcc, exec, s[14:15]
	s_cbranch_vccz .LBB78_433
; %bb.432:
	v_cvt_f32_f16_e32 v3, s11
	s_mov_b64 s[12:13], 0
	v_cvt_u32_f32_e32 v3, v3
	global_store_dword v[0:1], v3, off
.LBB78_433:
	s_andn2_b64 vcc, exec, s[12:13]
	s_cbranch_vccnz .LBB78_435
; %bb.434:
	v_cvt_u16_f16_e32 v3, s11
	global_store_short v[0:1], v3, off
.LBB78_435:
	s_mov_b64 s[12:13], 0
.LBB78_436:
	s_andn2_b64 vcc, exec, s[12:13]
	s_cbranch_vccnz .LBB78_446
; %bb.437:
	v_cvt_f32_f16_e32 v3, s11
	v_mov_b32_e32 v4, 0x80
	v_readfirstlane_b32 s16, v3
	s_and_b32 s12, s16, 0x7fffffff
	s_cmp_gt_u32 s12, 0x437fffff
	s_cbranch_scc1 .LBB78_445
; %bb.438:
	s_cmp_gt_u32 s12, 0x3bffffff
	s_cbranch_scc0 .LBB78_440
; %bb.439:
	s_bfe_u32 s12, s16, 0x10014
	s_add_i32 s12, s16, s12
	s_add_i32 s12, s12, 0x487ffff
	s_lshr_b32 s17, s12, 20
	s_mov_b64 s[14:15], 0
	s_mov_b64 s[12:13], -1
	s_branch .LBB78_441
.LBB78_440:
	s_mov_b64 s[14:15], -1
	s_mov_b64 s[12:13], 0
                                        ; implicit-def: $sgpr17
.LBB78_441:
	s_andn2_b64 vcc, exec, s[14:15]
	v_mov_b32_e32 v3, s17
                                        ; implicit-def: $sgpr14
	s_cbranch_vccnz .LBB78_443
; %bb.442:
	v_mov_b32_e32 v3, 0x46000000
	v_add_f32_e64 v3, |s16|, v3
	v_and_b32_e32 v3, 0xff, v3
	s_mov_b32 s14, 0
	v_cmp_ne_u32_e64 s[12:13], 0, v3
.LBB78_443:
	s_andn2_b64 vcc, exec, s[12:13]
	v_mov_b32_e32 v4, s14
	s_cbranch_vccnz .LBB78_445
; %bb.444:
	s_lshr_b32 s12, s16, 24
	s_and_b32 s12, s12, 0x80
	v_or_b32_e32 v4, s12, v3
.LBB78_445:
	global_store_byte v[0:1], v4, off
.LBB78_446:
	s_mov_b64 s[12:13], -1
.LBB78_447:
	s_mov_b64 s[14:15], 0
.LBB78_448:
	s_and_b64 vcc, exec, s[14:15]
	s_cbranch_vccz .LBB78_494
; %bb.449:
	v_mov_b32_e32 v3, 22
	v_cmp_gt_i16_sdwa s[14:15], s33, v3 src0_sel:BYTE_0 src1_sel:DWORD
	s_mov_b64 s[6:7], -1
	s_and_b64 vcc, exec, s[14:15]
	s_cbranch_vccz .LBB78_487
; %bb.450:
	v_mov_b32_e32 v3, 24
	v_cmp_lt_i16_sdwa s[12:13], s33, v3 src0_sel:BYTE_0 src1_sel:DWORD
	s_and_b64 vcc, exec, s[12:13]
	s_cbranch_vccnz .LBB78_474
; %bb.451:
	v_cmp_gt_i16_sdwa s[12:13], s33, v3 src0_sel:BYTE_0 src1_sel:DWORD
	s_and_b64 vcc, exec, s[12:13]
	s_cbranch_vccz .LBB78_461
; %bb.452:
	v_cvt_f32_f16_e32 v3, s11
	v_mov_b32_e32 v4, 0x80
	v_readfirstlane_b32 s14, v3
	s_and_b32 s6, s14, 0x7fffffff
	s_cmp_gt_u32 s6, 0x477fffff
	s_cbranch_scc1 .LBB78_460
; %bb.453:
	s_cmp_gt_u32 s6, 0x37ffffff
	s_cbranch_scc0 .LBB78_455
; %bb.454:
	s_bfe_u32 s6, s14, 0x10015
	s_add_i32 s6, s14, s6
	s_add_i32 s6, s6, 0x88fffff
	s_lshr_b32 s15, s6, 21
	s_mov_b64 s[12:13], 0
	s_mov_b64 s[6:7], -1
	s_branch .LBB78_456
.LBB78_455:
	s_mov_b64 s[12:13], -1
	s_mov_b64 s[6:7], 0
                                        ; implicit-def: $sgpr15
.LBB78_456:
	s_andn2_b64 vcc, exec, s[12:13]
	v_mov_b32_e32 v3, s15
                                        ; implicit-def: $sgpr12
	s_cbranch_vccnz .LBB78_458
; %bb.457:
	v_mov_b32_e32 v3, 0x42800000
	v_add_f32_e64 v3, |s14|, v3
	v_and_b32_e32 v3, 0xff, v3
	s_mov_b32 s12, 0
	v_cmp_ne_u32_e64 s[6:7], 0, v3
.LBB78_458:
	s_andn2_b64 vcc, exec, s[6:7]
	v_mov_b32_e32 v4, s12
	s_cbranch_vccnz .LBB78_460
; %bb.459:
	s_lshr_b32 s6, s14, 24
	s_and_b32 s6, s6, 0x80
	v_or_b32_e32 v4, s6, v3
.LBB78_460:
	s_mov_b64 s[6:7], 0
	global_store_byte v[0:1], v4, off
.LBB78_461:
	s_and_b64 vcc, exec, s[6:7]
	s_cbranch_vccz .LBB78_473
; %bb.462:
	v_cvt_f32_f16_e32 v3, s11
	v_readfirstlane_b32 s12, v3
	s_and_b32 s13, s12, 0x7fffffff
	s_cmp_lt_u32 s13, 0x43f00000
	s_cbranch_scc0 .LBB78_465
; %bb.463:
	s_cmp_gt_u32 s13, 0x3c7fffff
	s_cbranch_scc0 .LBB78_466
; %bb.464:
	s_bfe_u32 s6, s12, 0x10014
	s_add_i32 s6, s12, s6
	s_add_i32 s6, s6, 0x407ffff
	s_lshr_b32 s7, s6, 20
	s_and_b32 s6, s6, 0xff00000
	s_cmp_lg_u32 s6, 0x7f00000
	s_cselect_b32 s14, s7, 0x7e
	s_mov_b64 s[6:7], 0
	s_branch .LBB78_467
.LBB78_465:
	s_mov_b64 s[6:7], -1
                                        ; implicit-def: $vgpr4
	s_branch .LBB78_470
.LBB78_466:
	s_mov_b64 s[6:7], -1
                                        ; implicit-def: $sgpr14
.LBB78_467:
	s_andn2_b64 vcc, exec, s[6:7]
	v_mov_b32_e32 v4, s14
	s_cbranch_vccnz .LBB78_469
; %bb.468:
	s_mov_b32 s6, 0x46800000
	v_add_f32_e64 v4, |v3|, s6
.LBB78_469:
	s_mov_b64 s[6:7], 0
.LBB78_470:
	s_andn2_b64 vcc, exec, s[6:7]
	s_cbranch_vccnz .LBB78_472
; %bb.471:
	s_cmp_gt_u32 s13, 0x7f800000
	s_movk_i32 s6, 0x7f
	s_cselect_b32 s6, s6, 0x7e
	v_mov_b32_e32 v4, s6
.LBB78_472:
	s_lshr_b32 s6, s12, 24
	s_and_b32 s6, s6, 0x80
	v_or_b32_e32 v3, s6, v4
	global_store_byte v[0:1], v3, off
.LBB78_473:
	s_mov_b64 s[6:7], 0
.LBB78_474:
	s_andn2_b64 vcc, exec, s[6:7]
	s_cbranch_vccnz .LBB78_486
; %bb.475:
	v_cvt_f32_f16_e32 v3, s11
	v_readfirstlane_b32 s12, v3
	s_and_b32 s13, s12, 0x7fffffff
	s_cmp_lt_u32 s13, 0x47800000
	s_cbranch_scc0 .LBB78_478
; %bb.476:
	s_cmp_gt_u32 s13, 0x387fffff
	s_cbranch_scc0 .LBB78_479
; %bb.477:
	s_bfe_u32 s6, s12, 0x10015
	s_add_i32 s6, s12, s6
	s_add_i32 s6, s6, 0x80fffff
	s_lshr_b32 s14, s6, 21
	s_mov_b64 s[6:7], 0
	s_branch .LBB78_480
.LBB78_478:
	s_mov_b64 s[6:7], -1
                                        ; implicit-def: $vgpr4
	s_branch .LBB78_483
.LBB78_479:
	s_mov_b64 s[6:7], -1
                                        ; implicit-def: $sgpr14
.LBB78_480:
	s_andn2_b64 vcc, exec, s[6:7]
	v_mov_b32_e32 v4, s14
	s_cbranch_vccnz .LBB78_482
; %bb.481:
	s_mov_b32 s6, 0x43000000
	v_add_f32_e64 v4, |v3|, s6
.LBB78_482:
	s_mov_b64 s[6:7], 0
.LBB78_483:
	s_andn2_b64 vcc, exec, s[6:7]
	s_cbranch_vccnz .LBB78_485
; %bb.484:
	s_cmp_gt_u32 s13, 0x7f800000
	s_movk_i32 s6, 0x7f
	s_cselect_b32 s6, s6, 0x7c
	v_mov_b32_e32 v4, s6
.LBB78_485:
	s_lshr_b32 s6, s12, 24
	s_and_b32 s6, s6, 0x80
	v_or_b32_e32 v3, s6, v4
	global_store_byte v[0:1], v3, off
.LBB78_486:
	s_mov_b64 s[6:7], 0
	s_mov_b64 s[12:13], -1
.LBB78_487:
	s_andn2_b64 vcc, exec, s[6:7]
	s_mov_b64 s[6:7], 0
	s_cbranch_vccnz .LBB78_494
; %bb.488:
	v_mov_b32_e32 v3, 14
	v_cmp_gt_i16_sdwa s[6:7], s33, v3 src0_sel:BYTE_0 src1_sel:DWORD
	s_mov_b64 s[14:15], -1
	s_and_b64 vcc, exec, s[6:7]
	s_cbranch_vccz .LBB78_492
; %bb.489:
	v_mov_b32_e32 v3, 15
	v_cmp_eq_u16_sdwa s[6:7], s33, v3 src0_sel:BYTE_0 src1_sel:DWORD
	s_mov_b64 s[4:5], -1
	s_and_b64 vcc, exec, s[6:7]
	s_cbranch_vccz .LBB78_491
; %bb.490:
	v_cvt_f32_f16_e32 v3, s11
	v_mov_b32_e32 v4, 0x7fc0
	v_cmp_o_f16_e64 vcc, s11, s11
	s_mov_b64 s[4:5], 0
	v_bfe_u32 v5, v3, 16, 1
	v_add_u32_e32 v3, v3, v5
	v_add_u32_e32 v3, 0x7fff, v3
	v_lshrrev_b32_e32 v3, 16, v3
	v_cndmask_b32_e32 v3, v4, v3, vcc
	global_store_short v[0:1], v3, off
	s_mov_b64 s[12:13], -1
.LBB78_491:
	s_mov_b64 s[14:15], 0
.LBB78_492:
	s_mov_b64 s[6:7], 0
	s_and_b64 vcc, exec, s[14:15]
	s_cbranch_vccz .LBB78_494
; %bb.493:
	v_mov_b32_e32 v3, 11
	v_cmp_ne_u16_sdwa s[4:5], s33, v3 src0_sel:BYTE_0 src1_sel:DWORD
	s_mov_b64 s[6:7], -1
.LBB78_494:
	s_and_b64 vcc, exec, s[4:5]
	s_mov_b64 s[4:5], s[0:1]
	s_cbranch_vccnz .LBB78_547
; %bb.495:
	s_andn2_b64 vcc, exec, s[6:7]
	s_cbranch_vccnz .LBB78_497
.LBB78_496:
	s_and_b32 s6, s11, 0x7fff7fff
	s_cmp_lg_u32 s6, 0
	s_cselect_b64 s[6:7], -1, 0
	v_cndmask_b32_e64 v3, 0, 1, s[6:7]
	s_mov_b64 s[12:13], -1
	global_store_byte v[0:1], v3, off
.LBB78_497:
	s_branch .LBB78_416
.LBB78_498:
	v_mov_b32_e32 v3, 5
	v_cmp_lt_i16_sdwa s[12:13], s33, v3 src0_sel:BYTE_0 src1_sel:DWORD
	s_mov_b64 s[6:7], -1
	s_and_b64 vcc, exec, s[12:13]
	s_cbranch_vccnz .LBB78_519
; %bb.499:
	v_mov_b32_e32 v3, 8
	v_cmp_lt_i16_sdwa s[12:13], s33, v3 src0_sel:BYTE_0 src1_sel:DWORD
	s_and_b64 vcc, exec, s[12:13]
	s_cbranch_vccnz .LBB78_509
; %bb.500:
	v_mov_b32_e32 v3, 9
	v_cmp_lt_i16_sdwa s[12:13], s33, v3 src0_sel:BYTE_0 src1_sel:DWORD
	s_and_b64 vcc, exec, s[12:13]
	s_cbranch_vccnz .LBB78_506
; %bb.501:
	v_cmp_gt_i16_sdwa s[12:13], s33, v3 src0_sel:BYTE_0 src1_sel:DWORD
	s_and_b64 vcc, exec, s[12:13]
	s_cbranch_vccz .LBB78_503
; %bb.502:
	s_lshr_b32 s6, s11, 16
	v_cvt_f32_f16_e32 v3, s11
	v_cvt_f32_f16_e32 v6, s6
	s_mov_b64 s[6:7], 0
	v_cvt_f64_f32_e32 v[4:5], v3
	v_cvt_f64_f32_e32 v[6:7], v6
	global_store_dwordx4 v[0:1], v[4:7], off
.LBB78_503:
	s_andn2_b64 vcc, exec, s[6:7]
	s_cbranch_vccnz .LBB78_505
; %bb.504:
	s_lshr_b32 s6, s11, 16
	v_cvt_f32_f16_e32 v5, s6
	v_cvt_f32_f16_e32 v4, s11
	global_store_dwordx2 v[0:1], v[4:5], off
.LBB78_505:
	s_mov_b64 s[6:7], 0
.LBB78_506:
	s_andn2_b64 vcc, exec, s[6:7]
	s_cbranch_vccnz .LBB78_508
; %bb.507:
	v_mov_b32_e32 v3, s11
	global_store_dword v[0:1], v3, off
.LBB78_508:
	s_mov_b64 s[6:7], 0
.LBB78_509:
	s_andn2_b64 vcc, exec, s[6:7]
	s_cbranch_vccnz .LBB78_518
; %bb.510:
	v_mov_b32_e32 v3, 6
	v_cmp_lt_i16_sdwa s[12:13], s33, v3 src0_sel:BYTE_0 src1_sel:DWORD
	s_mov_b64 s[6:7], -1
	s_and_b64 vcc, exec, s[12:13]
	s_cbranch_vccnz .LBB78_516
; %bb.511:
	v_cmp_gt_i16_sdwa s[12:13], s33, v3 src0_sel:BYTE_0 src1_sel:DWORD
	s_and_b64 vcc, exec, s[12:13]
	s_cbranch_vccz .LBB78_513
; %bb.512:
	v_cvt_f32_f16_e32 v3, s11
	s_mov_b64 s[6:7], 0
	v_cvt_f64_f32_e32 v[4:5], v3
	global_store_dwordx2 v[0:1], v[4:5], off
.LBB78_513:
	s_andn2_b64 vcc, exec, s[6:7]
	s_cbranch_vccnz .LBB78_515
; %bb.514:
	v_cvt_f32_f16_e32 v3, s11
	global_store_dword v[0:1], v3, off
.LBB78_515:
	s_mov_b64 s[6:7], 0
.LBB78_516:
	s_andn2_b64 vcc, exec, s[6:7]
	s_cbranch_vccnz .LBB78_518
; %bb.517:
	v_mov_b32_e32 v3, s11
	global_store_short v[0:1], v3, off
.LBB78_518:
	s_mov_b64 s[6:7], 0
.LBB78_519:
	s_andn2_b64 vcc, exec, s[6:7]
	s_cbranch_vccnz .LBB78_535
; %bb.520:
	v_mov_b32_e32 v3, 2
	v_cmp_lt_i16_sdwa s[12:13], s33, v3 src0_sel:BYTE_0 src1_sel:DWORD
	s_mov_b64 s[6:7], -1
	s_and_b64 vcc, exec, s[12:13]
	s_cbranch_vccnz .LBB78_530
; %bb.521:
	v_mov_b32_e32 v3, 3
	v_cmp_lt_i16_sdwa s[12:13], s33, v3 src0_sel:BYTE_0 src1_sel:DWORD
	s_and_b64 vcc, exec, s[12:13]
	s_cbranch_vccnz .LBB78_527
; %bb.522:
	v_cmp_gt_i16_sdwa s[12:13], s33, v3 src0_sel:BYTE_0 src1_sel:DWORD
	s_and_b64 vcc, exec, s[12:13]
	s_cbranch_vccz .LBB78_524
; %bb.523:
	v_cvt_f32_f16_e32 v3, s11
	s_mov_b64 s[6:7], 0
	v_cvt_i32_f32_e32 v4, v3
	v_ashrrev_i32_e32 v5, 31, v4
	global_store_dwordx2 v[0:1], v[4:5], off
.LBB78_524:
	s_andn2_b64 vcc, exec, s[6:7]
	s_cbranch_vccnz .LBB78_526
; %bb.525:
	v_cvt_f32_f16_e32 v3, s11
	v_cvt_i32_f32_e32 v3, v3
	global_store_dword v[0:1], v3, off
.LBB78_526:
	s_mov_b64 s[6:7], 0
.LBB78_527:
	s_andn2_b64 vcc, exec, s[6:7]
	s_cbranch_vccnz .LBB78_529
; %bb.528:
	v_cvt_i16_f16_e32 v3, s11
	global_store_short v[0:1], v3, off
.LBB78_529:
	s_mov_b64 s[6:7], 0
.LBB78_530:
	s_andn2_b64 vcc, exec, s[6:7]
	s_cbranch_vccnz .LBB78_535
; %bb.531:
	v_mov_b32_e32 v3, 0
	v_cmp_gt_i16_sdwa s[12:13], s33, v3 src0_sel:BYTE_0 src1_sel:DWORD
	s_mov_b64 s[6:7], -1
	s_and_b64 vcc, exec, s[12:13]
	s_cbranch_vccz .LBB78_533
; %bb.532:
	v_cvt_i16_f16_e32 v3, s11
	global_store_byte v[0:1], v3, off
	s_mov_b64 s[6:7], 0
.LBB78_533:
	s_andn2_b64 vcc, exec, s[6:7]
	s_cbranch_vccnz .LBB78_535
; %bb.534:
	v_cvt_f32_f16_e32 v3, s11
	v_cvt_i32_f32_e32 v3, v3
	global_store_byte v[0:1], v3, off
.LBB78_535:
.LBB78_536:
	s_lshl_b32 s10, s10, 7
	v_add_u32_e32 v2, s10, v2
	v_ashrrev_i32_e32 v1, 31, v2
	v_mov_b32_e32 v3, s9
	v_add_co_u32_e32 v0, vcc, s8, v2
	v_addc_co_u32_e32 v1, vcc, v3, v1, vcc
	v_mov_b32_e32 v3, 11
	v_cmp_lt_i16_sdwa s[6:7], s33, v3 src0_sel:BYTE_0 src1_sel:DWORD
	s_and_b64 vcc, exec, s[6:7]
	s_cbranch_vccnz .LBB78_543
; %bb.537:
	v_mov_b32_e32 v3, 25
	v_cmp_gt_i16_sdwa s[6:7], s33, v3 src0_sel:BYTE_0 src1_sel:DWORD
	s_mov_b64 s[16:17], -1
	s_mov_b64 s[12:13], 0
	s_and_b64 vcc, exec, s[6:7]
	s_mov_b64 s[14:15], 0
	s_mov_b64 s[6:7], 0
	s_cbranch_vccz .LBB78_578
; %bb.538:
	v_mov_b32_e32 v3, 28
	v_cmp_gt_i16_sdwa s[6:7], s33, v3 src0_sel:BYTE_0 src1_sel:DWORD
	s_and_b64 vcc, exec, s[6:7]
	s_cbranch_vccz .LBB78_545
; %bb.539:
	v_mov_b32_e32 v3, 43
	v_cmp_gt_i16_sdwa s[6:7], s33, v3 src0_sel:BYTE_0 src1_sel:DWORD
	s_and_b64 vcc, exec, s[6:7]
	s_cbranch_vccz .LBB78_546
; %bb.540:
	v_mov_b32_e32 v3, 45
	v_cmp_gt_i16_sdwa s[6:7], s33, v3 src0_sel:BYTE_0 src1_sel:DWORD
	s_and_b64 vcc, exec, s[6:7]
	s_cbranch_vccz .LBB78_548
; %bb.541:
	v_mov_b32_e32 v3, 46
	v_cmp_eq_u16_sdwa s[14:15], s33, v3 src0_sel:BYTE_0 src1_sel:DWORD
	s_mov_b64 s[6:7], -1
	s_mov_b64 s[16:17], 0
	s_and_b64 vcc, exec, s[14:15]
	s_mov_b64 s[14:15], 0
	s_cbranch_vccz .LBB78_549
; %bb.542:
	s_lshr_b32 s6, s11, 16
	v_cvt_f32_f16_e32 v4, s6
	v_cvt_f32_f16_e32 v3, s11
	v_cmp_o_f16_e64 vcc, s6, s6
	s_mov_b64 s[6:7], 0
	v_bfe_u32 v6, v4, 16, 1
	v_bfe_u32 v5, v3, 16, 1
	v_add_u32_e32 v4, v4, v6
	v_add_u32_e32 v3, v3, v5
	;; [unrolled: 1-line block ×4, first 2 shown]
	v_and_b32_e32 v4, 0xffff0000, v4
	v_mov_b32_e32 v5, 0x7fc00000
	v_lshrrev_b32_e32 v3, 16, v3
	v_cndmask_b32_e32 v4, v5, v4, vcc
	v_mov_b32_e32 v5, 0x7fc0
	v_cmp_o_f16_e64 vcc, s11, s11
	v_cndmask_b32_e32 v3, v5, v3, vcc
	v_or_b32_e32 v3, v4, v3
	global_store_dword v[0:1], v3, off
	s_mov_b64 s[14:15], -1
	s_branch .LBB78_549
.LBB78_543:
	s_mov_b64 s[14:15], 0
	s_cbranch_execnz .LBB78_628
.LBB78_544:
	s_andn2_b64 vcc, exec, s[14:15]
	s_cbranch_vccz .LBB78_666
	s_branch .LBB78_840
.LBB78_545:
	s_mov_b64 s[6:7], 0
	s_branch .LBB78_559
.LBB78_546:
	s_mov_b64 s[6:7], 0
	s_branch .LBB78_555
.LBB78_547:
	s_or_b64 s[4:5], s[0:1], exec
	s_trap 2
	s_cbranch_execz .LBB78_496
	s_branch .LBB78_497
.LBB78_548:
	s_mov_b64 s[6:7], 0
.LBB78_549:
	s_and_b64 vcc, exec, s[16:17]
	s_cbranch_vccz .LBB78_554
; %bb.550:
	v_mov_b32_e32 v3, 44
	v_cmp_eq_u16_sdwa s[16:17], s33, v3 src0_sel:BYTE_0 src1_sel:DWORD
	s_mov_b64 s[6:7], -1
	s_and_b64 vcc, exec, s[16:17]
	s_cbranch_vccz .LBB78_554
; %bb.551:
	v_cvt_f32_f16_e32 v3, s11
	v_mov_b32_e32 v4, 0xff
	v_readfirstlane_b32 s6, v3
	s_bfe_u32 s7, s6, 0x80017
	s_cmpk_eq_i32 s7, 0xff
	s_cbranch_scc1 .LBB78_553
; %bb.552:
	s_bitcmp1_b32 s6, 22
	s_cselect_b64 s[14:15], -1, 0
	s_and_b32 s6, s6, 0x3fffff
	s_or_b32 s6, s7, s6
	s_cmp_lg_u32 s6, 0
	s_cselect_b64 s[6:7], -1, 0
	s_and_b64 s[6:7], s[14:15], s[6:7]
	v_lshrrev_b32_e32 v3, 23, v3
	v_cndmask_b32_e64 v4, 0, 1, s[6:7]
	v_add_u32_e32 v4, v3, v4
.LBB78_553:
	s_mov_b64 s[6:7], 0
	s_mov_b64 s[14:15], -1
	global_store_byte v[0:1], v4, off
.LBB78_554:
	s_mov_b64 s[16:17], 0
.LBB78_555:
	s_and_b64 vcc, exec, s[16:17]
	s_cbranch_vccz .LBB78_558
; %bb.556:
	v_mov_b32_e32 v3, 29
	v_cmp_eq_u16_sdwa s[16:17], s33, v3 src0_sel:BYTE_0 src1_sel:DWORD
	s_mov_b64 s[6:7], -1
	s_and_b64 vcc, exec, s[16:17]
	s_cbranch_vccz .LBB78_558
; %bb.557:
	v_cvt_f32_f16_e32 v3, s11
	v_mov_b32_e32 v5, 0
	s_mov_b64 s[6:7], 0
	s_mov_b64 s[14:15], -1
	v_cvt_u32_f32_e32 v4, v3
	s_mov_b64 s[16:17], 0
	global_store_dwordx2 v[0:1], v[4:5], off
	s_branch .LBB78_559
.LBB78_558:
	s_mov_b64 s[16:17], 0
.LBB78_559:
	s_and_b64 vcc, exec, s[16:17]
	s_cbranch_vccz .LBB78_577
; %bb.560:
	v_mov_b32_e32 v3, 27
	v_cmp_lt_i16_sdwa s[16:17], s33, v3 src0_sel:BYTE_0 src1_sel:DWORD
	s_mov_b64 s[14:15], -1
	s_and_b64 vcc, exec, s[16:17]
	s_cbranch_vccnz .LBB78_566
; %bb.561:
	v_cmp_gt_i16_sdwa s[16:17], s33, v3 src0_sel:BYTE_0 src1_sel:DWORD
	s_and_b64 vcc, exec, s[16:17]
	s_cbranch_vccz .LBB78_563
; %bb.562:
	v_cvt_f32_f16_e32 v3, s11
	s_mov_b64 s[14:15], 0
	v_cvt_u32_f32_e32 v3, v3
	global_store_dword v[0:1], v3, off
.LBB78_563:
	s_andn2_b64 vcc, exec, s[14:15]
	s_cbranch_vccnz .LBB78_565
; %bb.564:
	v_cvt_u16_f16_e32 v3, s11
	global_store_short v[0:1], v3, off
.LBB78_565:
	s_mov_b64 s[14:15], 0
.LBB78_566:
	s_andn2_b64 vcc, exec, s[14:15]
	s_cbranch_vccnz .LBB78_576
; %bb.567:
	v_cvt_f32_f16_e32 v3, s11
	v_mov_b32_e32 v4, 0x80
	v_readfirstlane_b32 s18, v3
	s_and_b32 s14, s18, 0x7fffffff
	s_cmp_gt_u32 s14, 0x437fffff
	s_cbranch_scc1 .LBB78_575
; %bb.568:
	s_cmp_gt_u32 s14, 0x3bffffff
	s_cbranch_scc0 .LBB78_570
; %bb.569:
	s_bfe_u32 s14, s18, 0x10014
	s_add_i32 s14, s18, s14
	s_add_i32 s14, s14, 0x487ffff
	s_lshr_b32 s19, s14, 20
	s_mov_b64 s[16:17], 0
	s_mov_b64 s[14:15], -1
	s_branch .LBB78_571
.LBB78_570:
	s_mov_b64 s[16:17], -1
	s_mov_b64 s[14:15], 0
                                        ; implicit-def: $sgpr19
.LBB78_571:
	s_andn2_b64 vcc, exec, s[16:17]
	v_mov_b32_e32 v3, s19
                                        ; implicit-def: $sgpr16
	s_cbranch_vccnz .LBB78_573
; %bb.572:
	v_mov_b32_e32 v3, 0x46000000
	v_add_f32_e64 v3, |s18|, v3
	v_and_b32_e32 v3, 0xff, v3
	s_mov_b32 s16, 0
	v_cmp_ne_u32_e64 s[14:15], 0, v3
.LBB78_573:
	s_andn2_b64 vcc, exec, s[14:15]
	v_mov_b32_e32 v4, s16
	s_cbranch_vccnz .LBB78_575
; %bb.574:
	s_lshr_b32 s14, s18, 24
	s_and_b32 s14, s14, 0x80
	v_or_b32_e32 v4, s14, v3
.LBB78_575:
	global_store_byte v[0:1], v4, off
.LBB78_576:
	s_mov_b64 s[14:15], -1
.LBB78_577:
	s_mov_b64 s[16:17], 0
.LBB78_578:
	s_and_b64 vcc, exec, s[16:17]
	s_cbranch_vccz .LBB78_624
; %bb.579:
	v_mov_b32_e32 v3, 22
	v_cmp_gt_i16_sdwa s[16:17], s33, v3 src0_sel:BYTE_0 src1_sel:DWORD
	s_mov_b64 s[12:13], -1
	s_and_b64 vcc, exec, s[16:17]
	s_cbranch_vccz .LBB78_617
; %bb.580:
	v_mov_b32_e32 v3, 24
	v_cmp_lt_i16_sdwa s[14:15], s33, v3 src0_sel:BYTE_0 src1_sel:DWORD
	s_and_b64 vcc, exec, s[14:15]
	s_cbranch_vccnz .LBB78_604
; %bb.581:
	v_cmp_gt_i16_sdwa s[14:15], s33, v3 src0_sel:BYTE_0 src1_sel:DWORD
	s_and_b64 vcc, exec, s[14:15]
	s_cbranch_vccz .LBB78_591
; %bb.582:
	v_cvt_f32_f16_e32 v3, s11
	v_mov_b32_e32 v4, 0x80
	v_readfirstlane_b32 s16, v3
	s_and_b32 s12, s16, 0x7fffffff
	s_cmp_gt_u32 s12, 0x477fffff
	s_cbranch_scc1 .LBB78_590
; %bb.583:
	s_cmp_gt_u32 s12, 0x37ffffff
	s_cbranch_scc0 .LBB78_585
; %bb.584:
	s_bfe_u32 s12, s16, 0x10015
	s_add_i32 s12, s16, s12
	s_add_i32 s12, s12, 0x88fffff
	s_lshr_b32 s17, s12, 21
	s_mov_b64 s[14:15], 0
	s_mov_b64 s[12:13], -1
	s_branch .LBB78_586
.LBB78_585:
	s_mov_b64 s[14:15], -1
	s_mov_b64 s[12:13], 0
                                        ; implicit-def: $sgpr17
.LBB78_586:
	s_andn2_b64 vcc, exec, s[14:15]
	v_mov_b32_e32 v3, s17
                                        ; implicit-def: $sgpr14
	s_cbranch_vccnz .LBB78_588
; %bb.587:
	v_mov_b32_e32 v3, 0x42800000
	v_add_f32_e64 v3, |s16|, v3
	v_and_b32_e32 v3, 0xff, v3
	s_mov_b32 s14, 0
	v_cmp_ne_u32_e64 s[12:13], 0, v3
.LBB78_588:
	s_andn2_b64 vcc, exec, s[12:13]
	v_mov_b32_e32 v4, s14
	s_cbranch_vccnz .LBB78_590
; %bb.589:
	s_lshr_b32 s12, s16, 24
	s_and_b32 s12, s12, 0x80
	v_or_b32_e32 v4, s12, v3
.LBB78_590:
	s_mov_b64 s[12:13], 0
	global_store_byte v[0:1], v4, off
.LBB78_591:
	s_and_b64 vcc, exec, s[12:13]
	s_cbranch_vccz .LBB78_603
; %bb.592:
	v_cvt_f32_f16_e32 v3, s11
	v_readfirstlane_b32 s14, v3
	s_and_b32 s15, s14, 0x7fffffff
	s_cmp_lt_u32 s15, 0x43f00000
	s_cbranch_scc0 .LBB78_595
; %bb.593:
	s_cmp_gt_u32 s15, 0x3c7fffff
	s_cbranch_scc0 .LBB78_596
; %bb.594:
	s_bfe_u32 s12, s14, 0x10014
	s_add_i32 s12, s14, s12
	s_add_i32 s12, s12, 0x407ffff
	s_lshr_b32 s13, s12, 20
	s_and_b32 s12, s12, 0xff00000
	s_cmp_lg_u32 s12, 0x7f00000
	s_cselect_b32 s16, s13, 0x7e
	s_mov_b64 s[12:13], 0
	s_branch .LBB78_597
.LBB78_595:
	s_mov_b64 s[12:13], -1
                                        ; implicit-def: $vgpr4
	s_branch .LBB78_600
.LBB78_596:
	s_mov_b64 s[12:13], -1
                                        ; implicit-def: $sgpr16
.LBB78_597:
	s_andn2_b64 vcc, exec, s[12:13]
	v_mov_b32_e32 v4, s16
	s_cbranch_vccnz .LBB78_599
; %bb.598:
	s_mov_b32 s12, 0x46800000
	v_add_f32_e64 v4, |v3|, s12
.LBB78_599:
	s_mov_b64 s[12:13], 0
.LBB78_600:
	s_andn2_b64 vcc, exec, s[12:13]
	s_cbranch_vccnz .LBB78_602
; %bb.601:
	s_cmp_gt_u32 s15, 0x7f800000
	s_movk_i32 s12, 0x7f
	s_cselect_b32 s12, s12, 0x7e
	v_mov_b32_e32 v4, s12
.LBB78_602:
	s_lshr_b32 s12, s14, 24
	s_and_b32 s12, s12, 0x80
	v_or_b32_e32 v3, s12, v4
	global_store_byte v[0:1], v3, off
.LBB78_603:
	s_mov_b64 s[12:13], 0
.LBB78_604:
	s_andn2_b64 vcc, exec, s[12:13]
	s_cbranch_vccnz .LBB78_616
; %bb.605:
	v_cvt_f32_f16_e32 v3, s11
	v_readfirstlane_b32 s14, v3
	s_and_b32 s15, s14, 0x7fffffff
	s_cmp_lt_u32 s15, 0x47800000
	s_cbranch_scc0 .LBB78_608
; %bb.606:
	s_cmp_gt_u32 s15, 0x387fffff
	s_cbranch_scc0 .LBB78_609
; %bb.607:
	s_bfe_u32 s12, s14, 0x10015
	s_add_i32 s12, s14, s12
	s_add_i32 s12, s12, 0x80fffff
	s_lshr_b32 s16, s12, 21
	s_mov_b64 s[12:13], 0
	s_branch .LBB78_610
.LBB78_608:
	s_mov_b64 s[12:13], -1
                                        ; implicit-def: $vgpr4
	s_branch .LBB78_613
.LBB78_609:
	s_mov_b64 s[12:13], -1
                                        ; implicit-def: $sgpr16
.LBB78_610:
	s_andn2_b64 vcc, exec, s[12:13]
	v_mov_b32_e32 v4, s16
	s_cbranch_vccnz .LBB78_612
; %bb.611:
	s_mov_b32 s12, 0x43000000
	v_add_f32_e64 v4, |v3|, s12
.LBB78_612:
	s_mov_b64 s[12:13], 0
.LBB78_613:
	s_andn2_b64 vcc, exec, s[12:13]
	s_cbranch_vccnz .LBB78_615
; %bb.614:
	s_cmp_gt_u32 s15, 0x7f800000
	s_movk_i32 s12, 0x7f
	s_cselect_b32 s12, s12, 0x7c
	v_mov_b32_e32 v4, s12
.LBB78_615:
	s_lshr_b32 s12, s14, 24
	s_and_b32 s12, s12, 0x80
	v_or_b32_e32 v3, s12, v4
	global_store_byte v[0:1], v3, off
.LBB78_616:
	s_mov_b64 s[12:13], 0
	s_mov_b64 s[14:15], -1
.LBB78_617:
	s_andn2_b64 vcc, exec, s[12:13]
	s_mov_b64 s[12:13], 0
	s_cbranch_vccnz .LBB78_624
; %bb.618:
	v_mov_b32_e32 v3, 14
	v_cmp_gt_i16_sdwa s[12:13], s33, v3 src0_sel:BYTE_0 src1_sel:DWORD
	s_mov_b64 s[16:17], -1
	s_and_b64 vcc, exec, s[12:13]
	s_cbranch_vccz .LBB78_622
; %bb.619:
	v_mov_b32_e32 v3, 15
	v_cmp_eq_u16_sdwa s[12:13], s33, v3 src0_sel:BYTE_0 src1_sel:DWORD
	s_mov_b64 s[6:7], -1
	s_and_b64 vcc, exec, s[12:13]
	s_cbranch_vccz .LBB78_621
; %bb.620:
	v_cvt_f32_f16_e32 v3, s11
	v_mov_b32_e32 v4, 0x7fc0
	v_cmp_o_f16_e64 vcc, s11, s11
	s_mov_b64 s[6:7], 0
	v_bfe_u32 v5, v3, 16, 1
	v_add_u32_e32 v3, v3, v5
	v_add_u32_e32 v3, 0x7fff, v3
	v_lshrrev_b32_e32 v3, 16, v3
	v_cndmask_b32_e32 v3, v4, v3, vcc
	global_store_short v[0:1], v3, off
	s_mov_b64 s[14:15], -1
.LBB78_621:
	s_mov_b64 s[16:17], 0
.LBB78_622:
	s_mov_b64 s[12:13], 0
	s_and_b64 vcc, exec, s[16:17]
	s_cbranch_vccz .LBB78_624
; %bb.623:
	v_mov_b32_e32 v3, 11
	v_cmp_ne_u16_sdwa s[6:7], s33, v3 src0_sel:BYTE_0 src1_sel:DWORD
	s_mov_b64 s[12:13], -1
.LBB78_624:
	s_and_b64 vcc, exec, s[6:7]
	s_cbranch_vccnz .LBB78_707
; %bb.625:
	s_andn2_b64 vcc, exec, s[12:13]
	s_cbranch_vccnz .LBB78_627
.LBB78_626:
	s_and_b32 s6, s11, 0x7fff7fff
	s_cmp_lg_u32 s6, 0
	s_cselect_b64 s[6:7], -1, 0
	v_cndmask_b32_e64 v3, 0, 1, s[6:7]
	s_mov_b64 s[14:15], -1
	global_store_byte v[0:1], v3, off
.LBB78_627:
	s_branch .LBB78_544
.LBB78_628:
	v_mov_b32_e32 v3, 5
	v_cmp_lt_i16_sdwa s[12:13], s33, v3 src0_sel:BYTE_0 src1_sel:DWORD
	s_mov_b64 s[6:7], -1
	s_and_b64 vcc, exec, s[12:13]
	s_cbranch_vccnz .LBB78_649
; %bb.629:
	v_mov_b32_e32 v3, 8
	v_cmp_lt_i16_sdwa s[12:13], s33, v3 src0_sel:BYTE_0 src1_sel:DWORD
	s_and_b64 vcc, exec, s[12:13]
	s_cbranch_vccnz .LBB78_639
; %bb.630:
	v_mov_b32_e32 v3, 9
	v_cmp_lt_i16_sdwa s[12:13], s33, v3 src0_sel:BYTE_0 src1_sel:DWORD
	s_and_b64 vcc, exec, s[12:13]
	s_cbranch_vccnz .LBB78_636
; %bb.631:
	v_cmp_gt_i16_sdwa s[12:13], s33, v3 src0_sel:BYTE_0 src1_sel:DWORD
	s_and_b64 vcc, exec, s[12:13]
	s_cbranch_vccz .LBB78_633
; %bb.632:
	s_lshr_b32 s6, s11, 16
	v_cvt_f32_f16_e32 v3, s11
	v_cvt_f32_f16_e32 v6, s6
	s_mov_b64 s[6:7], 0
	v_cvt_f64_f32_e32 v[4:5], v3
	v_cvt_f64_f32_e32 v[6:7], v6
	global_store_dwordx4 v[0:1], v[4:7], off
.LBB78_633:
	s_andn2_b64 vcc, exec, s[6:7]
	s_cbranch_vccnz .LBB78_635
; %bb.634:
	s_lshr_b32 s6, s11, 16
	v_cvt_f32_f16_e32 v5, s6
	v_cvt_f32_f16_e32 v4, s11
	global_store_dwordx2 v[0:1], v[4:5], off
.LBB78_635:
	s_mov_b64 s[6:7], 0
.LBB78_636:
	s_andn2_b64 vcc, exec, s[6:7]
	s_cbranch_vccnz .LBB78_638
; %bb.637:
	v_mov_b32_e32 v3, s11
	global_store_dword v[0:1], v3, off
.LBB78_638:
	s_mov_b64 s[6:7], 0
.LBB78_639:
	s_andn2_b64 vcc, exec, s[6:7]
	s_cbranch_vccnz .LBB78_648
; %bb.640:
	v_mov_b32_e32 v3, 6
	v_cmp_lt_i16_sdwa s[12:13], s33, v3 src0_sel:BYTE_0 src1_sel:DWORD
	s_mov_b64 s[6:7], -1
	s_and_b64 vcc, exec, s[12:13]
	s_cbranch_vccnz .LBB78_646
; %bb.641:
	v_cmp_gt_i16_sdwa s[12:13], s33, v3 src0_sel:BYTE_0 src1_sel:DWORD
	s_and_b64 vcc, exec, s[12:13]
	s_cbranch_vccz .LBB78_643
; %bb.642:
	v_cvt_f32_f16_e32 v3, s11
	s_mov_b64 s[6:7], 0
	v_cvt_f64_f32_e32 v[4:5], v3
	global_store_dwordx2 v[0:1], v[4:5], off
.LBB78_643:
	s_andn2_b64 vcc, exec, s[6:7]
	s_cbranch_vccnz .LBB78_645
; %bb.644:
	v_cvt_f32_f16_e32 v3, s11
	global_store_dword v[0:1], v3, off
.LBB78_645:
	s_mov_b64 s[6:7], 0
.LBB78_646:
	s_andn2_b64 vcc, exec, s[6:7]
	s_cbranch_vccnz .LBB78_648
; %bb.647:
	v_mov_b32_e32 v3, s11
	global_store_short v[0:1], v3, off
.LBB78_648:
	s_mov_b64 s[6:7], 0
.LBB78_649:
	s_andn2_b64 vcc, exec, s[6:7]
	s_cbranch_vccnz .LBB78_665
; %bb.650:
	v_mov_b32_e32 v3, 2
	v_cmp_lt_i16_sdwa s[12:13], s33, v3 src0_sel:BYTE_0 src1_sel:DWORD
	s_mov_b64 s[6:7], -1
	s_and_b64 vcc, exec, s[12:13]
	s_cbranch_vccnz .LBB78_660
; %bb.651:
	v_mov_b32_e32 v3, 3
	v_cmp_lt_i16_sdwa s[12:13], s33, v3 src0_sel:BYTE_0 src1_sel:DWORD
	s_and_b64 vcc, exec, s[12:13]
	s_cbranch_vccnz .LBB78_657
; %bb.652:
	v_cmp_gt_i16_sdwa s[12:13], s33, v3 src0_sel:BYTE_0 src1_sel:DWORD
	s_and_b64 vcc, exec, s[12:13]
	s_cbranch_vccz .LBB78_654
; %bb.653:
	v_cvt_f32_f16_e32 v3, s11
	s_mov_b64 s[6:7], 0
	v_cvt_i32_f32_e32 v4, v3
	v_ashrrev_i32_e32 v5, 31, v4
	global_store_dwordx2 v[0:1], v[4:5], off
.LBB78_654:
	s_andn2_b64 vcc, exec, s[6:7]
	s_cbranch_vccnz .LBB78_656
; %bb.655:
	v_cvt_f32_f16_e32 v3, s11
	v_cvt_i32_f32_e32 v3, v3
	global_store_dword v[0:1], v3, off
.LBB78_656:
	s_mov_b64 s[6:7], 0
.LBB78_657:
	s_andn2_b64 vcc, exec, s[6:7]
	s_cbranch_vccnz .LBB78_659
; %bb.658:
	v_cvt_i16_f16_e32 v3, s11
	global_store_short v[0:1], v3, off
.LBB78_659:
	s_mov_b64 s[6:7], 0
.LBB78_660:
	s_andn2_b64 vcc, exec, s[6:7]
	s_cbranch_vccnz .LBB78_665
; %bb.661:
	v_mov_b32_e32 v3, 0
	v_cmp_gt_i16_sdwa s[12:13], s33, v3 src0_sel:BYTE_0 src1_sel:DWORD
	s_mov_b64 s[6:7], -1
	s_and_b64 vcc, exec, s[12:13]
	s_cbranch_vccz .LBB78_663
; %bb.662:
	v_cvt_i16_f16_e32 v3, s11
	global_store_byte v[0:1], v3, off
	s_mov_b64 s[6:7], 0
.LBB78_663:
	s_andn2_b64 vcc, exec, s[6:7]
	s_cbranch_vccnz .LBB78_665
; %bb.664:
	v_cvt_f32_f16_e32 v3, s11
	v_cvt_i32_f32_e32 v3, v3
	global_store_byte v[0:1], v3, off
.LBB78_665:
.LBB78_666:
	v_add_u32_e32 v2, s10, v2
	v_ashrrev_i32_e32 v1, 31, v2
	v_mov_b32_e32 v3, s9
	v_add_co_u32_e32 v0, vcc, s8, v2
	v_addc_co_u32_e32 v1, vcc, v3, v1, vcc
	v_mov_b32_e32 v3, 11
	v_cmp_lt_i16_sdwa s[6:7], s33, v3 src0_sel:BYTE_0 src1_sel:DWORD
	s_and_b64 vcc, exec, s[6:7]
	s_cbranch_vccnz .LBB78_673
; %bb.667:
	v_mov_b32_e32 v3, 25
	v_cmp_gt_i16_sdwa s[6:7], s33, v3 src0_sel:BYTE_0 src1_sel:DWORD
	s_mov_b64 s[16:17], -1
	s_mov_b64 s[12:13], 0
	s_and_b64 vcc, exec, s[6:7]
	s_mov_b64 s[14:15], 0
	s_mov_b64 s[6:7], 0
	s_cbranch_vccz .LBB78_738
; %bb.668:
	v_mov_b32_e32 v3, 28
	v_cmp_gt_i16_sdwa s[6:7], s33, v3 src0_sel:BYTE_0 src1_sel:DWORD
	s_and_b64 vcc, exec, s[6:7]
	s_cbranch_vccz .LBB78_705
; %bb.669:
	v_mov_b32_e32 v3, 43
	v_cmp_gt_i16_sdwa s[6:7], s33, v3 src0_sel:BYTE_0 src1_sel:DWORD
	s_and_b64 vcc, exec, s[6:7]
	s_cbranch_vccz .LBB78_706
; %bb.670:
	v_mov_b32_e32 v3, 45
	v_cmp_gt_i16_sdwa s[6:7], s33, v3 src0_sel:BYTE_0 src1_sel:DWORD
	s_and_b64 vcc, exec, s[6:7]
	s_cbranch_vccz .LBB78_708
; %bb.671:
	v_mov_b32_e32 v3, 46
	v_cmp_eq_u16_sdwa s[14:15], s33, v3 src0_sel:BYTE_0 src1_sel:DWORD
	s_mov_b64 s[6:7], -1
	s_mov_b64 s[16:17], 0
	s_and_b64 vcc, exec, s[14:15]
	s_mov_b64 s[14:15], 0
	s_cbranch_vccz .LBB78_709
; %bb.672:
	s_lshr_b32 s6, s11, 16
	v_cvt_f32_f16_e32 v4, s6
	v_cvt_f32_f16_e32 v3, s11
	v_cmp_o_f16_e64 vcc, s6, s6
	s_mov_b64 s[6:7], 0
	v_bfe_u32 v6, v4, 16, 1
	v_bfe_u32 v5, v3, 16, 1
	v_add_u32_e32 v4, v4, v6
	v_add_u32_e32 v3, v3, v5
	;; [unrolled: 1-line block ×4, first 2 shown]
	v_and_b32_e32 v4, 0xffff0000, v4
	v_mov_b32_e32 v5, 0x7fc00000
	v_lshrrev_b32_e32 v3, 16, v3
	v_cndmask_b32_e32 v4, v5, v4, vcc
	v_mov_b32_e32 v5, 0x7fc0
	v_cmp_o_f16_e64 vcc, s11, s11
	v_cndmask_b32_e32 v3, v5, v3, vcc
	v_or_b32_e32 v3, v4, v3
	global_store_dword v[0:1], v3, off
	s_mov_b64 s[14:15], -1
	s_branch .LBB78_709
.LBB78_673:
	s_mov_b64 s[14:15], 0
	s_cbranch_execnz .LBB78_802
.LBB78_674:
	s_andn2_b64 vcc, exec, s[14:15]
	s_cbranch_vccnz .LBB78_840
.LBB78_675:
	v_add_u32_e32 v0, s10, v2
	v_ashrrev_i32_e32 v1, 31, v0
	v_mov_b32_e32 v2, s9
	v_add_co_u32_e32 v0, vcc, s8, v0
	v_addc_co_u32_e32 v1, vcc, v2, v1, vcc
	v_mov_b32_e32 v2, 0xff
	v_and_b32_e32 v2, s33, v2
	v_cmp_gt_i16_e32 vcc, 11, v2
	s_cbranch_vccnz .LBB78_704
; %bb.676:
	v_cmp_lt_i16_e32 vcc, 25, v2
	s_mov_b64 s[12:13], -1
	s_mov_b64 s[8:9], 0
	s_mov_b64 s[6:7], 0
	s_cbranch_vccz .LBB78_752
; %bb.677:
	v_cmp_lt_i16_e32 vcc, 28, v2
	s_cbranch_vccz .LBB78_693
; %bb.678:
	v_cmp_lt_i16_e32 vcc, 43, v2
	;; [unrolled: 3-line block ×3, first 2 shown]
	s_cbranch_vccz .LBB78_683
; %bb.680:
	v_cmp_eq_u16_e32 vcc, 46, v2
	s_mov_b64 s[6:7], -1
	s_cbranch_vccz .LBB78_682
; %bb.681:
	s_lshr_b32 s6, s11, 16
	v_cvt_f32_f16_e32 v4, s6
	v_cvt_f32_f16_e32 v3, s11
	v_cmp_o_f16_e64 vcc, s6, s6
	s_mov_b64 s[6:7], 0
	v_bfe_u32 v6, v4, 16, 1
	v_bfe_u32 v5, v3, 16, 1
	v_add_u32_e32 v4, v4, v6
	v_add_u32_e32 v3, v3, v5
	;; [unrolled: 1-line block ×4, first 2 shown]
	v_and_b32_e32 v4, 0xffff0000, v4
	v_mov_b32_e32 v5, 0x7fc00000
	v_lshrrev_b32_e32 v3, 16, v3
	v_cndmask_b32_e32 v4, v5, v4, vcc
	v_mov_b32_e32 v5, 0x7fc0
	v_cmp_o_f16_e64 vcc, s11, s11
	v_cndmask_b32_e32 v3, v5, v3, vcc
	v_or_b32_e32 v3, v4, v3
	global_store_dword v[0:1], v3, off
.LBB78_682:
	s_mov_b64 s[12:13], 0
.LBB78_683:
	s_and_b64 vcc, exec, s[12:13]
	s_cbranch_vccz .LBB78_688
; %bb.684:
	v_cmp_eq_u16_e32 vcc, 44, v2
	s_mov_b64 s[6:7], -1
	s_cbranch_vccz .LBB78_688
; %bb.685:
	v_cvt_f32_f16_e32 v3, s11
	v_mov_b32_e32 v4, 0xff
	v_readfirstlane_b32 s6, v3
	s_bfe_u32 s7, s6, 0x80017
	s_cmpk_eq_i32 s7, 0xff
	s_cbranch_scc1 .LBB78_687
; %bb.686:
	s_bitcmp1_b32 s6, 22
	s_cselect_b64 s[12:13], -1, 0
	s_and_b32 s6, s6, 0x3fffff
	s_or_b32 s6, s7, s6
	s_cmp_lg_u32 s6, 0
	s_cselect_b64 s[6:7], -1, 0
	s_and_b64 s[6:7], s[12:13], s[6:7]
	v_lshrrev_b32_e32 v3, 23, v3
	v_cndmask_b32_e64 v4, 0, 1, s[6:7]
	v_add_u32_e32 v4, v3, v4
.LBB78_687:
	s_mov_b64 s[6:7], 0
	global_store_byte v[0:1], v4, off
.LBB78_688:
	s_mov_b64 s[12:13], 0
.LBB78_689:
	s_and_b64 vcc, exec, s[12:13]
	s_cbranch_vccz .LBB78_692
; %bb.690:
	v_cmp_eq_u16_e32 vcc, 29, v2
	s_mov_b64 s[6:7], -1
	s_cbranch_vccz .LBB78_692
; %bb.691:
	v_cvt_f32_f16_e32 v3, s11
	v_mov_b32_e32 v5, 0
	s_mov_b64 s[6:7], 0
	v_cvt_u32_f32_e32 v4, v3
	global_store_dwordx2 v[0:1], v[4:5], off
.LBB78_692:
	s_mov_b64 s[12:13], 0
.LBB78_693:
	s_and_b64 vcc, exec, s[12:13]
	s_cbranch_vccz .LBB78_751
; %bb.694:
	v_cmp_gt_i16_e32 vcc, 27, v2
	s_mov_b64 s[12:13], -1
	s_cbranch_vccnz .LBB78_700
; %bb.695:
	v_cmp_lt_i16_e32 vcc, 27, v2
	s_cbranch_vccz .LBB78_697
; %bb.696:
	v_cvt_f32_f16_e32 v3, s11
	s_mov_b64 s[12:13], 0
	v_cvt_u32_f32_e32 v3, v3
	global_store_dword v[0:1], v3, off
.LBB78_697:
	s_andn2_b64 vcc, exec, s[12:13]
	s_cbranch_vccnz .LBB78_699
; %bb.698:
	v_cvt_u16_f16_e32 v3, s11
	global_store_short v[0:1], v3, off
.LBB78_699:
	s_mov_b64 s[12:13], 0
.LBB78_700:
	s_andn2_b64 vcc, exec, s[12:13]
	s_cbranch_vccnz .LBB78_751
; %bb.701:
	v_cvt_f32_f16_e32 v3, s11
	v_mov_b32_e32 v4, 0x80
	v_readfirstlane_b32 s10, v3
	s_and_b32 s12, s10, 0x7fffffff
	s_cmp_gt_u32 s12, 0x437fffff
	s_cbranch_scc1 .LBB78_750
; %bb.702:
	s_cmp_gt_u32 s12, 0x3bffffff
	s_cbranch_scc0 .LBB78_745
; %bb.703:
	s_bfe_u32 s12, s10, 0x10014
	s_add_i32 s12, s10, s12
	s_add_i32 s12, s12, 0x487ffff
	s_lshr_b32 s16, s12, 20
	s_mov_b64 s[14:15], 0
	s_mov_b64 s[12:13], -1
	s_branch .LBB78_746
.LBB78_704:
	s_mov_b64 s[8:9], 0
	s_mov_b64 s[6:7], -1
	s_branch .LBB78_841
.LBB78_705:
	s_mov_b64 s[6:7], 0
	s_branch .LBB78_719
.LBB78_706:
	s_mov_b64 s[6:7], 0
	s_branch .LBB78_715
.LBB78_707:
	s_trap 2
	s_or_b64 s[4:5], s[4:5], exec
	s_cbranch_execz .LBB78_626
	s_branch .LBB78_627
.LBB78_708:
	s_mov_b64 s[6:7], 0
.LBB78_709:
	s_and_b64 vcc, exec, s[16:17]
	s_cbranch_vccz .LBB78_714
; %bb.710:
	v_mov_b32_e32 v3, 44
	v_cmp_eq_u16_sdwa s[16:17], s33, v3 src0_sel:BYTE_0 src1_sel:DWORD
	s_mov_b64 s[6:7], -1
	s_and_b64 vcc, exec, s[16:17]
	s_cbranch_vccz .LBB78_714
; %bb.711:
	v_cvt_f32_f16_e32 v3, s11
	v_mov_b32_e32 v4, 0xff
	v_readfirstlane_b32 s6, v3
	s_bfe_u32 s7, s6, 0x80017
	s_cmpk_eq_i32 s7, 0xff
	s_cbranch_scc1 .LBB78_713
; %bb.712:
	s_bitcmp1_b32 s6, 22
	s_cselect_b64 s[14:15], -1, 0
	s_and_b32 s6, s6, 0x3fffff
	s_or_b32 s6, s7, s6
	s_cmp_lg_u32 s6, 0
	s_cselect_b64 s[6:7], -1, 0
	s_and_b64 s[6:7], s[14:15], s[6:7]
	v_lshrrev_b32_e32 v3, 23, v3
	v_cndmask_b32_e64 v4, 0, 1, s[6:7]
	v_add_u32_e32 v4, v3, v4
.LBB78_713:
	s_mov_b64 s[6:7], 0
	s_mov_b64 s[14:15], -1
	global_store_byte v[0:1], v4, off
.LBB78_714:
	s_mov_b64 s[16:17], 0
.LBB78_715:
	s_and_b64 vcc, exec, s[16:17]
	s_cbranch_vccz .LBB78_718
; %bb.716:
	v_mov_b32_e32 v3, 29
	v_cmp_eq_u16_sdwa s[16:17], s33, v3 src0_sel:BYTE_0 src1_sel:DWORD
	s_mov_b64 s[6:7], -1
	s_and_b64 vcc, exec, s[16:17]
	s_cbranch_vccz .LBB78_718
; %bb.717:
	v_cvt_f32_f16_e32 v3, s11
	v_mov_b32_e32 v5, 0
	s_mov_b64 s[6:7], 0
	s_mov_b64 s[14:15], -1
	v_cvt_u32_f32_e32 v4, v3
	s_mov_b64 s[16:17], 0
	global_store_dwordx2 v[0:1], v[4:5], off
	s_branch .LBB78_719
.LBB78_718:
	s_mov_b64 s[16:17], 0
.LBB78_719:
	s_and_b64 vcc, exec, s[16:17]
	s_cbranch_vccz .LBB78_737
; %bb.720:
	v_mov_b32_e32 v3, 27
	v_cmp_lt_i16_sdwa s[16:17], s33, v3 src0_sel:BYTE_0 src1_sel:DWORD
	s_mov_b64 s[14:15], -1
	s_and_b64 vcc, exec, s[16:17]
	s_cbranch_vccnz .LBB78_726
; %bb.721:
	v_cmp_gt_i16_sdwa s[16:17], s33, v3 src0_sel:BYTE_0 src1_sel:DWORD
	s_and_b64 vcc, exec, s[16:17]
	s_cbranch_vccz .LBB78_723
; %bb.722:
	v_cvt_f32_f16_e32 v3, s11
	s_mov_b64 s[14:15], 0
	v_cvt_u32_f32_e32 v3, v3
	global_store_dword v[0:1], v3, off
.LBB78_723:
	s_andn2_b64 vcc, exec, s[14:15]
	s_cbranch_vccnz .LBB78_725
; %bb.724:
	v_cvt_u16_f16_e32 v3, s11
	global_store_short v[0:1], v3, off
.LBB78_725:
	s_mov_b64 s[14:15], 0
.LBB78_726:
	s_andn2_b64 vcc, exec, s[14:15]
	s_cbranch_vccnz .LBB78_736
; %bb.727:
	v_cvt_f32_f16_e32 v3, s11
	v_mov_b32_e32 v4, 0x80
	v_readfirstlane_b32 s18, v3
	s_and_b32 s14, s18, 0x7fffffff
	s_cmp_gt_u32 s14, 0x437fffff
	s_cbranch_scc1 .LBB78_735
; %bb.728:
	s_cmp_gt_u32 s14, 0x3bffffff
	s_cbranch_scc0 .LBB78_730
; %bb.729:
	s_bfe_u32 s14, s18, 0x10014
	s_add_i32 s14, s18, s14
	s_add_i32 s14, s14, 0x487ffff
	s_lshr_b32 s19, s14, 20
	s_mov_b64 s[16:17], 0
	s_mov_b64 s[14:15], -1
	s_branch .LBB78_731
.LBB78_730:
	s_mov_b64 s[16:17], -1
	s_mov_b64 s[14:15], 0
                                        ; implicit-def: $sgpr19
.LBB78_731:
	s_andn2_b64 vcc, exec, s[16:17]
	v_mov_b32_e32 v3, s19
                                        ; implicit-def: $sgpr16
	s_cbranch_vccnz .LBB78_733
; %bb.732:
	v_mov_b32_e32 v3, 0x46000000
	v_add_f32_e64 v3, |s18|, v3
	v_and_b32_e32 v3, 0xff, v3
	s_mov_b32 s16, 0
	v_cmp_ne_u32_e64 s[14:15], 0, v3
.LBB78_733:
	s_andn2_b64 vcc, exec, s[14:15]
	v_mov_b32_e32 v4, s16
	s_cbranch_vccnz .LBB78_735
; %bb.734:
	s_lshr_b32 s14, s18, 24
	s_and_b32 s14, s14, 0x80
	v_or_b32_e32 v4, s14, v3
.LBB78_735:
	global_store_byte v[0:1], v4, off
.LBB78_736:
	s_mov_b64 s[14:15], -1
.LBB78_737:
	s_mov_b64 s[16:17], 0
.LBB78_738:
	s_and_b64 vcc, exec, s[16:17]
	s_cbranch_vccz .LBB78_798
; %bb.739:
	v_mov_b32_e32 v3, 22
	v_cmp_gt_i16_sdwa s[16:17], s33, v3 src0_sel:BYTE_0 src1_sel:DWORD
	s_mov_b64 s[12:13], -1
	s_and_b64 vcc, exec, s[16:17]
	s_cbranch_vccz .LBB78_791
; %bb.740:
	v_mov_b32_e32 v3, 24
	v_cmp_lt_i16_sdwa s[14:15], s33, v3 src0_sel:BYTE_0 src1_sel:DWORD
	s_and_b64 vcc, exec, s[14:15]
	s_cbranch_vccnz .LBB78_778
; %bb.741:
	v_cmp_gt_i16_sdwa s[14:15], s33, v3 src0_sel:BYTE_0 src1_sel:DWORD
	s_and_b64 vcc, exec, s[14:15]
	s_cbranch_vccz .LBB78_765
; %bb.742:
	v_cvt_f32_f16_e32 v3, s11
	v_mov_b32_e32 v4, 0x80
	v_readfirstlane_b32 s16, v3
	s_and_b32 s12, s16, 0x7fffffff
	s_cmp_gt_u32 s12, 0x477fffff
	s_cbranch_scc1 .LBB78_764
; %bb.743:
	s_cmp_gt_u32 s12, 0x37ffffff
	s_cbranch_scc0 .LBB78_759
; %bb.744:
	s_bfe_u32 s12, s16, 0x10015
	s_add_i32 s12, s16, s12
	s_add_i32 s12, s12, 0x88fffff
	s_lshr_b32 s17, s12, 21
	s_mov_b64 s[14:15], 0
	s_mov_b64 s[12:13], -1
	s_branch .LBB78_760
.LBB78_745:
	s_mov_b64 s[14:15], -1
	s_mov_b64 s[12:13], 0
                                        ; implicit-def: $sgpr16
.LBB78_746:
	s_andn2_b64 vcc, exec, s[14:15]
	v_mov_b32_e32 v3, s16
                                        ; implicit-def: $sgpr14
	s_cbranch_vccnz .LBB78_748
; %bb.747:
	v_mov_b32_e32 v3, 0x46000000
	v_add_f32_e64 v3, |s10|, v3
	v_and_b32_e32 v3, 0xff, v3
	s_mov_b32 s14, 0
	v_cmp_ne_u32_e64 s[12:13], 0, v3
.LBB78_748:
	s_andn2_b64 vcc, exec, s[12:13]
	v_mov_b32_e32 v4, s14
	s_cbranch_vccnz .LBB78_750
; %bb.749:
	s_lshr_b32 s10, s10, 24
	s_and_b32 s10, s10, 0x80
	v_or_b32_e32 v4, s10, v3
.LBB78_750:
	global_store_byte v[0:1], v4, off
.LBB78_751:
	s_mov_b64 s[12:13], 0
.LBB78_752:
	s_and_b64 vcc, exec, s[12:13]
	s_cbranch_vccz .LBB78_922
; %bb.753:
	v_cmp_lt_i16_e32 vcc, 22, v2
	s_mov_b64 s[8:9], -1
	s_cbranch_vccz .LBB78_915
; %bb.754:
	v_cmp_gt_i16_e32 vcc, 24, v2
	s_cbranch_vccnz .LBB78_902
; %bb.755:
	v_cmp_lt_i16_e32 vcc, 24, v2
	s_cbranch_vccz .LBB78_889
; %bb.756:
	v_cvt_f32_f16_e32 v3, s11
	v_mov_b32_e32 v4, 0x80
	v_readfirstlane_b32 s10, v3
	s_and_b32 s8, s10, 0x7fffffff
	s_cmp_gt_u32 s8, 0x477fffff
	s_cbranch_scc1 .LBB78_888
; %bb.757:
	s_cmp_gt_u32 s8, 0x37ffffff
	s_cbranch_scc0 .LBB78_883
; %bb.758:
	s_bfe_u32 s8, s10, 0x10015
	s_add_i32 s8, s10, s8
	s_add_i32 s8, s8, 0x88fffff
	s_lshr_b32 s14, s8, 21
	s_mov_b64 s[12:13], 0
	s_mov_b64 s[8:9], -1
	s_branch .LBB78_884
.LBB78_759:
	s_mov_b64 s[14:15], -1
	s_mov_b64 s[12:13], 0
                                        ; implicit-def: $sgpr17
.LBB78_760:
	s_andn2_b64 vcc, exec, s[14:15]
	v_mov_b32_e32 v3, s17
                                        ; implicit-def: $sgpr14
	s_cbranch_vccnz .LBB78_762
; %bb.761:
	v_mov_b32_e32 v3, 0x42800000
	v_add_f32_e64 v3, |s16|, v3
	v_and_b32_e32 v3, 0xff, v3
	s_mov_b32 s14, 0
	v_cmp_ne_u32_e64 s[12:13], 0, v3
.LBB78_762:
	s_andn2_b64 vcc, exec, s[12:13]
	v_mov_b32_e32 v4, s14
	s_cbranch_vccnz .LBB78_764
; %bb.763:
	s_lshr_b32 s12, s16, 24
	s_and_b32 s12, s12, 0x80
	v_or_b32_e32 v4, s12, v3
.LBB78_764:
	s_mov_b64 s[12:13], 0
	global_store_byte v[0:1], v4, off
.LBB78_765:
	s_and_b64 vcc, exec, s[12:13]
	s_cbranch_vccz .LBB78_777
; %bb.766:
	v_cvt_f32_f16_e32 v3, s11
	v_readfirstlane_b32 s14, v3
	s_and_b32 s15, s14, 0x7fffffff
	s_cmp_lt_u32 s15, 0x43f00000
	s_cbranch_scc0 .LBB78_769
; %bb.767:
	s_cmp_gt_u32 s15, 0x3c7fffff
	s_cbranch_scc0 .LBB78_770
; %bb.768:
	s_bfe_u32 s12, s14, 0x10014
	s_add_i32 s12, s14, s12
	s_add_i32 s12, s12, 0x407ffff
	s_lshr_b32 s13, s12, 20
	s_and_b32 s12, s12, 0xff00000
	s_cmp_lg_u32 s12, 0x7f00000
	s_cselect_b32 s16, s13, 0x7e
	s_mov_b64 s[12:13], 0
	s_branch .LBB78_771
.LBB78_769:
	s_mov_b64 s[12:13], -1
                                        ; implicit-def: $vgpr4
	s_branch .LBB78_774
.LBB78_770:
	s_mov_b64 s[12:13], -1
                                        ; implicit-def: $sgpr16
.LBB78_771:
	s_andn2_b64 vcc, exec, s[12:13]
	v_mov_b32_e32 v4, s16
	s_cbranch_vccnz .LBB78_773
; %bb.772:
	s_mov_b32 s12, 0x46800000
	v_add_f32_e64 v4, |v3|, s12
.LBB78_773:
	s_mov_b64 s[12:13], 0
.LBB78_774:
	s_andn2_b64 vcc, exec, s[12:13]
	s_cbranch_vccnz .LBB78_776
; %bb.775:
	s_cmp_gt_u32 s15, 0x7f800000
	s_movk_i32 s12, 0x7f
	s_cselect_b32 s12, s12, 0x7e
	v_mov_b32_e32 v4, s12
.LBB78_776:
	s_lshr_b32 s12, s14, 24
	s_and_b32 s12, s12, 0x80
	v_or_b32_e32 v3, s12, v4
	global_store_byte v[0:1], v3, off
.LBB78_777:
	s_mov_b64 s[12:13], 0
.LBB78_778:
	s_andn2_b64 vcc, exec, s[12:13]
	s_cbranch_vccnz .LBB78_790
; %bb.779:
	v_cvt_f32_f16_e32 v3, s11
	v_readfirstlane_b32 s14, v3
	s_and_b32 s15, s14, 0x7fffffff
	s_cmp_lt_u32 s15, 0x47800000
	s_cbranch_scc0 .LBB78_782
; %bb.780:
	s_cmp_gt_u32 s15, 0x387fffff
	s_cbranch_scc0 .LBB78_783
; %bb.781:
	s_bfe_u32 s12, s14, 0x10015
	s_add_i32 s12, s14, s12
	s_add_i32 s12, s12, 0x80fffff
	s_lshr_b32 s16, s12, 21
	s_mov_b64 s[12:13], 0
	s_branch .LBB78_784
.LBB78_782:
	s_mov_b64 s[12:13], -1
                                        ; implicit-def: $vgpr4
	s_branch .LBB78_787
.LBB78_783:
	s_mov_b64 s[12:13], -1
                                        ; implicit-def: $sgpr16
.LBB78_784:
	s_andn2_b64 vcc, exec, s[12:13]
	v_mov_b32_e32 v4, s16
	s_cbranch_vccnz .LBB78_786
; %bb.785:
	s_mov_b32 s12, 0x43000000
	v_add_f32_e64 v4, |v3|, s12
.LBB78_786:
	s_mov_b64 s[12:13], 0
.LBB78_787:
	s_andn2_b64 vcc, exec, s[12:13]
	s_cbranch_vccnz .LBB78_789
; %bb.788:
	s_cmp_gt_u32 s15, 0x7f800000
	s_movk_i32 s12, 0x7f
	s_cselect_b32 s12, s12, 0x7c
	v_mov_b32_e32 v4, s12
.LBB78_789:
	s_lshr_b32 s12, s14, 24
	s_and_b32 s12, s12, 0x80
	v_or_b32_e32 v3, s12, v4
	global_store_byte v[0:1], v3, off
.LBB78_790:
	s_mov_b64 s[12:13], 0
	s_mov_b64 s[14:15], -1
.LBB78_791:
	s_andn2_b64 vcc, exec, s[12:13]
	s_mov_b64 s[12:13], 0
	s_cbranch_vccnz .LBB78_798
; %bb.792:
	v_mov_b32_e32 v3, 14
	v_cmp_gt_i16_sdwa s[12:13], s33, v3 src0_sel:BYTE_0 src1_sel:DWORD
	s_mov_b64 s[16:17], -1
	s_and_b64 vcc, exec, s[12:13]
	s_cbranch_vccz .LBB78_796
; %bb.793:
	v_mov_b32_e32 v3, 15
	v_cmp_eq_u16_sdwa s[12:13], s33, v3 src0_sel:BYTE_0 src1_sel:DWORD
	s_mov_b64 s[6:7], -1
	s_and_b64 vcc, exec, s[12:13]
	s_cbranch_vccz .LBB78_795
; %bb.794:
	v_cvt_f32_f16_e32 v3, s11
	v_mov_b32_e32 v4, 0x7fc0
	v_cmp_o_f16_e64 vcc, s11, s11
	s_mov_b64 s[6:7], 0
	v_bfe_u32 v5, v3, 16, 1
	v_add_u32_e32 v3, v3, v5
	v_add_u32_e32 v3, 0x7fff, v3
	v_lshrrev_b32_e32 v3, 16, v3
	v_cndmask_b32_e32 v3, v4, v3, vcc
	global_store_short v[0:1], v3, off
	s_mov_b64 s[14:15], -1
.LBB78_795:
	s_mov_b64 s[16:17], 0
.LBB78_796:
	s_mov_b64 s[12:13], 0
	s_and_b64 vcc, exec, s[16:17]
	s_cbranch_vccz .LBB78_798
; %bb.797:
	v_mov_b32_e32 v3, 11
	v_cmp_ne_u16_sdwa s[6:7], s33, v3 src0_sel:BYTE_0 src1_sel:DWORD
	s_mov_b64 s[12:13], -1
.LBB78_798:
	s_and_b64 vcc, exec, s[6:7]
	s_cbranch_vccnz .LBB78_882
; %bb.799:
	s_andn2_b64 vcc, exec, s[12:13]
	s_cbranch_vccnz .LBB78_801
.LBB78_800:
	s_and_b32 s6, s11, 0x7fff7fff
	s_cmp_lg_u32 s6, 0
	s_cselect_b64 s[6:7], -1, 0
	v_cndmask_b32_e64 v3, 0, 1, s[6:7]
	s_mov_b64 s[14:15], -1
	global_store_byte v[0:1], v3, off
.LBB78_801:
	s_branch .LBB78_674
.LBB78_802:
	v_mov_b32_e32 v3, 5
	v_cmp_lt_i16_sdwa s[12:13], s33, v3 src0_sel:BYTE_0 src1_sel:DWORD
	s_mov_b64 s[6:7], -1
	s_and_b64 vcc, exec, s[12:13]
	s_cbranch_vccnz .LBB78_823
; %bb.803:
	v_mov_b32_e32 v3, 8
	v_cmp_lt_i16_sdwa s[12:13], s33, v3 src0_sel:BYTE_0 src1_sel:DWORD
	s_and_b64 vcc, exec, s[12:13]
	s_cbranch_vccnz .LBB78_813
; %bb.804:
	v_mov_b32_e32 v3, 9
	v_cmp_lt_i16_sdwa s[12:13], s33, v3 src0_sel:BYTE_0 src1_sel:DWORD
	s_and_b64 vcc, exec, s[12:13]
	s_cbranch_vccnz .LBB78_810
; %bb.805:
	v_cmp_gt_i16_sdwa s[12:13], s33, v3 src0_sel:BYTE_0 src1_sel:DWORD
	s_and_b64 vcc, exec, s[12:13]
	s_cbranch_vccz .LBB78_807
; %bb.806:
	s_lshr_b32 s6, s11, 16
	v_cvt_f32_f16_e32 v3, s11
	v_cvt_f32_f16_e32 v6, s6
	s_mov_b64 s[6:7], 0
	v_cvt_f64_f32_e32 v[4:5], v3
	v_cvt_f64_f32_e32 v[6:7], v6
	global_store_dwordx4 v[0:1], v[4:7], off
.LBB78_807:
	s_andn2_b64 vcc, exec, s[6:7]
	s_cbranch_vccnz .LBB78_809
; %bb.808:
	s_lshr_b32 s6, s11, 16
	v_cvt_f32_f16_e32 v5, s6
	v_cvt_f32_f16_e32 v4, s11
	global_store_dwordx2 v[0:1], v[4:5], off
.LBB78_809:
	s_mov_b64 s[6:7], 0
.LBB78_810:
	s_andn2_b64 vcc, exec, s[6:7]
	s_cbranch_vccnz .LBB78_812
; %bb.811:
	v_mov_b32_e32 v3, s11
	global_store_dword v[0:1], v3, off
.LBB78_812:
	s_mov_b64 s[6:7], 0
.LBB78_813:
	s_andn2_b64 vcc, exec, s[6:7]
	s_cbranch_vccnz .LBB78_822
; %bb.814:
	v_mov_b32_e32 v3, 6
	v_cmp_lt_i16_sdwa s[12:13], s33, v3 src0_sel:BYTE_0 src1_sel:DWORD
	s_mov_b64 s[6:7], -1
	s_and_b64 vcc, exec, s[12:13]
	s_cbranch_vccnz .LBB78_820
; %bb.815:
	v_cmp_gt_i16_sdwa s[12:13], s33, v3 src0_sel:BYTE_0 src1_sel:DWORD
	s_and_b64 vcc, exec, s[12:13]
	s_cbranch_vccz .LBB78_817
; %bb.816:
	v_cvt_f32_f16_e32 v3, s11
	s_mov_b64 s[6:7], 0
	v_cvt_f64_f32_e32 v[4:5], v3
	global_store_dwordx2 v[0:1], v[4:5], off
.LBB78_817:
	s_andn2_b64 vcc, exec, s[6:7]
	s_cbranch_vccnz .LBB78_819
; %bb.818:
	v_cvt_f32_f16_e32 v3, s11
	global_store_dword v[0:1], v3, off
.LBB78_819:
	s_mov_b64 s[6:7], 0
.LBB78_820:
	s_andn2_b64 vcc, exec, s[6:7]
	s_cbranch_vccnz .LBB78_822
; %bb.821:
	v_mov_b32_e32 v3, s11
	global_store_short v[0:1], v3, off
.LBB78_822:
	s_mov_b64 s[6:7], 0
.LBB78_823:
	s_andn2_b64 vcc, exec, s[6:7]
	s_cbranch_vccnz .LBB78_839
; %bb.824:
	v_mov_b32_e32 v3, 2
	v_cmp_lt_i16_sdwa s[12:13], s33, v3 src0_sel:BYTE_0 src1_sel:DWORD
	s_mov_b64 s[6:7], -1
	s_and_b64 vcc, exec, s[12:13]
	s_cbranch_vccnz .LBB78_834
; %bb.825:
	v_mov_b32_e32 v3, 3
	v_cmp_lt_i16_sdwa s[12:13], s33, v3 src0_sel:BYTE_0 src1_sel:DWORD
	s_and_b64 vcc, exec, s[12:13]
	s_cbranch_vccnz .LBB78_831
; %bb.826:
	v_cmp_gt_i16_sdwa s[12:13], s33, v3 src0_sel:BYTE_0 src1_sel:DWORD
	s_and_b64 vcc, exec, s[12:13]
	s_cbranch_vccz .LBB78_828
; %bb.827:
	v_cvt_f32_f16_e32 v3, s11
	s_mov_b64 s[6:7], 0
	v_cvt_i32_f32_e32 v4, v3
	v_ashrrev_i32_e32 v5, 31, v4
	global_store_dwordx2 v[0:1], v[4:5], off
.LBB78_828:
	s_andn2_b64 vcc, exec, s[6:7]
	s_cbranch_vccnz .LBB78_830
; %bb.829:
	v_cvt_f32_f16_e32 v3, s11
	v_cvt_i32_f32_e32 v3, v3
	global_store_dword v[0:1], v3, off
.LBB78_830:
	s_mov_b64 s[6:7], 0
.LBB78_831:
	s_andn2_b64 vcc, exec, s[6:7]
	s_cbranch_vccnz .LBB78_833
; %bb.832:
	v_cvt_i16_f16_e32 v3, s11
	global_store_short v[0:1], v3, off
.LBB78_833:
	s_mov_b64 s[6:7], 0
.LBB78_834:
	s_andn2_b64 vcc, exec, s[6:7]
	s_cbranch_vccnz .LBB78_839
; %bb.835:
	v_mov_b32_e32 v3, 0
	v_cmp_gt_i16_sdwa s[12:13], s33, v3 src0_sel:BYTE_0 src1_sel:DWORD
	s_mov_b64 s[6:7], -1
	s_and_b64 vcc, exec, s[12:13]
	s_cbranch_vccz .LBB78_837
; %bb.836:
	v_cvt_i16_f16_e32 v3, s11
	global_store_byte v[0:1], v3, off
	s_mov_b64 s[6:7], 0
.LBB78_837:
	s_andn2_b64 vcc, exec, s[6:7]
	s_cbranch_vccnz .LBB78_839
; %bb.838:
	v_cvt_f32_f16_e32 v3, s11
	v_cvt_i32_f32_e32 v3, v3
	global_store_byte v[0:1], v3, off
.LBB78_839:
	s_branch .LBB78_675
.LBB78_840:
	s_mov_b64 s[6:7], 0
	s_mov_b64 s[8:9], 0
                                        ; implicit-def: $vgpr2
                                        ; implicit-def: $vgpr0_vgpr1
.LBB78_841:
	s_andn2_b64 s[0:1], s[0:1], exec
	s_and_b64 s[4:5], s[4:5], exec
	s_and_b64 s[12:13], s[6:7], exec
	;; [unrolled: 1-line block ×3, first 2 shown]
	s_or_b64 s[0:1], s[0:1], s[4:5]
	s_or_b64 exec, exec, s[2:3]
	s_and_saveexec_b64 s[2:3], s[0:1]
	s_cbranch_execnz .LBB78_413
.LBB78_842:
	s_or_b64 exec, exec, s[2:3]
	s_and_saveexec_b64 s[0:1], s[6:7]
	s_xor_b64 s[0:1], exec, s[0:1]
	s_cbranch_execz .LBB78_414
.LBB78_843:
	s_and_b32 s2, s11, 0x7fff7fff
	s_cmp_lg_u32 s2, 0
	s_cselect_b64 s[2:3], -1, 0
	v_cndmask_b32_e64 v3, 0, 1, s[2:3]
	global_store_byte v[0:1], v3, off
	s_or_b64 exec, exec, s[0:1]
	s_and_saveexec_b64 s[0:1], s[12:13]
	s_cbranch_execz .LBB78_881
.LBB78_844:
	v_cmp_gt_i16_e32 vcc, 5, v2
	s_mov_b64 s[0:1], -1
	s_cbranch_vccnz .LBB78_865
; %bb.845:
	v_cmp_gt_i16_e32 vcc, 8, v2
	s_cbranch_vccnz .LBB78_855
; %bb.846:
	v_cmp_gt_i16_e32 vcc, 9, v2
	s_cbranch_vccnz .LBB78_852
; %bb.847:
	v_cmp_lt_i16_e32 vcc, 9, v2
	s_cbranch_vccz .LBB78_849
; %bb.848:
	s_lshr_b32 s0, s11, 16
	v_cvt_f32_f16_e32 v3, s11
	v_cvt_f32_f16_e32 v6, s0
	s_mov_b64 s[0:1], 0
	v_cvt_f64_f32_e32 v[4:5], v3
	v_cvt_f64_f32_e32 v[6:7], v6
	global_store_dwordx4 v[0:1], v[4:7], off
.LBB78_849:
	s_andn2_b64 vcc, exec, s[0:1]
	s_cbranch_vccnz .LBB78_851
; %bb.850:
	s_lshr_b32 s0, s11, 16
	v_cvt_f32_f16_e32 v5, s0
	v_cvt_f32_f16_e32 v4, s11
	global_store_dwordx2 v[0:1], v[4:5], off
.LBB78_851:
	s_mov_b64 s[0:1], 0
.LBB78_852:
	s_andn2_b64 vcc, exec, s[0:1]
	s_cbranch_vccnz .LBB78_854
; %bb.853:
	v_mov_b32_e32 v3, s11
	global_store_dword v[0:1], v3, off
.LBB78_854:
	s_mov_b64 s[0:1], 0
.LBB78_855:
	s_andn2_b64 vcc, exec, s[0:1]
	s_cbranch_vccnz .LBB78_864
; %bb.856:
	v_cmp_gt_i16_e32 vcc, 6, v2
	s_mov_b64 s[0:1], -1
	s_cbranch_vccnz .LBB78_862
; %bb.857:
	v_cmp_lt_i16_e32 vcc, 6, v2
	s_cbranch_vccz .LBB78_859
; %bb.858:
	v_cvt_f32_f16_e32 v3, s11
	s_mov_b64 s[0:1], 0
	v_cvt_f64_f32_e32 v[4:5], v3
	global_store_dwordx2 v[0:1], v[4:5], off
.LBB78_859:
	s_andn2_b64 vcc, exec, s[0:1]
	s_cbranch_vccnz .LBB78_861
; %bb.860:
	v_cvt_f32_f16_e32 v3, s11
	global_store_dword v[0:1], v3, off
.LBB78_861:
	s_mov_b64 s[0:1], 0
.LBB78_862:
	s_andn2_b64 vcc, exec, s[0:1]
	s_cbranch_vccnz .LBB78_864
; %bb.863:
	v_mov_b32_e32 v3, s11
	global_store_short v[0:1], v3, off
.LBB78_864:
	s_mov_b64 s[0:1], 0
.LBB78_865:
	s_andn2_b64 vcc, exec, s[0:1]
	s_cbranch_vccnz .LBB78_881
; %bb.866:
	v_cmp_gt_i16_e32 vcc, 2, v2
	s_mov_b64 s[0:1], -1
	s_cbranch_vccnz .LBB78_876
; %bb.867:
	v_cmp_gt_i16_e32 vcc, 3, v2
	s_cbranch_vccnz .LBB78_873
; %bb.868:
	v_cmp_lt_i16_e32 vcc, 3, v2
	s_cbranch_vccz .LBB78_870
; %bb.869:
	v_cvt_f32_f16_e32 v3, s11
	s_mov_b64 s[0:1], 0
	v_cvt_i32_f32_e32 v4, v3
	v_ashrrev_i32_e32 v5, 31, v4
	global_store_dwordx2 v[0:1], v[4:5], off
.LBB78_870:
	s_andn2_b64 vcc, exec, s[0:1]
	s_cbranch_vccnz .LBB78_872
; %bb.871:
	v_cvt_f32_f16_e32 v3, s11
	v_cvt_i32_f32_e32 v3, v3
	global_store_dword v[0:1], v3, off
.LBB78_872:
	s_mov_b64 s[0:1], 0
.LBB78_873:
	s_andn2_b64 vcc, exec, s[0:1]
	s_cbranch_vccnz .LBB78_875
; %bb.874:
	v_cvt_i16_f16_e32 v3, s11
	global_store_short v[0:1], v3, off
.LBB78_875:
	s_mov_b64 s[0:1], 0
.LBB78_876:
	s_andn2_b64 vcc, exec, s[0:1]
	s_cbranch_vccnz .LBB78_881
; %bb.877:
	v_cmp_lt_i16_e32 vcc, 0, v2
	s_mov_b64 s[0:1], -1
	s_cbranch_vccz .LBB78_879
; %bb.878:
	v_cvt_i16_f16_e32 v2, s11
	global_store_byte v[0:1], v2, off
	s_mov_b64 s[0:1], 0
.LBB78_879:
	s_andn2_b64 vcc, exec, s[0:1]
	s_cbranch_vccnz .LBB78_881
; %bb.880:
	v_cvt_f32_f16_e32 v2, s11
	v_cvt_i32_f32_e32 v2, v2
	global_store_byte v[0:1], v2, off
	s_endpgm
.LBB78_881:
	s_endpgm
.LBB78_882:
	s_trap 2
	s_or_b64 s[4:5], s[4:5], exec
	s_cbranch_execz .LBB78_800
	s_branch .LBB78_801
.LBB78_883:
	s_mov_b64 s[12:13], -1
	s_mov_b64 s[8:9], 0
                                        ; implicit-def: $sgpr14
.LBB78_884:
	s_andn2_b64 vcc, exec, s[12:13]
	v_mov_b32_e32 v3, s14
                                        ; implicit-def: $sgpr12
	s_cbranch_vccnz .LBB78_886
; %bb.885:
	v_mov_b32_e32 v3, 0x42800000
	v_add_f32_e64 v3, |s10|, v3
	v_and_b32_e32 v3, 0xff, v3
	s_mov_b32 s12, 0
	v_cmp_ne_u32_e64 s[8:9], 0, v3
.LBB78_886:
	s_andn2_b64 vcc, exec, s[8:9]
	v_mov_b32_e32 v4, s12
	s_cbranch_vccnz .LBB78_888
; %bb.887:
	s_lshr_b32 s8, s10, 24
	s_and_b32 s8, s8, 0x80
	v_or_b32_e32 v4, s8, v3
.LBB78_888:
	s_mov_b64 s[8:9], 0
	global_store_byte v[0:1], v4, off
.LBB78_889:
	s_and_b64 vcc, exec, s[8:9]
	s_cbranch_vccz .LBB78_901
; %bb.890:
	v_cvt_f32_f16_e32 v3, s11
	v_readfirstlane_b32 s10, v3
	s_and_b32 s12, s10, 0x7fffffff
	s_cmp_lt_u32 s12, 0x43f00000
	s_cbranch_scc0 .LBB78_893
; %bb.891:
	s_cmp_gt_u32 s12, 0x3c7fffff
	s_cbranch_scc0 .LBB78_894
; %bb.892:
	s_bfe_u32 s8, s10, 0x10014
	s_add_i32 s8, s10, s8
	s_add_i32 s8, s8, 0x407ffff
	s_lshr_b32 s9, s8, 20
	s_and_b32 s8, s8, 0xff00000
	s_cmp_lg_u32 s8, 0x7f00000
	s_cselect_b32 s13, s9, 0x7e
	s_mov_b64 s[8:9], 0
	s_branch .LBB78_895
.LBB78_893:
	s_mov_b64 s[8:9], -1
                                        ; implicit-def: $vgpr4
	s_branch .LBB78_898
.LBB78_894:
	s_mov_b64 s[8:9], -1
                                        ; implicit-def: $sgpr13
.LBB78_895:
	s_andn2_b64 vcc, exec, s[8:9]
	v_mov_b32_e32 v4, s13
	s_cbranch_vccnz .LBB78_897
; %bb.896:
	s_mov_b32 s8, 0x46800000
	v_add_f32_e64 v4, |v3|, s8
.LBB78_897:
	s_mov_b64 s[8:9], 0
.LBB78_898:
	s_andn2_b64 vcc, exec, s[8:9]
	s_cbranch_vccnz .LBB78_900
; %bb.899:
	s_cmp_gt_u32 s12, 0x7f800000
	s_movk_i32 s8, 0x7f
	s_cselect_b32 s8, s8, 0x7e
	v_mov_b32_e32 v4, s8
.LBB78_900:
	s_lshr_b32 s8, s10, 24
	s_and_b32 s8, s8, 0x80
	v_or_b32_e32 v3, s8, v4
	global_store_byte v[0:1], v3, off
.LBB78_901:
	s_mov_b64 s[8:9], 0
.LBB78_902:
	s_andn2_b64 vcc, exec, s[8:9]
	s_cbranch_vccnz .LBB78_914
; %bb.903:
	v_cvt_f32_f16_e32 v3, s11
	v_readfirstlane_b32 s10, v3
	s_and_b32 s12, s10, 0x7fffffff
	s_cmp_lt_u32 s12, 0x47800000
	s_cbranch_scc0 .LBB78_906
; %bb.904:
	s_cmp_gt_u32 s12, 0x387fffff
	s_cbranch_scc0 .LBB78_907
; %bb.905:
	s_bfe_u32 s8, s10, 0x10015
	s_add_i32 s8, s10, s8
	s_add_i32 s8, s8, 0x80fffff
	s_lshr_b32 s13, s8, 21
	s_mov_b64 s[8:9], 0
	s_branch .LBB78_908
.LBB78_906:
	s_mov_b64 s[8:9], -1
                                        ; implicit-def: $vgpr4
	s_branch .LBB78_911
.LBB78_907:
	s_mov_b64 s[8:9], -1
                                        ; implicit-def: $sgpr13
.LBB78_908:
	s_andn2_b64 vcc, exec, s[8:9]
	v_mov_b32_e32 v4, s13
	s_cbranch_vccnz .LBB78_910
; %bb.909:
	s_mov_b32 s8, 0x43000000
	v_add_f32_e64 v4, |v3|, s8
.LBB78_910:
	s_mov_b64 s[8:9], 0
.LBB78_911:
	s_andn2_b64 vcc, exec, s[8:9]
	s_cbranch_vccnz .LBB78_913
; %bb.912:
	s_cmp_gt_u32 s12, 0x7f800000
	s_movk_i32 s8, 0x7f
	s_cselect_b32 s8, s8, 0x7c
	v_mov_b32_e32 v4, s8
.LBB78_913:
	s_lshr_b32 s8, s10, 24
	s_and_b32 s8, s8, 0x80
	v_or_b32_e32 v3, s8, v4
	global_store_byte v[0:1], v3, off
.LBB78_914:
	s_mov_b64 s[8:9], 0
.LBB78_915:
	s_andn2_b64 vcc, exec, s[8:9]
	s_mov_b64 s[8:9], 0
	s_cbranch_vccnz .LBB78_922
; %bb.916:
	v_cmp_lt_i16_e32 vcc, 14, v2
	s_mov_b64 s[12:13], -1
	s_cbranch_vccz .LBB78_920
; %bb.917:
	v_cmp_eq_u16_e32 vcc, 15, v2
	s_mov_b64 s[6:7], -1
	s_cbranch_vccz .LBB78_919
; %bb.918:
	v_cvt_f32_f16_e32 v3, s11
	v_mov_b32_e32 v4, 0x7fc0
	v_cmp_o_f16_e64 vcc, s11, s11
	s_mov_b64 s[6:7], 0
	v_bfe_u32 v5, v3, 16, 1
	v_add_u32_e32 v3, v3, v5
	v_add_u32_e32 v3, 0x7fff, v3
	v_lshrrev_b32_e32 v3, 16, v3
	v_cndmask_b32_e32 v3, v4, v3, vcc
	global_store_short v[0:1], v3, off
.LBB78_919:
	s_mov_b64 s[12:13], 0
.LBB78_920:
	s_and_b64 vcc, exec, s[12:13]
	s_cbranch_vccz .LBB78_922
; %bb.921:
	v_cmp_ne_u16_e64 s[6:7], 11, v2
	s_mov_b64 s[8:9], -1
.LBB78_922:
	s_and_b64 vcc, exec, s[6:7]
	s_cbranch_vccnz .LBB78_924
.LBB78_923:
	s_mov_b64 s[6:7], 0
	s_branch .LBB78_841
.LBB78_924:
	s_mov_b64 s[8:9], 0
	s_or_b64 s[4:5], s[4:5], exec
	s_trap 2
	s_branch .LBB78_923
	.section	.rodata,"a",@progbits
	.p2align	6, 0x0
	.amdhsa_kernel _ZN2at6native32elementwise_kernel_manual_unrollILi128ELi4EZNS0_15gpu_kernel_implINS0_11FillFunctorIN3c107complexINS4_4HalfEEEEEEEvRNS_18TensorIteratorBaseERKT_EUlibE_EEviT1_
		.amdhsa_group_segment_fixed_size 0
		.amdhsa_private_segment_fixed_size 0
		.amdhsa_kernarg_size 32
		.amdhsa_user_sgpr_count 6
		.amdhsa_user_sgpr_private_segment_buffer 1
		.amdhsa_user_sgpr_dispatch_ptr 0
		.amdhsa_user_sgpr_queue_ptr 0
		.amdhsa_user_sgpr_kernarg_segment_ptr 1
		.amdhsa_user_sgpr_dispatch_id 0
		.amdhsa_user_sgpr_flat_scratch_init 0
		.amdhsa_user_sgpr_kernarg_preload_length 0
		.amdhsa_user_sgpr_kernarg_preload_offset 0
		.amdhsa_user_sgpr_private_segment_size 0
		.amdhsa_uses_dynamic_stack 0
		.amdhsa_system_sgpr_private_segment_wavefront_offset 0
		.amdhsa_system_sgpr_workgroup_id_x 1
		.amdhsa_system_sgpr_workgroup_id_y 0
		.amdhsa_system_sgpr_workgroup_id_z 0
		.amdhsa_system_sgpr_workgroup_info 0
		.amdhsa_system_vgpr_workitem_id 0
		.amdhsa_next_free_vgpr 23
		.amdhsa_next_free_sgpr 60
		.amdhsa_accum_offset 24
		.amdhsa_reserve_vcc 1
		.amdhsa_reserve_flat_scratch 0
		.amdhsa_float_round_mode_32 0
		.amdhsa_float_round_mode_16_64 0
		.amdhsa_float_denorm_mode_32 3
		.amdhsa_float_denorm_mode_16_64 3
		.amdhsa_dx10_clamp 1
		.amdhsa_ieee_mode 1
		.amdhsa_fp16_overflow 0
		.amdhsa_tg_split 0
		.amdhsa_exception_fp_ieee_invalid_op 0
		.amdhsa_exception_fp_denorm_src 0
		.amdhsa_exception_fp_ieee_div_zero 0
		.amdhsa_exception_fp_ieee_overflow 0
		.amdhsa_exception_fp_ieee_underflow 0
		.amdhsa_exception_fp_ieee_inexact 0
		.amdhsa_exception_int_div_zero 0
	.end_amdhsa_kernel
	.section	.text._ZN2at6native32elementwise_kernel_manual_unrollILi128ELi4EZNS0_15gpu_kernel_implINS0_11FillFunctorIN3c107complexINS4_4HalfEEEEEEEvRNS_18TensorIteratorBaseERKT_EUlibE_EEviT1_,"axG",@progbits,_ZN2at6native32elementwise_kernel_manual_unrollILi128ELi4EZNS0_15gpu_kernel_implINS0_11FillFunctorIN3c107complexINS4_4HalfEEEEEEEvRNS_18TensorIteratorBaseERKT_EUlibE_EEviT1_,comdat
.Lfunc_end78:
	.size	_ZN2at6native32elementwise_kernel_manual_unrollILi128ELi4EZNS0_15gpu_kernel_implINS0_11FillFunctorIN3c107complexINS4_4HalfEEEEEEEvRNS_18TensorIteratorBaseERKT_EUlibE_EEviT1_, .Lfunc_end78-_ZN2at6native32elementwise_kernel_manual_unrollILi128ELi4EZNS0_15gpu_kernel_implINS0_11FillFunctorIN3c107complexINS4_4HalfEEEEEEEvRNS_18TensorIteratorBaseERKT_EUlibE_EEviT1_
                                        ; -- End function
	.section	.AMDGPU.csdata,"",@progbits
; Kernel info:
; codeLenInByte = 14448
; NumSgprs: 64
; NumVgprs: 23
; NumAgprs: 0
; TotalNumVgprs: 23
; ScratchSize: 0
; MemoryBound: 0
; FloatMode: 240
; IeeeMode: 1
; LDSByteSize: 0 bytes/workgroup (compile time only)
; SGPRBlocks: 7
; VGPRBlocks: 2
; NumSGPRsForWavesPerEU: 64
; NumVGPRsForWavesPerEU: 23
; AccumOffset: 24
; Occupancy: 8
; WaveLimiterHint : 0
; COMPUTE_PGM_RSRC2:SCRATCH_EN: 0
; COMPUTE_PGM_RSRC2:USER_SGPR: 6
; COMPUTE_PGM_RSRC2:TRAP_HANDLER: 0
; COMPUTE_PGM_RSRC2:TGID_X_EN: 1
; COMPUTE_PGM_RSRC2:TGID_Y_EN: 0
; COMPUTE_PGM_RSRC2:TGID_Z_EN: 0
; COMPUTE_PGM_RSRC2:TIDIG_COMP_CNT: 0
; COMPUTE_PGM_RSRC3_GFX90A:ACCUM_OFFSET: 5
; COMPUTE_PGM_RSRC3_GFX90A:TG_SPLIT: 0
	.section	.text._ZN2at6native32elementwise_kernel_manual_unrollILi128ELi4EZNS0_15gpu_kernel_implINS0_11FillFunctorIN3c107complexINS4_4HalfEEEEEEEvRNS_18TensorIteratorBaseERKT_EUlibE0_EEviT1_,"axG",@progbits,_ZN2at6native32elementwise_kernel_manual_unrollILi128ELi4EZNS0_15gpu_kernel_implINS0_11FillFunctorIN3c107complexINS4_4HalfEEEEEEEvRNS_18TensorIteratorBaseERKT_EUlibE0_EEviT1_,comdat
	.protected	_ZN2at6native32elementwise_kernel_manual_unrollILi128ELi4EZNS0_15gpu_kernel_implINS0_11FillFunctorIN3c107complexINS4_4HalfEEEEEEEvRNS_18TensorIteratorBaseERKT_EUlibE0_EEviT1_ ; -- Begin function _ZN2at6native32elementwise_kernel_manual_unrollILi128ELi4EZNS0_15gpu_kernel_implINS0_11FillFunctorIN3c107complexINS4_4HalfEEEEEEEvRNS_18TensorIteratorBaseERKT_EUlibE0_EEviT1_
	.globl	_ZN2at6native32elementwise_kernel_manual_unrollILi128ELi4EZNS0_15gpu_kernel_implINS0_11FillFunctorIN3c107complexINS4_4HalfEEEEEEEvRNS_18TensorIteratorBaseERKT_EUlibE0_EEviT1_
	.p2align	8
	.type	_ZN2at6native32elementwise_kernel_manual_unrollILi128ELi4EZNS0_15gpu_kernel_implINS0_11FillFunctorIN3c107complexINS4_4HalfEEEEEEEvRNS_18TensorIteratorBaseERKT_EUlibE0_EEviT1_,@function
_ZN2at6native32elementwise_kernel_manual_unrollILi128ELi4EZNS0_15gpu_kernel_implINS0_11FillFunctorIN3c107complexINS4_4HalfEEEEEEEvRNS_18TensorIteratorBaseERKT_EUlibE0_EEviT1_: ; @_ZN2at6native32elementwise_kernel_manual_unrollILi128ELi4EZNS0_15gpu_kernel_implINS0_11FillFunctorIN3c107complexINS4_4HalfEEEEEEEvRNS_18TensorIteratorBaseERKT_EUlibE0_EEviT1_
; %bb.0:
	s_load_dword s89, s[4:5], 0x0
	s_load_dword s33, s[4:5], 0x8
	s_or_b32 s4, s4, 8
	v_lshl_or_b32 v13, s6, 9, v0
	v_or_b32_e32 v8, 0x180, v13
	s_waitcnt lgkmcnt(0)
	v_cmp_le_i32_e32 vcc, s89, v8
	s_add_i32 s80, s33, -1
	s_cmp_gt_u32 s80, 1
	s_cselect_b64 s[36:37], -1, 0
	s_mov_b64 s[34:35], 0
	s_mov_b64 s[6:7], 0
	s_and_saveexec_b64 s[0:1], vcc
	s_xor_b64 s[38:39], exec, s[0:1]
	s_cbranch_execz .LBB79_462
; %bb.1:
	s_load_dwordx2 s[56:57], s[4:5], 0xc4
	s_load_dwordx4 s[16:19], s[4:5], 0x108
	s_load_dwordx4 s[20:23], s[4:5], 0x4
	s_load_dwordx2 s[58:59], s[4:5], 0x14
	s_cmp_lg_u32 s33, 0
	s_cselect_b64 s[64:65], -1, 0
	s_add_u32 s62, s4, 0xc4
	s_addc_u32 s63, s5, 0
	s_min_u32 s90, s80, 15
	s_waitcnt lgkmcnt(0)
	v_cvt_f32_f16_e32 v6, s18
	s_cmp_gt_u32 s33, 1
	s_cselect_b64 s[60:61], -1, 0
	s_and_b32 s0, s18, 0x7fff7fff
	s_cmp_lg_u32 s0, 0
	s_cselect_b64 s[0:1], -1, 0
	v_and_b32_e32 v2, 0x400000, v6
	v_cndmask_b32_e64 v14, 0, 1, s[0:1]
	v_bfe_u32 v1, v6, 23, 8
	s_movk_i32 s0, 0xff
	v_cmp_ne_u32_e32 vcc, 0, v2
	v_and_b32_e32 v2, 0x3fffff, v6
	v_cmp_eq_u32_e64 s[6:7], s0, v1
	v_or_b32_e32 v1, v1, v2
	v_cmp_ne_u32_e64 s[0:1], 0, v1
	v_readfirstlane_b32 s9, v6
	s_lshr_b32 s8, s18, 16
	s_and_b64 s[0:1], vcc, s[0:1]
	s_and_b32 s10, s9, 0x7fffffff
	s_cmp_lt_u32 s10, 0x43800000
	s_cselect_b64 s[52:53], -1, 0
	s_cmp_gt_u32 s10, 0x3bffffff
	v_cndmask_b32_e64 v1, 0, 1, s[0:1]
	s_cselect_b64 s[2:3], -1, 0
	s_bfe_u32 s0, s9, 0x10014
	s_add_i32 s11, s9, s0
	s_add_i32 s0, s11, 0x487ffff
	s_lshr_b32 s88, s0, 20
	s_mov_b32 s0, 0x46000000
	v_add_f32_e64 v18, |v6|, s0
	v_readfirstlane_b32 s0, v18
	s_and_b32 s0, s0, 0xff
	s_cmp_lg_u32 s0, 0
	s_cselect_b64 s[54:55], -1, 0
	s_cmp_gt_u32 s10, 0x477fffff
	s_cselect_b64 s[40:41], -1, 0
	s_cmp_lt_u32 s10, 0x47800000
	s_movk_i32 s0, 0x80
	s_cselect_b64 s[48:49], -1, 0
	s_cmp_gt_u32 s10, 0x37ffffff
	v_and_b32_sdwa v15, v6, s0 dst_sel:DWORD dst_unused:UNUSED_PAD src0_sel:BYTE_3 src1_sel:DWORD
	s_cselect_b64 s[0:1], -1, 0
	s_bfe_u32 s12, s9, 0x10015
	s_add_i32 s9, s9, s12
	s_add_i32 s12, s9, 0x88fffff
	s_lshr_b32 s86, s12, 21
	s_mov_b32 s12, 0x42800000
	v_add_f32_e64 v17, |v6|, s12
	v_readfirstlane_b32 s12, v17
	s_and_b32 s12, s12, 0xff
	s_cmp_lg_u32 s12, 0
	s_cselect_b64 s[50:51], -1, 0
	s_cmp_gt_u32 s10, 0x43efffff
	s_cselect_b64 s[44:45], -1, 0
	s_cmp_lt_u32 s10, 0x3c800000
	s_cselect_b64 s[46:47], -1, 0
	s_add_i32 s11, s11, 0x407ffff
	s_lshr_b32 s12, s11, 20
	s_and_b32 s11, s11, 0xff00000
	s_cmp_lg_u32 s11, 0x7f00000
	s_cselect_b32 s84, s12, 0x7e
	s_cmp_lt_u32 s10, 0x38800000
	v_cvt_f32_f16_e32 v7, s8
	s_cselect_b64 s[42:43], -1, 0
	s_add_i32 s9, s9, 0x80fffff
	s_lshr_b32 s81, s9, 21
	v_lshrrev_b32_e32 v0, 23, v6
	s_mov_b32 s11, 0x46800000
	s_cmp_gt_u32 s10, 0x7f800000
	s_movk_i32 s9, 0x7f
	v_add_u32_e32 v20, v0, v1
	v_add_f32_e64 v0, |v6|, s11
	s_cselect_b32 s87, s9, 0x7e
	s_mov_b32 s9, 0x43000000
	v_readfirstlane_b32 s85, v0
	v_add_f32_e64 v0, |v6|, s9
	v_bfe_u32 v4, v7, 16, 1
	v_readfirstlane_b32 s82, v0
	v_bfe_u32 v0, v6, 16, 1
	v_add_u32_e32 v4, v7, v4
	v_add_u32_e32 v0, v6, v0
	;; [unrolled: 1-line block ×4, first 2 shown]
	v_and_b32_e32 v5, 0xffff0000, v4
	v_cvt_i32_f32_e32 v4, v6
	v_cvt_u32_f32_e32 v8, v6
	v_lshrrev_b32_e32 v0, 16, v0
	v_mov_b32_e32 v1, 0x7fc0
	v_cmp_o_f16_e64 vcc, s18, s18
	v_cndmask_b32_e32 v16, v1, v0, vcc
	v_mov_b32_e32 v10, 0x7fc00000
	v_cmp_o_f16_e64 vcc, s8, s8
	s_movk_i32 s9, 0x7c
	v_cndmask_b32_e32 v5, v10, v5, vcc
	v_mov_b32_e32 v9, 0
	v_cvt_u16_f16_e32 v19, s18
	s_cselect_b32 s83, 0x7f, s9
	v_cvt_f64_f32_e32 v[0:1], v6
	v_cvt_f64_f32_e32 v[2:3], v7
	v_or_b32_e32 v21, v5, v16
	v_ashrrev_i32_e32 v5, 31, v4
	v_cvt_i16_f16_e32 v12, s18
	v_cmp_gt_i32_e32 vcc, s89, v13
	s_mov_b64 s[10:11], -1
	s_mov_b64 s[72:73], 0
	s_mov_b64 s[66:67], 0
	s_and_saveexec_b64 s[68:69], vcc
	s_cbranch_execz .LBB79_114
; %bb.2:
	s_andn2_b64 vcc, exec, s[36:37]
	s_cbranch_vccnz .LBB79_7
; %bb.3:
	s_andn2_b64 vcc, exec, s[64:65]
	s_cbranch_vccnz .LBB79_8
; %bb.4:
	s_add_i32 s75, s90, 1
	s_mov_b32 s74, 0
	s_cmp_eq_u32 s80, 2
	v_mov_b32_e32 v10, 0
	s_cbranch_scc1 .LBB79_9
; %bb.5:
	s_and_b32 s74, s75, 28
	s_mov_b32 s76, 0
	v_mov_b32_e32 v10, 0
	s_mov_b64 s[66:67], s[4:5]
	s_mov_b64 s[70:71], s[62:63]
	v_mov_b32_e32 v22, v13
.LBB79_6:                               ; =>This Inner Loop Header: Depth=1
	s_load_dwordx8 s[8:15], s[66:67], 0x4
	s_load_dwordx4 s[24:27], s[66:67], 0x24
	s_load_dwordx4 s[28:31], s[70:71], 0x0
	s_add_u32 s66, s66, 48
	s_addc_u32 s67, s67, 0
	s_waitcnt lgkmcnt(0)
	v_mul_hi_u32 v11, s9, v22
	v_add_u32_e32 v11, v22, v11
	v_lshrrev_b32_e32 v11, s10, v11
	v_mul_lo_u32 v23, v11, s8
	v_mul_hi_u32 v24, s12, v11
	v_sub_u32_e32 v22, v22, v23
	v_add_u32_e32 v23, v11, v24
	v_lshrrev_b32_e32 v23, s13, v23
	v_mul_lo_u32 v24, v23, s11
	v_mul_hi_u32 v25, s15, v23
	v_sub_u32_e32 v11, v11, v24
	v_add_u32_e32 v24, v23, v25
	v_mul_lo_u32 v22, v22, s28
	v_mul_lo_u32 v11, v11, s29
	v_lshrrev_b32_e32 v24, s24, v24
	v_add3_u32 v10, v22, v10, v11
	v_mul_hi_u32 v22, s26, v24
	v_add_u32_e32 v22, v24, v22
	v_mul_lo_u32 v11, v24, s14
	v_lshrrev_b32_e32 v22, s27, v22
	s_add_i32 s76, s76, 4
	v_sub_u32_e32 v11, v23, v11
	v_mul_lo_u32 v23, v22, s25
	s_add_u32 s70, s70, 16
	v_sub_u32_e32 v23, v24, v23
	s_addc_u32 s71, s71, 0
	v_mul_lo_u32 v11, v11, s30
	v_mul_lo_u32 v23, v23, s31
	s_cmp_lg_u32 s74, s76
	v_add3_u32 v10, v11, v10, v23
	s_cbranch_scc1 .LBB79_6
	s_branch .LBB79_10
.LBB79_7:
                                        ; implicit-def: $vgpr10
	s_branch .LBB79_14
.LBB79_8:
	v_mov_b32_e32 v10, 0
	s_branch .LBB79_13
.LBB79_9:
	v_mov_b32_e32 v22, v13
.LBB79_10:
	s_and_b32 s12, s75, 3
	s_cmp_eq_u32 s12, 0
	s_cbranch_scc1 .LBB79_13
; %bb.11:
	s_lshl_b32 s8, s74, 2
	s_add_u32 s8, s8, s4
	s_addc_u32 s9, s5, 0
	s_add_u32 s8, s8, 0xc4
	s_addc_u32 s9, s9, 0
	s_mul_i32 s10, s74, 12
	s_add_u32 s10, s4, s10
	s_addc_u32 s11, s5, 0
.LBB79_12:                              ; =>This Inner Loop Header: Depth=1
	s_load_dwordx2 s[14:15], s[10:11], 0x4
	s_load_dword s13, s[10:11], 0xc
	s_load_dword s24, s[8:9], 0x0
	s_add_u32 s10, s10, 12
	s_addc_u32 s11, s11, 0
	s_waitcnt lgkmcnt(0)
	v_mul_hi_u32 v11, s15, v22
	v_add_u32_e32 v11, v22, v11
	v_lshrrev_b32_e32 v11, s13, v11
	s_add_u32 s8, s8, 4
	v_mul_lo_u32 v23, v11, s14
	s_addc_u32 s9, s9, 0
	s_add_i32 s12, s12, -1
	v_sub_u32_e32 v23, v22, v23
	s_cmp_lg_u32 s12, 0
	v_mov_b32_e32 v22, v11
	v_mad_u64_u32 v[10:11], s[14:15], v23, s24, v[10:11]
	s_cbranch_scc1 .LBB79_12
.LBB79_13:
	s_cbranch_execnz .LBB79_16
.LBB79_14:
	v_mul_hi_u32 v10, s21, v13
	v_add_u32_e32 v10, v13, v10
	v_lshrrev_b32_e32 v11, s22, v10
	v_mul_lo_u32 v10, v11, s20
	v_sub_u32_e32 v10, v13, v10
	s_andn2_b64 vcc, exec, s[60:61]
	v_mul_lo_u32 v10, v10, s56
	s_cbranch_vccnz .LBB79_16
; %bb.15:
	v_mul_hi_u32 v22, s58, v11
	v_add_u32_e32 v22, v11, v22
	v_lshrrev_b32_e32 v22, s59, v22
	v_mul_lo_u32 v22, v22, s23
	v_sub_u32_e32 v11, v11, v22
	v_mad_u64_u32 v[10:11], s[8:9], v11, s57, v[10:11]
.LBB79_16:
	v_mov_b32_e32 v11, s17
	v_add_co_u32_e32 v10, vcc, s16, v10
	v_mov_b32_e32 v22, 11
	v_addc_co_u32_e32 v11, vcc, 0, v11, vcc
	v_cmp_lt_i16_sdwa s[8:9], s19, v22 src0_sel:BYTE_0 src1_sel:DWORD
	s_and_b64 vcc, exec, s[8:9]
	s_cbranch_vccnz .LBB79_23
; %bb.17:
	v_mov_b32_e32 v22, 25
	v_cmp_gt_i16_sdwa s[8:9], s19, v22 src0_sel:BYTE_0 src1_sel:DWORD
	s_and_b64 vcc, exec, s[8:9]
	s_cbranch_vccz .LBB79_26
; %bb.18:
	v_mov_b32_e32 v22, 28
	v_cmp_gt_i16_sdwa s[8:9], s19, v22 src0_sel:BYTE_0 src1_sel:DWORD
	s_and_b64 vcc, exec, s[8:9]
	s_cbranch_vccz .LBB79_27
	;; [unrolled: 5-line block ×4, first 2 shown]
; %bb.21:
	v_mov_b32_e32 v22, 46
	v_cmp_eq_u16_sdwa s[10:11], s19, v22 src0_sel:BYTE_0 src1_sel:DWORD
	s_mov_b64 s[12:13], 0
	s_mov_b64 s[8:9], -1
	s_and_b64 vcc, exec, s[10:11]
	s_mov_b64 s[10:11], 0
	s_cbranch_vccz .LBB79_30
; %bb.22:
	global_store_dword v[10:11], v21, off
	s_mov_b64 s[10:11], -1
	s_mov_b64 s[8:9], 0
	s_branch .LBB79_30
.LBB79_23:
	s_mov_b64 s[8:9], 0
	s_mov_b64 s[10:11], 0
	s_cbranch_execnz .LBB79_74
.LBB79_24:
	s_andn2_b64 vcc, exec, s[10:11]
	s_cbranch_vccnz .LBB79_112
.LBB79_25:
	v_add_u32_e32 v13, 0x80, v13
	s_mov_b64 s[10:11], -1
	s_branch .LBB79_113
.LBB79_26:
	s_mov_b64 s[8:9], 0
	s_mov_b64 s[10:11], 0
	s_cbranch_execnz .LBB79_52
	s_branch .LBB79_73
.LBB79_27:
	s_mov_b64 s[12:13], -1
	s_mov_b64 s[8:9], 0
	s_mov_b64 s[10:11], 0
	s_branch .LBB79_38
.LBB79_28:
	s_mov_b64 s[12:13], -1
	s_mov_b64 s[8:9], 0
	s_mov_b64 s[10:11], 0
	s_branch .LBB79_34
.LBB79_29:
	s_mov_b64 s[12:13], -1
	s_mov_b64 s[8:9], 0
	s_mov_b64 s[10:11], 0
.LBB79_30:
	s_and_b64 vcc, exec, s[12:13]
	s_cbranch_vccz .LBB79_33
; %bb.31:
	v_mov_b32_e32 v22, 44
	v_cmp_eq_u16_sdwa s[12:13], s19, v22 src0_sel:BYTE_0 src1_sel:DWORD
	s_mov_b64 s[8:9], -1
	s_and_b64 vcc, exec, s[12:13]
	s_cbranch_vccz .LBB79_33
; %bb.32:
	v_mov_b32_e32 v22, 0xff
	v_cndmask_b32_e64 v22, v20, v22, s[6:7]
	global_store_byte v[10:11], v22, off
	s_mov_b64 s[10:11], -1
	s_mov_b64 s[8:9], 0
.LBB79_33:
	s_mov_b64 s[12:13], 0
.LBB79_34:
	s_and_b64 vcc, exec, s[12:13]
	s_cbranch_vccz .LBB79_37
; %bb.35:
	v_mov_b32_e32 v22, 29
	v_cmp_eq_u16_sdwa s[12:13], s19, v22 src0_sel:BYTE_0 src1_sel:DWORD
	s_mov_b64 s[8:9], -1
	s_and_b64 vcc, exec, s[12:13]
	s_cbranch_vccz .LBB79_37
; %bb.36:
	global_store_dwordx2 v[10:11], v[8:9], off
	s_mov_b64 s[10:11], -1
	s_mov_b64 s[8:9], 0
.LBB79_37:
	s_mov_b64 s[12:13], 0
.LBB79_38:
	s_and_b64 vcc, exec, s[12:13]
	s_cbranch_vccz .LBB79_51
; %bb.39:
	v_mov_b32_e32 v22, 27
	v_cmp_lt_i16_sdwa s[12:13], s19, v22 src0_sel:BYTE_0 src1_sel:DWORD
	s_mov_b64 s[10:11], -1
	s_and_b64 vcc, exec, s[12:13]
	s_cbranch_vccnz .LBB79_45
; %bb.40:
	v_cmp_gt_i16_sdwa s[12:13], s19, v22 src0_sel:BYTE_0 src1_sel:DWORD
	s_and_b64 vcc, exec, s[12:13]
	s_cbranch_vccz .LBB79_42
; %bb.41:
	s_mov_b64 s[10:11], 0
	global_store_dword v[10:11], v8, off
.LBB79_42:
	s_andn2_b64 vcc, exec, s[10:11]
	s_cbranch_vccnz .LBB79_44
; %bb.43:
	global_store_short v[10:11], v19, off
.LBB79_44:
	s_mov_b64 s[10:11], 0
.LBB79_45:
	s_andn2_b64 vcc, exec, s[10:11]
	s_cbranch_vccnz .LBB79_50
; %bb.46:
	s_andn2_b64 vcc, exec, s[52:53]
	v_mov_b32_e32 v22, 0x80
	s_cbranch_vccnz .LBB79_49
; %bb.47:
	s_or_b64 s[10:11], s[2:3], s[54:55]
	s_andn2_b64 vcc, exec, s[10:11]
	v_mov_b32_e32 v22, 0
	s_cbranch_vccnz .LBB79_49
; %bb.48:
	v_mov_b32_e32 v22, s88
	v_cndmask_b32_e64 v22, v18, v22, s[2:3]
	v_or_b32_e32 v22, v22, v15
.LBB79_49:
	global_store_byte v[10:11], v22, off
.LBB79_50:
	s_mov_b64 s[10:11], -1
.LBB79_51:
	s_branch .LBB79_73
.LBB79_52:
	v_mov_b32_e32 v22, 22
	v_cmp_gt_i16_sdwa s[14:15], s19, v22 src0_sel:BYTE_0 src1_sel:DWORD
	s_mov_b64 s[12:13], -1
	s_and_b64 vcc, exec, s[14:15]
	s_cbranch_vccz .LBB79_65
; %bb.53:
	v_mov_b32_e32 v22, 24
	v_cmp_lt_i16_sdwa s[12:13], s19, v22 src0_sel:BYTE_0 src1_sel:DWORD
	s_mov_b64 s[10:11], -1
	s_and_b64 vcc, exec, s[12:13]
	s_cbranch_vccnz .LBB79_62
; %bb.54:
	v_cmp_gt_i16_sdwa s[12:13], s19, v22 src0_sel:BYTE_0 src1_sel:DWORD
	s_and_b64 vcc, exec, s[12:13]
	s_cbranch_vccz .LBB79_59
; %bb.55:
	s_andn2_b64 vcc, exec, s[48:49]
	v_mov_b32_e32 v22, 0x80
	s_cbranch_vccnz .LBB79_58
; %bb.56:
	s_or_b64 s[10:11], s[0:1], s[50:51]
	s_andn2_b64 vcc, exec, s[10:11]
	v_mov_b32_e32 v22, 0
	s_cbranch_vccnz .LBB79_58
; %bb.57:
	v_mov_b32_e32 v22, s86
	v_cndmask_b32_e64 v22, v17, v22, s[0:1]
	v_or_b32_e32 v22, v22, v15
.LBB79_58:
	s_mov_b64 s[10:11], 0
	global_store_byte v[10:11], v22, off
.LBB79_59:
	s_and_b64 vcc, exec, s[10:11]
	s_cbranch_vccz .LBB79_61
; %bb.60:
	s_and_b64 s[10:11], s[46:47], exec
	s_cselect_b32 s12, s85, s84
	s_and_b64 s[10:11], s[44:45], exec
	s_cselect_b32 s10, s87, s12
	v_or_b32_e32 v22, s10, v15
	global_store_byte v[10:11], v22, off
.LBB79_61:
	s_mov_b64 s[10:11], 0
.LBB79_62:
	s_andn2_b64 vcc, exec, s[10:11]
	s_cbranch_vccnz .LBB79_64
; %bb.63:
	s_and_b64 s[10:11], s[42:43], exec
	s_cselect_b32 s12, s82, s81
	s_and_b64 s[10:11], s[40:41], exec
	s_cselect_b32 s10, s83, s12
	v_or_b32_e32 v22, s10, v15
	global_store_byte v[10:11], v22, off
.LBB79_64:
	s_mov_b64 s[12:13], 0
	s_mov_b64 s[10:11], -1
.LBB79_65:
	s_andn2_b64 vcc, exec, s[12:13]
	s_cbranch_vccnz .LBB79_73
; %bb.66:
	v_mov_b32_e32 v22, 14
	v_cmp_gt_i16_sdwa s[14:15], s19, v22 src0_sel:BYTE_0 src1_sel:DWORD
	s_mov_b64 s[12:13], -1
	s_and_b64 vcc, exec, s[14:15]
	s_cbranch_vccz .LBB79_70
; %bb.67:
	v_mov_b32_e32 v22, 15
	v_cmp_eq_u16_sdwa s[12:13], s19, v22 src0_sel:BYTE_0 src1_sel:DWORD
	s_mov_b64 s[8:9], -1
	s_and_b64 vcc, exec, s[12:13]
	s_cbranch_vccz .LBB79_69
; %bb.68:
	global_store_short v[10:11], v16, off
	s_mov_b64 s[10:11], -1
	s_mov_b64 s[8:9], 0
.LBB79_69:
	s_mov_b64 s[12:13], 0
.LBB79_70:
	s_and_b64 vcc, exec, s[12:13]
	s_cbranch_vccz .LBB79_73
; %bb.71:
	v_mov_b32_e32 v22, 11
	v_cmp_eq_u16_sdwa s[12:13], s19, v22 src0_sel:BYTE_0 src1_sel:DWORD
	s_mov_b64 s[8:9], -1
	s_and_b64 vcc, exec, s[12:13]
	s_cbranch_vccz .LBB79_73
; %bb.72:
	s_mov_b64 s[10:11], -1
	s_mov_b64 s[8:9], 0
	global_store_byte v[10:11], v14, off
.LBB79_73:
	s_branch .LBB79_24
.LBB79_74:
	v_mov_b32_e32 v22, 5
	v_cmp_lt_i16_sdwa s[12:13], s19, v22 src0_sel:BYTE_0 src1_sel:DWORD
	s_mov_b64 s[10:11], -1
	s_and_b64 vcc, exec, s[12:13]
	s_cbranch_vccnz .LBB79_95
; %bb.75:
	v_mov_b32_e32 v22, 8
	v_cmp_lt_i16_sdwa s[12:13], s19, v22 src0_sel:BYTE_0 src1_sel:DWORD
	s_and_b64 vcc, exec, s[12:13]
	s_cbranch_vccnz .LBB79_85
; %bb.76:
	v_mov_b32_e32 v22, 9
	v_cmp_lt_i16_sdwa s[12:13], s19, v22 src0_sel:BYTE_0 src1_sel:DWORD
	s_and_b64 vcc, exec, s[12:13]
	s_cbranch_vccnz .LBB79_82
; %bb.77:
	v_cmp_gt_i16_sdwa s[12:13], s19, v22 src0_sel:BYTE_0 src1_sel:DWORD
	s_and_b64 vcc, exec, s[12:13]
	s_cbranch_vccz .LBB79_79
; %bb.78:
	global_store_dwordx4 v[10:11], v[0:3], off
	s_mov_b64 s[10:11], 0
.LBB79_79:
	s_andn2_b64 vcc, exec, s[10:11]
	s_cbranch_vccnz .LBB79_81
; %bb.80:
	global_store_dwordx2 v[10:11], v[6:7], off
.LBB79_81:
	s_mov_b64 s[10:11], 0
.LBB79_82:
	s_andn2_b64 vcc, exec, s[10:11]
	s_cbranch_vccnz .LBB79_84
; %bb.83:
	v_mov_b32_e32 v22, s18
	global_store_dword v[10:11], v22, off
.LBB79_84:
	s_mov_b64 s[10:11], 0
.LBB79_85:
	s_andn2_b64 vcc, exec, s[10:11]
	s_cbranch_vccnz .LBB79_94
; %bb.86:
	v_mov_b32_e32 v22, 6
	v_cmp_lt_i16_sdwa s[12:13], s19, v22 src0_sel:BYTE_0 src1_sel:DWORD
	s_mov_b64 s[10:11], -1
	s_and_b64 vcc, exec, s[12:13]
	s_cbranch_vccnz .LBB79_92
; %bb.87:
	v_cmp_gt_i16_sdwa s[12:13], s19, v22 src0_sel:BYTE_0 src1_sel:DWORD
	s_and_b64 vcc, exec, s[12:13]
	s_cbranch_vccz .LBB79_89
; %bb.88:
	global_store_dwordx2 v[10:11], v[0:1], off
	s_mov_b64 s[10:11], 0
.LBB79_89:
	s_andn2_b64 vcc, exec, s[10:11]
	s_cbranch_vccnz .LBB79_91
; %bb.90:
	global_store_dword v[10:11], v6, off
.LBB79_91:
	s_mov_b64 s[10:11], 0
.LBB79_92:
	s_andn2_b64 vcc, exec, s[10:11]
	s_cbranch_vccnz .LBB79_94
; %bb.93:
	v_mov_b32_e32 v22, s18
	global_store_short v[10:11], v22, off
.LBB79_94:
	s_mov_b64 s[10:11], 0
.LBB79_95:
	s_andn2_b64 vcc, exec, s[10:11]
	s_cbranch_vccnz .LBB79_111
; %bb.96:
	v_mov_b32_e32 v22, 2
	v_cmp_lt_i16_sdwa s[12:13], s19, v22 src0_sel:BYTE_0 src1_sel:DWORD
	s_mov_b64 s[10:11], -1
	s_and_b64 vcc, exec, s[12:13]
	s_cbranch_vccnz .LBB79_106
; %bb.97:
	v_mov_b32_e32 v22, 3
	v_cmp_lt_i16_sdwa s[12:13], s19, v22 src0_sel:BYTE_0 src1_sel:DWORD
	s_and_b64 vcc, exec, s[12:13]
	s_cbranch_vccnz .LBB79_103
; %bb.98:
	v_cmp_gt_i16_sdwa s[12:13], s19, v22 src0_sel:BYTE_0 src1_sel:DWORD
	s_and_b64 vcc, exec, s[12:13]
	s_cbranch_vccz .LBB79_100
; %bb.99:
	global_store_dwordx2 v[10:11], v[4:5], off
	s_mov_b64 s[10:11], 0
.LBB79_100:
	s_andn2_b64 vcc, exec, s[10:11]
	s_cbranch_vccnz .LBB79_102
; %bb.101:
	global_store_dword v[10:11], v4, off
.LBB79_102:
	s_mov_b64 s[10:11], 0
.LBB79_103:
	s_andn2_b64 vcc, exec, s[10:11]
	s_cbranch_vccnz .LBB79_105
; %bb.104:
	global_store_short v[10:11], v12, off
.LBB79_105:
	s_mov_b64 s[10:11], 0
.LBB79_106:
	s_andn2_b64 vcc, exec, s[10:11]
	s_cbranch_vccnz .LBB79_111
; %bb.107:
	v_mov_b32_e32 v22, 0
	v_cmp_gt_i16_sdwa s[12:13], s19, v22 src0_sel:BYTE_0 src1_sel:DWORD
	s_mov_b64 s[10:11], -1
	s_and_b64 vcc, exec, s[12:13]
	s_cbranch_vccz .LBB79_109
; %bb.108:
	global_store_byte v[10:11], v12, off
	s_mov_b64 s[10:11], 0
.LBB79_109:
	s_andn2_b64 vcc, exec, s[10:11]
	s_cbranch_vccnz .LBB79_111
; %bb.110:
	global_store_byte v[10:11], v4, off
.LBB79_111:
	s_branch .LBB79_25
.LBB79_112:
	s_mov_b64 s[10:11], 0
                                        ; implicit-def: $vgpr13
.LBB79_113:
	s_and_b64 s[66:67], s[8:9], exec
	s_orn2_b64 s[10:11], s[10:11], exec
.LBB79_114:
	s_or_b64 exec, exec, s[68:69]
	s_mov_b64 s[8:9], 0
                                        ; implicit-def: $vgpr22
                                        ; implicit-def: $vgpr10_vgpr11
	s_and_saveexec_b64 s[68:69], s[10:11]
	s_cbranch_execz .LBB79_121
; %bb.115:
	v_cmp_gt_i32_e32 vcc, s89, v13
	s_mov_b64 s[8:9], -1
	s_mov_b64 s[70:71], s[66:67]
	s_and_saveexec_b64 s[72:73], vcc
	s_cbranch_execz .LBB79_232
; %bb.116:
	s_andn2_b64 vcc, exec, s[36:37]
	s_cbranch_vccnz .LBB79_124
; %bb.117:
	s_andn2_b64 vcc, exec, s[64:65]
	s_cbranch_vccnz .LBB79_125
; %bb.118:
	s_add_i32 s77, s90, 1
	s_mov_b32 s76, 0
	s_cmp_eq_u32 s80, 2
	v_mov_b32_e32 v10, 0
	s_cbranch_scc1 .LBB79_126
; %bb.119:
	s_and_b32 s76, s77, 28
	s_mov_b32 s78, 0
	v_mov_b32_e32 v10, 0
	s_mov_b64 s[70:71], s[4:5]
	s_mov_b64 s[74:75], s[62:63]
	v_mov_b32_e32 v22, v13
.LBB79_120:                             ; =>This Inner Loop Header: Depth=1
	s_load_dwordx8 s[8:15], s[70:71], 0x4
	s_load_dwordx4 s[24:27], s[70:71], 0x24
	s_load_dwordx4 s[28:31], s[74:75], 0x0
	s_add_u32 s70, s70, 48
	s_addc_u32 s71, s71, 0
	s_waitcnt lgkmcnt(0)
	v_mul_hi_u32 v11, s9, v22
	v_add_u32_e32 v11, v22, v11
	v_lshrrev_b32_e32 v11, s10, v11
	v_mul_lo_u32 v23, v11, s8
	v_mul_hi_u32 v24, s12, v11
	v_sub_u32_e32 v22, v22, v23
	v_add_u32_e32 v23, v11, v24
	v_lshrrev_b32_e32 v23, s13, v23
	v_mul_lo_u32 v24, v23, s11
	v_mul_hi_u32 v25, s15, v23
	v_sub_u32_e32 v11, v11, v24
	v_add_u32_e32 v24, v23, v25
	v_mul_lo_u32 v22, v22, s28
	v_mul_lo_u32 v11, v11, s29
	v_lshrrev_b32_e32 v24, s24, v24
	v_add3_u32 v10, v22, v10, v11
	v_mul_hi_u32 v22, s26, v24
	v_add_u32_e32 v22, v24, v22
	v_mul_lo_u32 v11, v24, s14
	v_lshrrev_b32_e32 v22, s27, v22
	s_add_i32 s78, s78, 4
	v_sub_u32_e32 v11, v23, v11
	v_mul_lo_u32 v23, v22, s25
	s_add_u32 s74, s74, 16
	v_sub_u32_e32 v23, v24, v23
	s_addc_u32 s75, s75, 0
	v_mul_lo_u32 v11, v11, s30
	v_mul_lo_u32 v23, v23, s31
	s_cmp_eq_u32 s76, s78
	v_add3_u32 v10, v11, v10, v23
	s_cbranch_scc0 .LBB79_120
	s_branch .LBB79_127
.LBB79_121:
	s_or_b64 exec, exec, s[68:69]
	s_mov_b64 s[0:1], 0
	s_and_saveexec_b64 s[2:3], s[66:67]
	s_cbranch_execnz .LBB79_422
.LBB79_122:
	s_or_b64 exec, exec, s[2:3]
	s_and_saveexec_b64 s[2:3], s[72:73]
	s_xor_b64 s[2:3], exec, s[2:3]
	s_cbranch_execz .LBB79_423
.LBB79_123:
	global_store_byte v[10:11], v14, off
	s_or_b64 exec, exec, s[2:3]
	s_and_saveexec_b64 s[2:3], s[8:9]
	s_xor_b64 s[2:3], exec, s[2:3]
	s_cbranch_execz .LBB79_461
	s_branch .LBB79_424
.LBB79_124:
                                        ; implicit-def: $vgpr10
	s_andn2_b64 vcc, exec, s[8:9]
	s_cbranch_vccz .LBB79_131
	s_branch .LBB79_133
.LBB79_125:
	v_mov_b32_e32 v10, 0
	s_branch .LBB79_130
.LBB79_126:
	v_mov_b32_e32 v22, v13
.LBB79_127:
	s_and_b32 s12, s77, 3
	s_cmp_eq_u32 s12, 0
	s_cbranch_scc1 .LBB79_130
; %bb.128:
	s_lshl_b32 s8, s76, 2
	s_add_u32 s8, s8, s4
	s_addc_u32 s9, s5, 0
	s_add_u32 s8, s8, 0xc4
	s_addc_u32 s9, s9, 0
	s_mul_i32 s10, s76, 12
	s_add_u32 s10, s4, s10
	s_addc_u32 s11, s5, 0
.LBB79_129:                             ; =>This Inner Loop Header: Depth=1
	s_load_dwordx2 s[14:15], s[10:11], 0x4
	s_load_dword s13, s[10:11], 0xc
	s_load_dword s24, s[8:9], 0x0
	s_add_u32 s10, s10, 12
	s_addc_u32 s11, s11, 0
	s_waitcnt lgkmcnt(0)
	v_mul_hi_u32 v11, s15, v22
	v_add_u32_e32 v11, v22, v11
	v_lshrrev_b32_e32 v11, s13, v11
	s_add_u32 s8, s8, 4
	v_mul_lo_u32 v23, v11, s14
	s_addc_u32 s9, s9, 0
	s_add_i32 s12, s12, -1
	v_sub_u32_e32 v23, v22, v23
	s_cmp_lg_u32 s12, 0
	v_mov_b32_e32 v22, v11
	v_mad_u64_u32 v[10:11], s[14:15], v23, s24, v[10:11]
	s_cbranch_scc1 .LBB79_129
.LBB79_130:
	s_cbranch_execnz .LBB79_133
.LBB79_131:
	v_mul_hi_u32 v10, s21, v13
	v_add_u32_e32 v10, v13, v10
	v_lshrrev_b32_e32 v11, s22, v10
	v_mul_lo_u32 v10, v11, s20
	v_sub_u32_e32 v10, v13, v10
	s_andn2_b64 vcc, exec, s[60:61]
	v_mul_lo_u32 v10, v10, s56
	s_cbranch_vccnz .LBB79_133
; %bb.132:
	v_mul_hi_u32 v22, s58, v11
	v_add_u32_e32 v22, v11, v22
	v_lshrrev_b32_e32 v22, s59, v22
	v_mul_lo_u32 v22, v22, s23
	v_sub_u32_e32 v11, v11, v22
	v_mad_u64_u32 v[10:11], s[8:9], v11, s57, v[10:11]
.LBB79_133:
	v_mov_b32_e32 v11, s17
	v_add_co_u32_e32 v10, vcc, s16, v10
	v_mov_b32_e32 v22, 11
	v_addc_co_u32_e32 v11, vcc, 0, v11, vcc
	v_cmp_lt_i16_sdwa s[8:9], s19, v22 src0_sel:BYTE_0 src1_sel:DWORD
	s_and_b64 vcc, exec, s[8:9]
	s_cbranch_vccnz .LBB79_140
; %bb.134:
	v_mov_b32_e32 v22, 25
	v_cmp_gt_i16_sdwa s[8:9], s19, v22 src0_sel:BYTE_0 src1_sel:DWORD
	s_and_b64 vcc, exec, s[8:9]
	s_cbranch_vccz .LBB79_143
; %bb.135:
	v_mov_b32_e32 v22, 28
	v_cmp_gt_i16_sdwa s[8:9], s19, v22 src0_sel:BYTE_0 src1_sel:DWORD
	s_and_b64 vcc, exec, s[8:9]
	s_cbranch_vccz .LBB79_144
	;; [unrolled: 5-line block ×4, first 2 shown]
; %bb.138:
	v_mov_b32_e32 v22, 46
	v_cmp_eq_u16_sdwa s[10:11], s19, v22 src0_sel:BYTE_0 src1_sel:DWORD
	s_mov_b64 s[12:13], 0
	s_mov_b64 s[8:9], -1
	s_and_b64 vcc, exec, s[10:11]
	s_mov_b64 s[10:11], 0
	s_cbranch_vccz .LBB79_147
; %bb.139:
	global_store_dword v[10:11], v21, off
	s_mov_b64 s[10:11], -1
	s_mov_b64 s[8:9], 0
	s_branch .LBB79_147
.LBB79_140:
	s_mov_b64 s[10:11], 0
	s_mov_b64 s[8:9], s[66:67]
	s_cbranch_execnz .LBB79_192
.LBB79_141:
	s_andn2_b64 vcc, exec, s[10:11]
	s_cbranch_vccnz .LBB79_230
.LBB79_142:
	v_add_u32_e32 v13, 0x80, v13
	s_mov_b64 s[10:11], -1
	s_branch .LBB79_231
.LBB79_143:
	s_mov_b64 s[12:13], -1
	s_mov_b64 s[10:11], 0
	s_mov_b64 s[8:9], s[66:67]
	s_branch .LBB79_169
.LBB79_144:
	s_mov_b64 s[12:13], -1
	s_mov_b64 s[10:11], 0
	s_mov_b64 s[8:9], s[66:67]
	s_branch .LBB79_155
.LBB79_145:
	s_mov_b64 s[12:13], -1
	s_mov_b64 s[10:11], 0
	s_mov_b64 s[8:9], s[66:67]
	s_branch .LBB79_151
.LBB79_146:
	s_mov_b64 s[12:13], -1
	s_mov_b64 s[10:11], 0
	s_mov_b64 s[8:9], s[66:67]
.LBB79_147:
	s_and_b64 vcc, exec, s[12:13]
	s_cbranch_vccz .LBB79_150
; %bb.148:
	v_mov_b32_e32 v22, 44
	v_cmp_eq_u16_sdwa s[12:13], s19, v22 src0_sel:BYTE_0 src1_sel:DWORD
	s_mov_b64 s[8:9], -1
	s_and_b64 vcc, exec, s[12:13]
	s_cbranch_vccz .LBB79_150
; %bb.149:
	v_mov_b32_e32 v22, 0xff
	v_cndmask_b32_e64 v22, v20, v22, s[6:7]
	s_mov_b64 s[10:11], -1
	s_mov_b64 s[8:9], 0
	global_store_byte v[10:11], v22, off
.LBB79_150:
	s_mov_b64 s[12:13], 0
.LBB79_151:
	s_and_b64 vcc, exec, s[12:13]
	s_cbranch_vccz .LBB79_154
; %bb.152:
	v_mov_b32_e32 v22, 29
	v_cmp_eq_u16_sdwa s[12:13], s19, v22 src0_sel:BYTE_0 src1_sel:DWORD
	s_mov_b64 s[8:9], -1
	s_and_b64 vcc, exec, s[12:13]
	s_cbranch_vccz .LBB79_154
; %bb.153:
	global_store_dwordx2 v[10:11], v[8:9], off
	s_mov_b64 s[10:11], -1
	s_mov_b64 s[8:9], 0
.LBB79_154:
	s_mov_b64 s[12:13], 0
.LBB79_155:
	s_and_b64 vcc, exec, s[12:13]
	s_cbranch_vccz .LBB79_168
; %bb.156:
	v_mov_b32_e32 v22, 27
	v_cmp_lt_i16_sdwa s[12:13], s19, v22 src0_sel:BYTE_0 src1_sel:DWORD
	s_mov_b64 s[10:11], -1
	s_and_b64 vcc, exec, s[12:13]
	s_cbranch_vccnz .LBB79_162
; %bb.157:
	v_cmp_gt_i16_sdwa s[12:13], s19, v22 src0_sel:BYTE_0 src1_sel:DWORD
	s_and_b64 vcc, exec, s[12:13]
	s_cbranch_vccz .LBB79_159
; %bb.158:
	s_mov_b64 s[10:11], 0
	global_store_dword v[10:11], v8, off
.LBB79_159:
	s_andn2_b64 vcc, exec, s[10:11]
	s_cbranch_vccnz .LBB79_161
; %bb.160:
	global_store_short v[10:11], v19, off
.LBB79_161:
	s_mov_b64 s[10:11], 0
.LBB79_162:
	s_andn2_b64 vcc, exec, s[10:11]
	s_cbranch_vccnz .LBB79_167
; %bb.163:
	s_andn2_b64 vcc, exec, s[52:53]
	v_mov_b32_e32 v22, 0x80
	s_cbranch_vccnz .LBB79_166
; %bb.164:
	s_or_b64 s[10:11], s[2:3], s[54:55]
	s_andn2_b64 vcc, exec, s[10:11]
	v_mov_b32_e32 v22, 0
	s_cbranch_vccnz .LBB79_166
; %bb.165:
	v_mov_b32_e32 v22, s88
	v_cndmask_b32_e64 v22, v18, v22, s[2:3]
	v_or_b32_e32 v22, v22, v15
.LBB79_166:
	global_store_byte v[10:11], v22, off
.LBB79_167:
	s_mov_b64 s[10:11], -1
.LBB79_168:
	s_mov_b64 s[12:13], 0
.LBB79_169:
	s_and_b64 vcc, exec, s[12:13]
	s_cbranch_vccz .LBB79_191
; %bb.170:
	v_mov_b32_e32 v22, 22
	v_cmp_gt_i16_sdwa s[14:15], s19, v22 src0_sel:BYTE_0 src1_sel:DWORD
	s_mov_b64 s[12:13], -1
	s_and_b64 vcc, exec, s[14:15]
	s_cbranch_vccz .LBB79_183
; %bb.171:
	v_mov_b32_e32 v22, 24
	v_cmp_lt_i16_sdwa s[12:13], s19, v22 src0_sel:BYTE_0 src1_sel:DWORD
	s_mov_b64 s[10:11], -1
	s_and_b64 vcc, exec, s[12:13]
	s_cbranch_vccnz .LBB79_180
; %bb.172:
	v_cmp_gt_i16_sdwa s[12:13], s19, v22 src0_sel:BYTE_0 src1_sel:DWORD
	s_and_b64 vcc, exec, s[12:13]
	s_cbranch_vccz .LBB79_177
; %bb.173:
	s_andn2_b64 vcc, exec, s[48:49]
	v_mov_b32_e32 v22, 0x80
	s_cbranch_vccnz .LBB79_176
; %bb.174:
	s_or_b64 s[10:11], s[0:1], s[50:51]
	s_andn2_b64 vcc, exec, s[10:11]
	v_mov_b32_e32 v22, 0
	s_cbranch_vccnz .LBB79_176
; %bb.175:
	v_mov_b32_e32 v22, s86
	v_cndmask_b32_e64 v22, v17, v22, s[0:1]
	v_or_b32_e32 v22, v22, v15
.LBB79_176:
	s_mov_b64 s[10:11], 0
	global_store_byte v[10:11], v22, off
.LBB79_177:
	s_and_b64 vcc, exec, s[10:11]
	s_cbranch_vccz .LBB79_179
; %bb.178:
	s_and_b64 s[10:11], s[46:47], exec
	s_cselect_b32 s12, s85, s84
	s_and_b64 s[10:11], s[44:45], exec
	s_cselect_b32 s10, s87, s12
	v_or_b32_e32 v22, s10, v15
	global_store_byte v[10:11], v22, off
.LBB79_179:
	s_mov_b64 s[10:11], 0
.LBB79_180:
	s_andn2_b64 vcc, exec, s[10:11]
	s_cbranch_vccnz .LBB79_182
; %bb.181:
	s_and_b64 s[10:11], s[42:43], exec
	s_cselect_b32 s12, s82, s81
	s_and_b64 s[10:11], s[40:41], exec
	s_cselect_b32 s10, s83, s12
	v_or_b32_e32 v22, s10, v15
	global_store_byte v[10:11], v22, off
.LBB79_182:
	s_mov_b64 s[12:13], 0
	s_mov_b64 s[10:11], -1
.LBB79_183:
	s_andn2_b64 vcc, exec, s[12:13]
	s_cbranch_vccnz .LBB79_191
; %bb.184:
	v_mov_b32_e32 v22, 14
	v_cmp_gt_i16_sdwa s[14:15], s19, v22 src0_sel:BYTE_0 src1_sel:DWORD
	s_mov_b64 s[12:13], -1
	s_and_b64 vcc, exec, s[14:15]
	s_cbranch_vccz .LBB79_188
; %bb.185:
	v_mov_b32_e32 v22, 15
	v_cmp_eq_u16_sdwa s[12:13], s19, v22 src0_sel:BYTE_0 src1_sel:DWORD
	s_mov_b64 s[8:9], -1
	s_and_b64 vcc, exec, s[12:13]
	s_cbranch_vccz .LBB79_187
; %bb.186:
	global_store_short v[10:11], v16, off
	s_mov_b64 s[10:11], -1
	s_mov_b64 s[8:9], 0
.LBB79_187:
	s_mov_b64 s[12:13], 0
.LBB79_188:
	s_and_b64 vcc, exec, s[12:13]
	s_cbranch_vccz .LBB79_191
; %bb.189:
	v_mov_b32_e32 v22, 11
	v_cmp_eq_u16_sdwa s[12:13], s19, v22 src0_sel:BYTE_0 src1_sel:DWORD
	s_mov_b64 s[8:9], -1
	s_and_b64 vcc, exec, s[12:13]
	s_cbranch_vccz .LBB79_191
; %bb.190:
	s_mov_b64 s[10:11], -1
	s_mov_b64 s[8:9], 0
	global_store_byte v[10:11], v14, off
.LBB79_191:
	s_branch .LBB79_141
.LBB79_192:
	v_mov_b32_e32 v22, 5
	v_cmp_lt_i16_sdwa s[12:13], s19, v22 src0_sel:BYTE_0 src1_sel:DWORD
	s_mov_b64 s[10:11], -1
	s_and_b64 vcc, exec, s[12:13]
	s_cbranch_vccnz .LBB79_213
; %bb.193:
	v_mov_b32_e32 v22, 8
	v_cmp_lt_i16_sdwa s[12:13], s19, v22 src0_sel:BYTE_0 src1_sel:DWORD
	s_and_b64 vcc, exec, s[12:13]
	s_cbranch_vccnz .LBB79_203
; %bb.194:
	v_mov_b32_e32 v22, 9
	v_cmp_lt_i16_sdwa s[12:13], s19, v22 src0_sel:BYTE_0 src1_sel:DWORD
	s_and_b64 vcc, exec, s[12:13]
	s_cbranch_vccnz .LBB79_200
; %bb.195:
	v_cmp_gt_i16_sdwa s[12:13], s19, v22 src0_sel:BYTE_0 src1_sel:DWORD
	s_and_b64 vcc, exec, s[12:13]
	s_cbranch_vccz .LBB79_197
; %bb.196:
	s_mov_b64 s[10:11], 0
	global_store_dwordx4 v[10:11], v[0:3], off
.LBB79_197:
	s_andn2_b64 vcc, exec, s[10:11]
	s_cbranch_vccnz .LBB79_199
; %bb.198:
	global_store_dwordx2 v[10:11], v[6:7], off
.LBB79_199:
	s_mov_b64 s[10:11], 0
.LBB79_200:
	s_andn2_b64 vcc, exec, s[10:11]
	s_cbranch_vccnz .LBB79_202
; %bb.201:
	v_mov_b32_e32 v22, s18
	global_store_dword v[10:11], v22, off
.LBB79_202:
	s_mov_b64 s[10:11], 0
.LBB79_203:
	s_andn2_b64 vcc, exec, s[10:11]
	s_cbranch_vccnz .LBB79_212
; %bb.204:
	v_mov_b32_e32 v22, 6
	v_cmp_lt_i16_sdwa s[12:13], s19, v22 src0_sel:BYTE_0 src1_sel:DWORD
	s_mov_b64 s[10:11], -1
	s_and_b64 vcc, exec, s[12:13]
	s_cbranch_vccnz .LBB79_210
; %bb.205:
	v_cmp_gt_i16_sdwa s[12:13], s19, v22 src0_sel:BYTE_0 src1_sel:DWORD
	s_and_b64 vcc, exec, s[12:13]
	s_cbranch_vccz .LBB79_207
; %bb.206:
	s_mov_b64 s[10:11], 0
	global_store_dwordx2 v[10:11], v[0:1], off
.LBB79_207:
	s_andn2_b64 vcc, exec, s[10:11]
	s_cbranch_vccnz .LBB79_209
; %bb.208:
	global_store_dword v[10:11], v6, off
.LBB79_209:
	s_mov_b64 s[10:11], 0
.LBB79_210:
	s_andn2_b64 vcc, exec, s[10:11]
	s_cbranch_vccnz .LBB79_212
; %bb.211:
	v_mov_b32_e32 v22, s18
	global_store_short v[10:11], v22, off
.LBB79_212:
	s_mov_b64 s[10:11], 0
.LBB79_213:
	s_andn2_b64 vcc, exec, s[10:11]
	s_cbranch_vccnz .LBB79_229
; %bb.214:
	v_mov_b32_e32 v22, 2
	v_cmp_lt_i16_sdwa s[12:13], s19, v22 src0_sel:BYTE_0 src1_sel:DWORD
	s_mov_b64 s[10:11], -1
	s_and_b64 vcc, exec, s[12:13]
	s_cbranch_vccnz .LBB79_224
; %bb.215:
	v_mov_b32_e32 v22, 3
	v_cmp_lt_i16_sdwa s[12:13], s19, v22 src0_sel:BYTE_0 src1_sel:DWORD
	s_and_b64 vcc, exec, s[12:13]
	s_cbranch_vccnz .LBB79_221
; %bb.216:
	v_cmp_gt_i16_sdwa s[12:13], s19, v22 src0_sel:BYTE_0 src1_sel:DWORD
	s_and_b64 vcc, exec, s[12:13]
	s_cbranch_vccz .LBB79_218
; %bb.217:
	s_mov_b64 s[10:11], 0
	global_store_dwordx2 v[10:11], v[4:5], off
.LBB79_218:
	s_andn2_b64 vcc, exec, s[10:11]
	s_cbranch_vccnz .LBB79_220
; %bb.219:
	global_store_dword v[10:11], v4, off
.LBB79_220:
	s_mov_b64 s[10:11], 0
.LBB79_221:
	s_andn2_b64 vcc, exec, s[10:11]
	s_cbranch_vccnz .LBB79_223
; %bb.222:
	global_store_short v[10:11], v12, off
.LBB79_223:
	s_mov_b64 s[10:11], 0
.LBB79_224:
	s_andn2_b64 vcc, exec, s[10:11]
	s_cbranch_vccnz .LBB79_229
; %bb.225:
	v_mov_b32_e32 v22, 0
	v_cmp_gt_i16_sdwa s[12:13], s19, v22 src0_sel:BYTE_0 src1_sel:DWORD
	s_mov_b64 s[10:11], -1
	s_and_b64 vcc, exec, s[12:13]
	s_cbranch_vccz .LBB79_227
; %bb.226:
	s_mov_b64 s[10:11], 0
	global_store_byte v[10:11], v12, off
.LBB79_227:
	s_andn2_b64 vcc, exec, s[10:11]
	s_cbranch_vccnz .LBB79_229
; %bb.228:
	global_store_byte v[10:11], v4, off
.LBB79_229:
	s_branch .LBB79_142
.LBB79_230:
	s_mov_b64 s[10:11], 0
                                        ; implicit-def: $vgpr13
.LBB79_231:
	s_andn2_b64 s[12:13], s[66:67], exec
	s_and_b64 s[8:9], s[8:9], exec
	s_or_b64 s[70:71], s[12:13], s[8:9]
	s_orn2_b64 s[8:9], s[10:11], exec
.LBB79_232:
	s_or_b64 exec, exec, s[72:73]
	s_mov_b64 s[10:11], 0
	s_mov_b64 s[12:13], 0
                                        ; implicit-def: $vgpr22
                                        ; implicit-def: $vgpr10_vgpr11
	s_and_saveexec_b64 s[72:73], s[8:9]
	s_cbranch_execz .LBB79_421
; %bb.233:
	v_cmp_gt_i32_e32 vcc, s89, v13
	s_mov_b64 s[10:11], -1
	s_mov_b64 s[76:77], s[70:71]
	s_and_saveexec_b64 s[74:75], vcc
	s_cbranch_execz .LBB79_349
; %bb.234:
	s_andn2_b64 vcc, exec, s[36:37]
	s_cbranch_vccnz .LBB79_239
; %bb.235:
	s_andn2_b64 vcc, exec, s[64:65]
	s_cbranch_vccnz .LBB79_240
; %bb.236:
	s_add_i32 s92, s90, 1
	s_mov_b32 s91, 0
	s_cmp_eq_u32 s80, 2
	v_mov_b32_e32 v10, 0
	s_cbranch_scc1 .LBB79_241
; %bb.237:
	s_and_b32 s91, s92, 28
	s_mov_b32 s93, 0
	v_mov_b32_e32 v10, 0
	s_mov_b64 s[76:77], s[4:5]
	s_mov_b64 s[78:79], s[62:63]
	v_mov_b32_e32 v22, v13
.LBB79_238:                             ; =>This Inner Loop Header: Depth=1
	s_load_dwordx8 s[8:15], s[76:77], 0x4
	s_load_dwordx4 s[24:27], s[76:77], 0x24
	s_load_dwordx4 s[28:31], s[78:79], 0x0
	s_add_u32 s76, s76, 48
	s_addc_u32 s77, s77, 0
	s_waitcnt lgkmcnt(0)
	v_mul_hi_u32 v11, s9, v22
	v_add_u32_e32 v11, v22, v11
	v_lshrrev_b32_e32 v11, s10, v11
	v_mul_lo_u32 v23, v11, s8
	v_mul_hi_u32 v24, s12, v11
	v_sub_u32_e32 v22, v22, v23
	v_add_u32_e32 v23, v11, v24
	v_lshrrev_b32_e32 v23, s13, v23
	v_mul_lo_u32 v24, v23, s11
	v_mul_hi_u32 v25, s15, v23
	v_sub_u32_e32 v11, v11, v24
	v_add_u32_e32 v24, v23, v25
	v_mul_lo_u32 v22, v22, s28
	v_mul_lo_u32 v11, v11, s29
	v_lshrrev_b32_e32 v24, s24, v24
	v_add3_u32 v10, v22, v10, v11
	v_mul_hi_u32 v22, s26, v24
	v_add_u32_e32 v22, v24, v22
	v_mul_lo_u32 v11, v24, s14
	v_lshrrev_b32_e32 v22, s27, v22
	s_add_i32 s93, s93, 4
	v_sub_u32_e32 v11, v23, v11
	v_mul_lo_u32 v23, v22, s25
	s_add_u32 s78, s78, 16
	v_sub_u32_e32 v23, v24, v23
	s_addc_u32 s79, s79, 0
	v_mul_lo_u32 v11, v11, s30
	v_mul_lo_u32 v23, v23, s31
	s_cmp_eq_u32 s91, s93
	v_add3_u32 v10, v11, v10, v23
	s_cbranch_scc0 .LBB79_238
	s_branch .LBB79_242
.LBB79_239:
	s_mov_b64 s[8:9], -1
                                        ; implicit-def: $vgpr10
	s_branch .LBB79_246
.LBB79_240:
	v_mov_b32_e32 v10, 0
	s_branch .LBB79_245
.LBB79_241:
	v_mov_b32_e32 v22, v13
.LBB79_242:
	s_and_b32 s12, s92, 3
	s_cmp_eq_u32 s12, 0
	s_cbranch_scc1 .LBB79_245
; %bb.243:
	s_lshl_b32 s8, s91, 2
	s_add_u32 s8, s8, s4
	s_addc_u32 s9, s5, 0
	s_add_u32 s8, s8, 0xc4
	s_addc_u32 s9, s9, 0
	s_mul_i32 s10, s91, 12
	s_add_u32 s10, s4, s10
	s_addc_u32 s11, s5, 0
.LBB79_244:                             ; =>This Inner Loop Header: Depth=1
	s_load_dwordx2 s[14:15], s[10:11], 0x4
	s_load_dword s13, s[10:11], 0xc
	s_load_dword s24, s[8:9], 0x0
	s_add_u32 s10, s10, 12
	s_addc_u32 s11, s11, 0
	s_waitcnt lgkmcnt(0)
	v_mul_hi_u32 v11, s15, v22
	v_add_u32_e32 v11, v22, v11
	v_lshrrev_b32_e32 v11, s13, v11
	s_add_u32 s8, s8, 4
	v_mul_lo_u32 v23, v11, s14
	s_addc_u32 s9, s9, 0
	s_add_i32 s12, s12, -1
	v_sub_u32_e32 v23, v22, v23
	s_cmp_lg_u32 s12, 0
	v_mov_b32_e32 v22, v11
	v_mad_u64_u32 v[10:11], s[14:15], v23, s24, v[10:11]
	s_cbranch_scc1 .LBB79_244
.LBB79_245:
	s_mov_b64 s[8:9], 0
.LBB79_246:
	s_andn2_b64 vcc, exec, s[8:9]
	s_cbranch_vccnz .LBB79_249
; %bb.247:
	v_mul_hi_u32 v10, s21, v13
	v_add_u32_e32 v10, v13, v10
	v_lshrrev_b32_e32 v11, s22, v10
	v_mul_lo_u32 v10, v11, s20
	v_sub_u32_e32 v10, v13, v10
	s_andn2_b64 vcc, exec, s[60:61]
	v_mul_lo_u32 v10, v10, s56
	s_cbranch_vccnz .LBB79_249
; %bb.248:
	v_mul_hi_u32 v22, s58, v11
	v_add_u32_e32 v22, v11, v22
	v_lshrrev_b32_e32 v22, s59, v22
	v_mul_lo_u32 v22, v22, s23
	v_sub_u32_e32 v11, v11, v22
	v_mad_u64_u32 v[10:11], s[8:9], v11, s57, v[10:11]
.LBB79_249:
	v_mov_b32_e32 v11, s17
	v_add_co_u32_e32 v10, vcc, s16, v10
	v_mov_b32_e32 v22, 11
	v_addc_co_u32_e32 v11, vcc, 0, v11, vcc
	v_cmp_lt_i16_sdwa s[8:9], s19, v22 src0_sel:BYTE_0 src1_sel:DWORD
	s_and_b64 vcc, exec, s[8:9]
	s_cbranch_vccnz .LBB79_256
; %bb.250:
	v_mov_b32_e32 v22, 25
	v_cmp_gt_i16_sdwa s[8:9], s19, v22 src0_sel:BYTE_0 src1_sel:DWORD
	s_and_b64 vcc, exec, s[8:9]
	s_cbranch_vccz .LBB79_257
; %bb.251:
	v_mov_b32_e32 v22, 28
	v_cmp_gt_i16_sdwa s[8:9], s19, v22 src0_sel:BYTE_0 src1_sel:DWORD
	s_and_b64 vcc, exec, s[8:9]
	s_cbranch_vccz .LBB79_258
	;; [unrolled: 5-line block ×4, first 2 shown]
; %bb.254:
	v_mov_b32_e32 v22, 46
	v_cmp_eq_u16_sdwa s[10:11], s19, v22 src0_sel:BYTE_0 src1_sel:DWORD
	s_mov_b64 s[12:13], 0
	s_mov_b64 s[8:9], -1
	s_and_b64 vcc, exec, s[10:11]
	s_mov_b64 s[10:11], 0
	s_cbranch_vccz .LBB79_261
; %bb.255:
	global_store_dword v[10:11], v21, off
	s_mov_b64 s[10:11], -1
	s_mov_b64 s[8:9], 0
	s_branch .LBB79_261
.LBB79_256:
	s_mov_b64 s[12:13], -1
	s_mov_b64 s[10:11], 0
	s_mov_b64 s[8:9], s[70:71]
	s_branch .LBB79_306
.LBB79_257:
	s_mov_b64 s[12:13], -1
	s_mov_b64 s[10:11], 0
	s_mov_b64 s[8:9], s[70:71]
	s_branch .LBB79_283
.LBB79_258:
	s_mov_b64 s[12:13], -1
	s_mov_b64 s[10:11], 0
	s_mov_b64 s[8:9], s[70:71]
	s_branch .LBB79_269
.LBB79_259:
	s_mov_b64 s[12:13], -1
	s_mov_b64 s[10:11], 0
	s_mov_b64 s[8:9], s[70:71]
	s_branch .LBB79_265
.LBB79_260:
	s_mov_b64 s[12:13], -1
	s_mov_b64 s[10:11], 0
	s_mov_b64 s[8:9], s[70:71]
.LBB79_261:
	s_and_b64 vcc, exec, s[12:13]
	s_cbranch_vccz .LBB79_264
; %bb.262:
	v_mov_b32_e32 v22, 44
	v_cmp_eq_u16_sdwa s[12:13], s19, v22 src0_sel:BYTE_0 src1_sel:DWORD
	s_mov_b64 s[8:9], -1
	s_and_b64 vcc, exec, s[12:13]
	s_cbranch_vccz .LBB79_264
; %bb.263:
	v_mov_b32_e32 v22, 0xff
	v_cndmask_b32_e64 v22, v20, v22, s[6:7]
	s_mov_b64 s[10:11], -1
	s_mov_b64 s[8:9], 0
	global_store_byte v[10:11], v22, off
.LBB79_264:
	s_mov_b64 s[12:13], 0
.LBB79_265:
	s_and_b64 vcc, exec, s[12:13]
	s_cbranch_vccz .LBB79_268
; %bb.266:
	v_mov_b32_e32 v22, 29
	v_cmp_eq_u16_sdwa s[12:13], s19, v22 src0_sel:BYTE_0 src1_sel:DWORD
	s_mov_b64 s[8:9], -1
	s_and_b64 vcc, exec, s[12:13]
	s_cbranch_vccz .LBB79_268
; %bb.267:
	global_store_dwordx2 v[10:11], v[8:9], off
	s_mov_b64 s[10:11], -1
	s_mov_b64 s[8:9], 0
.LBB79_268:
	s_mov_b64 s[12:13], 0
.LBB79_269:
	s_and_b64 vcc, exec, s[12:13]
	s_cbranch_vccz .LBB79_282
; %bb.270:
	v_mov_b32_e32 v22, 27
	v_cmp_lt_i16_sdwa s[12:13], s19, v22 src0_sel:BYTE_0 src1_sel:DWORD
	s_mov_b64 s[10:11], -1
	s_and_b64 vcc, exec, s[12:13]
	s_cbranch_vccnz .LBB79_276
; %bb.271:
	v_cmp_gt_i16_sdwa s[12:13], s19, v22 src0_sel:BYTE_0 src1_sel:DWORD
	s_and_b64 vcc, exec, s[12:13]
	s_cbranch_vccz .LBB79_273
; %bb.272:
	s_mov_b64 s[10:11], 0
	global_store_dword v[10:11], v8, off
.LBB79_273:
	s_andn2_b64 vcc, exec, s[10:11]
	s_cbranch_vccnz .LBB79_275
; %bb.274:
	global_store_short v[10:11], v19, off
.LBB79_275:
	s_mov_b64 s[10:11], 0
.LBB79_276:
	s_andn2_b64 vcc, exec, s[10:11]
	s_cbranch_vccnz .LBB79_281
; %bb.277:
	s_andn2_b64 vcc, exec, s[52:53]
	v_mov_b32_e32 v22, 0x80
	s_cbranch_vccnz .LBB79_280
; %bb.278:
	s_or_b64 s[10:11], s[2:3], s[54:55]
	s_andn2_b64 vcc, exec, s[10:11]
	v_mov_b32_e32 v22, 0
	s_cbranch_vccnz .LBB79_280
; %bb.279:
	v_mov_b32_e32 v22, s88
	v_cndmask_b32_e64 v22, v18, v22, s[2:3]
	v_or_b32_e32 v22, v22, v15
.LBB79_280:
	global_store_byte v[10:11], v22, off
.LBB79_281:
	s_mov_b64 s[10:11], -1
.LBB79_282:
	s_mov_b64 s[12:13], 0
.LBB79_283:
	s_and_b64 vcc, exec, s[12:13]
	s_cbranch_vccz .LBB79_305
; %bb.284:
	v_mov_b32_e32 v22, 22
	v_cmp_gt_i16_sdwa s[14:15], s19, v22 src0_sel:BYTE_0 src1_sel:DWORD
	s_mov_b64 s[12:13], -1
	s_and_b64 vcc, exec, s[14:15]
	s_cbranch_vccz .LBB79_297
; %bb.285:
	v_mov_b32_e32 v22, 24
	v_cmp_lt_i16_sdwa s[12:13], s19, v22 src0_sel:BYTE_0 src1_sel:DWORD
	s_mov_b64 s[10:11], -1
	s_and_b64 vcc, exec, s[12:13]
	s_cbranch_vccnz .LBB79_294
; %bb.286:
	v_cmp_gt_i16_sdwa s[12:13], s19, v22 src0_sel:BYTE_0 src1_sel:DWORD
	s_and_b64 vcc, exec, s[12:13]
	s_cbranch_vccz .LBB79_291
; %bb.287:
	s_andn2_b64 vcc, exec, s[48:49]
	v_mov_b32_e32 v22, 0x80
	s_cbranch_vccnz .LBB79_290
; %bb.288:
	s_or_b64 s[10:11], s[0:1], s[50:51]
	s_andn2_b64 vcc, exec, s[10:11]
	v_mov_b32_e32 v22, 0
	s_cbranch_vccnz .LBB79_290
; %bb.289:
	v_mov_b32_e32 v22, s86
	v_cndmask_b32_e64 v22, v17, v22, s[0:1]
	v_or_b32_e32 v22, v22, v15
.LBB79_290:
	s_mov_b64 s[10:11], 0
	global_store_byte v[10:11], v22, off
.LBB79_291:
	s_and_b64 vcc, exec, s[10:11]
	s_cbranch_vccz .LBB79_293
; %bb.292:
	s_and_b64 s[10:11], s[46:47], exec
	s_cselect_b32 s12, s85, s84
	s_and_b64 s[10:11], s[44:45], exec
	s_cselect_b32 s10, s87, s12
	v_or_b32_e32 v22, s10, v15
	global_store_byte v[10:11], v22, off
.LBB79_293:
	s_mov_b64 s[10:11], 0
.LBB79_294:
	s_andn2_b64 vcc, exec, s[10:11]
	s_cbranch_vccnz .LBB79_296
; %bb.295:
	s_and_b64 s[10:11], s[42:43], exec
	s_cselect_b32 s12, s82, s81
	s_and_b64 s[10:11], s[40:41], exec
	s_cselect_b32 s10, s83, s12
	v_or_b32_e32 v22, s10, v15
	global_store_byte v[10:11], v22, off
.LBB79_296:
	s_mov_b64 s[12:13], 0
	s_mov_b64 s[10:11], -1
.LBB79_297:
	s_andn2_b64 vcc, exec, s[12:13]
	s_cbranch_vccnz .LBB79_305
; %bb.298:
	v_mov_b32_e32 v22, 14
	v_cmp_gt_i16_sdwa s[14:15], s19, v22 src0_sel:BYTE_0 src1_sel:DWORD
	s_mov_b64 s[12:13], -1
	s_and_b64 vcc, exec, s[14:15]
	s_cbranch_vccz .LBB79_302
; %bb.299:
	v_mov_b32_e32 v22, 15
	v_cmp_eq_u16_sdwa s[12:13], s19, v22 src0_sel:BYTE_0 src1_sel:DWORD
	s_mov_b64 s[8:9], -1
	s_and_b64 vcc, exec, s[12:13]
	s_cbranch_vccz .LBB79_301
; %bb.300:
	global_store_short v[10:11], v16, off
	s_mov_b64 s[10:11], -1
	s_mov_b64 s[8:9], 0
.LBB79_301:
	s_mov_b64 s[12:13], 0
.LBB79_302:
	s_and_b64 vcc, exec, s[12:13]
	s_cbranch_vccz .LBB79_305
; %bb.303:
	v_mov_b32_e32 v22, 11
	v_cmp_eq_u16_sdwa s[12:13], s19, v22 src0_sel:BYTE_0 src1_sel:DWORD
	s_mov_b64 s[8:9], -1
	s_and_b64 vcc, exec, s[12:13]
	s_cbranch_vccz .LBB79_305
; %bb.304:
	s_mov_b64 s[10:11], -1
	s_mov_b64 s[8:9], 0
	global_store_byte v[10:11], v14, off
.LBB79_305:
	s_mov_b64 s[12:13], 0
.LBB79_306:
	s_and_b64 vcc, exec, s[12:13]
	s_cbranch_vccz .LBB79_345
; %bb.307:
	v_mov_b32_e32 v22, 5
	v_cmp_lt_i16_sdwa s[12:13], s19, v22 src0_sel:BYTE_0 src1_sel:DWORD
	s_mov_b64 s[10:11], -1
	s_and_b64 vcc, exec, s[12:13]
	s_cbranch_vccnz .LBB79_328
; %bb.308:
	v_mov_b32_e32 v22, 8
	v_cmp_lt_i16_sdwa s[12:13], s19, v22 src0_sel:BYTE_0 src1_sel:DWORD
	s_and_b64 vcc, exec, s[12:13]
	s_cbranch_vccnz .LBB79_318
; %bb.309:
	v_mov_b32_e32 v22, 9
	v_cmp_lt_i16_sdwa s[12:13], s19, v22 src0_sel:BYTE_0 src1_sel:DWORD
	s_and_b64 vcc, exec, s[12:13]
	s_cbranch_vccnz .LBB79_315
; %bb.310:
	v_cmp_gt_i16_sdwa s[12:13], s19, v22 src0_sel:BYTE_0 src1_sel:DWORD
	s_and_b64 vcc, exec, s[12:13]
	s_cbranch_vccz .LBB79_312
; %bb.311:
	s_mov_b64 s[10:11], 0
	global_store_dwordx4 v[10:11], v[0:3], off
.LBB79_312:
	s_andn2_b64 vcc, exec, s[10:11]
	s_cbranch_vccnz .LBB79_314
; %bb.313:
	global_store_dwordx2 v[10:11], v[6:7], off
.LBB79_314:
	s_mov_b64 s[10:11], 0
.LBB79_315:
	s_andn2_b64 vcc, exec, s[10:11]
	s_cbranch_vccnz .LBB79_317
; %bb.316:
	v_mov_b32_e32 v22, s18
	global_store_dword v[10:11], v22, off
.LBB79_317:
	s_mov_b64 s[10:11], 0
.LBB79_318:
	s_andn2_b64 vcc, exec, s[10:11]
	s_cbranch_vccnz .LBB79_327
; %bb.319:
	v_mov_b32_e32 v22, 6
	v_cmp_lt_i16_sdwa s[12:13], s19, v22 src0_sel:BYTE_0 src1_sel:DWORD
	s_mov_b64 s[10:11], -1
	s_and_b64 vcc, exec, s[12:13]
	s_cbranch_vccnz .LBB79_325
; %bb.320:
	v_cmp_gt_i16_sdwa s[12:13], s19, v22 src0_sel:BYTE_0 src1_sel:DWORD
	s_and_b64 vcc, exec, s[12:13]
	s_cbranch_vccz .LBB79_322
; %bb.321:
	s_mov_b64 s[10:11], 0
	global_store_dwordx2 v[10:11], v[0:1], off
.LBB79_322:
	s_andn2_b64 vcc, exec, s[10:11]
	s_cbranch_vccnz .LBB79_324
; %bb.323:
	global_store_dword v[10:11], v6, off
.LBB79_324:
	s_mov_b64 s[10:11], 0
.LBB79_325:
	s_andn2_b64 vcc, exec, s[10:11]
	s_cbranch_vccnz .LBB79_327
; %bb.326:
	v_mov_b32_e32 v22, s18
	global_store_short v[10:11], v22, off
.LBB79_327:
	s_mov_b64 s[10:11], 0
.LBB79_328:
	s_andn2_b64 vcc, exec, s[10:11]
	s_cbranch_vccnz .LBB79_344
; %bb.329:
	v_mov_b32_e32 v22, 2
	v_cmp_lt_i16_sdwa s[12:13], s19, v22 src0_sel:BYTE_0 src1_sel:DWORD
	s_mov_b64 s[10:11], -1
	s_and_b64 vcc, exec, s[12:13]
	s_cbranch_vccnz .LBB79_339
; %bb.330:
	v_mov_b32_e32 v22, 3
	v_cmp_lt_i16_sdwa s[12:13], s19, v22 src0_sel:BYTE_0 src1_sel:DWORD
	s_and_b64 vcc, exec, s[12:13]
	s_cbranch_vccnz .LBB79_336
; %bb.331:
	v_cmp_gt_i16_sdwa s[12:13], s19, v22 src0_sel:BYTE_0 src1_sel:DWORD
	s_and_b64 vcc, exec, s[12:13]
	s_cbranch_vccz .LBB79_333
; %bb.332:
	s_mov_b64 s[10:11], 0
	global_store_dwordx2 v[10:11], v[4:5], off
.LBB79_333:
	s_andn2_b64 vcc, exec, s[10:11]
	s_cbranch_vccnz .LBB79_335
; %bb.334:
	global_store_dword v[10:11], v4, off
.LBB79_335:
	s_mov_b64 s[10:11], 0
.LBB79_336:
	s_andn2_b64 vcc, exec, s[10:11]
	s_cbranch_vccnz .LBB79_338
; %bb.337:
	global_store_short v[10:11], v12, off
.LBB79_338:
	s_mov_b64 s[10:11], 0
.LBB79_339:
	s_andn2_b64 vcc, exec, s[10:11]
	s_cbranch_vccnz .LBB79_344
; %bb.340:
	v_mov_b32_e32 v22, 0
	v_cmp_gt_i16_sdwa s[12:13], s19, v22 src0_sel:BYTE_0 src1_sel:DWORD
	s_mov_b64 s[10:11], -1
	s_and_b64 vcc, exec, s[12:13]
	s_cbranch_vccz .LBB79_342
; %bb.341:
	s_mov_b64 s[10:11], 0
	global_store_byte v[10:11], v12, off
.LBB79_342:
	s_andn2_b64 vcc, exec, s[10:11]
	s_cbranch_vccnz .LBB79_344
; %bb.343:
	global_store_byte v[10:11], v4, off
.LBB79_344:
	s_mov_b64 s[10:11], -1
.LBB79_345:
	s_andn2_b64 vcc, exec, s[10:11]
	s_cbranch_vccnz .LBB79_347
; %bb.346:
	v_add_u32_e32 v13, 0x80, v13
	s_mov_b64 s[10:11], -1
	s_branch .LBB79_348
.LBB79_347:
	s_mov_b64 s[10:11], 0
                                        ; implicit-def: $vgpr13
.LBB79_348:
	s_andn2_b64 s[12:13], s[70:71], exec
	s_and_b64 s[8:9], s[8:9], exec
	s_or_b64 s[76:77], s[12:13], s[8:9]
	s_orn2_b64 s[10:11], s[10:11], exec
.LBB79_349:
	s_or_b64 exec, exec, s[74:75]
	s_mov_b64 s[8:9], 0
	s_mov_b64 s[14:15], 0
                                        ; implicit-def: $vgpr22
                                        ; implicit-def: $vgpr10_vgpr11
	s_and_saveexec_b64 s[74:75], s[10:11]
	s_cbranch_execz .LBB79_420
; %bb.350:
	v_cmp_gt_i32_e32 vcc, s89, v13
	s_mov_b64 s[10:11], 0
	s_mov_b64 s[12:13], s[76:77]
                                        ; implicit-def: $vgpr22
                                        ; implicit-def: $vgpr10_vgpr11
	s_and_saveexec_b64 s[78:79], vcc
	s_cbranch_execz .LBB79_419
; %bb.351:
	s_andn2_b64 vcc, exec, s[36:37]
	s_cbranch_vccnz .LBB79_356
; %bb.352:
	s_andn2_b64 vcc, exec, s[64:65]
	s_cbranch_vccnz .LBB79_357
; %bb.353:
	s_add_i32 s90, s90, 1
	s_mov_b32 s89, 0
	s_cmp_eq_u32 s80, 2
	v_mov_b32_e32 v10, 0
	s_cbranch_scc1 .LBB79_358
; %bb.354:
	s_and_b32 s89, s90, 28
	s_mov_b32 s91, 0
	v_mov_b32_e32 v10, 0
	s_mov_b64 s[64:65], s[4:5]
	v_mov_b32_e32 v22, v13
.LBB79_355:                             ; =>This Inner Loop Header: Depth=1
	s_load_dwordx8 s[8:15], s[64:65], 0x4
	s_load_dwordx4 s[24:27], s[64:65], 0x24
	s_load_dwordx4 s[28:31], s[62:63], 0x0
	s_add_u32 s64, s64, 48
	s_addc_u32 s65, s65, 0
	s_waitcnt lgkmcnt(0)
	v_mul_hi_u32 v11, s9, v22
	v_add_u32_e32 v11, v22, v11
	v_lshrrev_b32_e32 v11, s10, v11
	v_mul_lo_u32 v23, v11, s8
	v_mul_hi_u32 v24, s12, v11
	v_sub_u32_e32 v22, v22, v23
	v_add_u32_e32 v23, v11, v24
	v_lshrrev_b32_e32 v23, s13, v23
	v_mul_lo_u32 v24, v23, s11
	v_mul_hi_u32 v25, s15, v23
	v_sub_u32_e32 v11, v11, v24
	v_add_u32_e32 v24, v23, v25
	v_mul_lo_u32 v22, v22, s28
	v_mul_lo_u32 v11, v11, s29
	v_lshrrev_b32_e32 v24, s24, v24
	v_add3_u32 v10, v22, v10, v11
	v_mul_hi_u32 v22, s26, v24
	v_add_u32_e32 v22, v24, v22
	v_mul_lo_u32 v11, v24, s14
	v_lshrrev_b32_e32 v22, s27, v22
	s_add_i32 s91, s91, 4
	v_sub_u32_e32 v11, v23, v11
	v_mul_lo_u32 v23, v22, s25
	s_add_u32 s62, s62, 16
	v_sub_u32_e32 v23, v24, v23
	s_addc_u32 s63, s63, 0
	v_mul_lo_u32 v11, v11, s30
	v_mul_lo_u32 v23, v23, s31
	s_cmp_eq_u32 s89, s91
	v_add3_u32 v10, v11, v10, v23
	s_cbranch_scc0 .LBB79_355
	s_branch .LBB79_359
.LBB79_356:
	s_mov_b64 s[8:9], -1
                                        ; implicit-def: $vgpr10
	s_branch .LBB79_363
.LBB79_357:
	v_mov_b32_e32 v10, 0
	s_branch .LBB79_362
.LBB79_358:
	v_mov_b32_e32 v22, v13
.LBB79_359:
	s_and_b32 s12, s90, 3
	s_cmp_eq_u32 s12, 0
	s_cbranch_scc1 .LBB79_362
; %bb.360:
	s_lshl_b32 s8, s89, 2
	s_add_u32 s8, s8, s4
	s_addc_u32 s9, s5, 0
	s_add_u32 s8, s8, 0xc4
	s_addc_u32 s9, s9, 0
	s_mul_i32 s10, s89, 12
	s_add_u32 s10, s4, s10
	s_addc_u32 s11, s5, 0
.LBB79_361:                             ; =>This Inner Loop Header: Depth=1
	s_load_dwordx2 s[14:15], s[10:11], 0x4
	s_load_dword s13, s[10:11], 0xc
	s_load_dword s24, s[8:9], 0x0
	s_add_u32 s10, s10, 12
	s_addc_u32 s11, s11, 0
	s_waitcnt lgkmcnt(0)
	v_mul_hi_u32 v11, s15, v22
	v_add_u32_e32 v11, v22, v11
	v_lshrrev_b32_e32 v11, s13, v11
	s_add_u32 s8, s8, 4
	v_mul_lo_u32 v23, v11, s14
	s_addc_u32 s9, s9, 0
	s_add_i32 s12, s12, -1
	v_sub_u32_e32 v23, v22, v23
	s_cmp_lg_u32 s12, 0
	v_mov_b32_e32 v22, v11
	v_mad_u64_u32 v[10:11], s[14:15], v23, s24, v[10:11]
	s_cbranch_scc1 .LBB79_361
.LBB79_362:
	s_mov_b64 s[8:9], 0
.LBB79_363:
	s_andn2_b64 vcc, exec, s[8:9]
	s_cbranch_vccnz .LBB79_366
; %bb.364:
	v_mul_hi_u32 v10, s21, v13
	v_add_u32_e32 v10, v13, v10
	v_lshrrev_b32_e32 v11, s22, v10
	v_mul_lo_u32 v10, v11, s20
	v_sub_u32_e32 v10, v13, v10
	s_andn2_b64 vcc, exec, s[60:61]
	v_mul_lo_u32 v10, v10, s56
	s_cbranch_vccnz .LBB79_366
; %bb.365:
	v_mul_hi_u32 v13, s58, v11
	v_add_u32_e32 v13, v11, v13
	v_lshrrev_b32_e32 v13, s59, v13
	v_mul_lo_u32 v13, v13, s23
	v_sub_u32_e32 v11, v11, v13
	v_mad_u64_u32 v[10:11], s[8:9], v11, s57, v[10:11]
.LBB79_366:
	v_mov_b32_e32 v11, s17
	v_add_co_u32_e32 v10, vcc, s16, v10
	v_mov_b32_e32 v13, 0xff
	v_addc_co_u32_e32 v11, vcc, 0, v11, vcc
	v_and_b32_e32 v22, s19, v13
	v_cmp_gt_i16_e32 vcc, 11, v22
	s_cbranch_vccnz .LBB79_416
; %bb.367:
	v_cmp_lt_i16_e32 vcc, 25, v22
	s_mov_b64 s[10:11], -1
	s_mov_b64 s[8:9], s[76:77]
	s_cbranch_vccz .LBB79_395
; %bb.368:
	v_cmp_lt_i16_e32 vcc, 28, v22
	s_mov_b64 s[8:9], s[76:77]
	s_cbranch_vccz .LBB79_382
; %bb.369:
	v_cmp_lt_i16_e32 vcc, 43, v22
	;; [unrolled: 4-line block ×3, first 2 shown]
	s_mov_b64 s[8:9], s[76:77]
	s_cbranch_vccz .LBB79_374
; %bb.371:
	v_cmp_eq_u16_e32 vcc, 46, v22
	s_mov_b64 s[8:9], -1
	s_cbranch_vccz .LBB79_373
; %bb.372:
	global_store_dword v[10:11], v21, off
	s_mov_b64 s[8:9], 0
.LBB79_373:
	s_mov_b64 s[10:11], 0
.LBB79_374:
	s_and_b64 vcc, exec, s[10:11]
	s_cbranch_vccz .LBB79_377
; %bb.375:
	v_cmp_eq_u16_e32 vcc, 44, v22
	s_mov_b64 s[8:9], -1
	s_cbranch_vccz .LBB79_377
; %bb.376:
	v_mov_b32_e32 v13, 0xff
	v_cndmask_b32_e64 v13, v20, v13, s[6:7]
	global_store_byte v[10:11], v13, off
	s_mov_b64 s[8:9], 0
.LBB79_377:
	s_mov_b64 s[10:11], 0
.LBB79_378:
	s_and_b64 vcc, exec, s[10:11]
	s_cbranch_vccz .LBB79_381
; %bb.379:
	v_cmp_eq_u16_e32 vcc, 29, v22
	s_mov_b64 s[8:9], -1
	s_cbranch_vccz .LBB79_381
; %bb.380:
	global_store_dwordx2 v[10:11], v[8:9], off
	s_mov_b64 s[8:9], 0
.LBB79_381:
	s_mov_b64 s[10:11], 0
.LBB79_382:
	s_and_b64 vcc, exec, s[10:11]
	s_cbranch_vccz .LBB79_394
; %bb.383:
	v_cmp_gt_i16_e32 vcc, 27, v22
	s_mov_b64 s[6:7], -1
	s_cbranch_vccnz .LBB79_389
; %bb.384:
	v_cmp_lt_i16_e32 vcc, 27, v22
	s_cbranch_vccz .LBB79_386
; %bb.385:
	s_mov_b64 s[6:7], 0
	global_store_dword v[10:11], v8, off
.LBB79_386:
	s_andn2_b64 vcc, exec, s[6:7]
	s_cbranch_vccnz .LBB79_388
; %bb.387:
	global_store_short v[10:11], v19, off
.LBB79_388:
	s_mov_b64 s[6:7], 0
.LBB79_389:
	s_andn2_b64 vcc, exec, s[6:7]
	s_cbranch_vccnz .LBB79_394
; %bb.390:
	s_andn2_b64 vcc, exec, s[52:53]
	v_mov_b32_e32 v8, 0x80
	s_cbranch_vccnz .LBB79_393
; %bb.391:
	s_or_b64 s[6:7], s[2:3], s[54:55]
	s_andn2_b64 vcc, exec, s[6:7]
	v_mov_b32_e32 v8, 0
	s_cbranch_vccnz .LBB79_393
; %bb.392:
	v_mov_b32_e32 v8, s88
	v_cndmask_b32_e64 v8, v18, v8, s[2:3]
	v_or_b32_e32 v8, v8, v15
.LBB79_393:
	global_store_byte v[10:11], v8, off
.LBB79_394:
	s_mov_b64 s[10:11], 0
.LBB79_395:
	s_mov_b64 s[2:3], 0
	s_and_b64 vcc, exec, s[10:11]
	s_cbranch_vccz .LBB79_417
; %bb.396:
	v_cmp_lt_i16_e32 vcc, 22, v22
	s_mov_b64 s[6:7], -1
	s_cbranch_vccz .LBB79_409
; %bb.397:
	v_cmp_gt_i16_e32 vcc, 24, v22
	s_cbranch_vccnz .LBB79_406
; %bb.398:
	v_cmp_lt_i16_e32 vcc, 24, v22
	s_cbranch_vccz .LBB79_403
; %bb.399:
	s_andn2_b64 vcc, exec, s[48:49]
	v_mov_b32_e32 v8, 0x80
	s_cbranch_vccnz .LBB79_402
; %bb.400:
	s_or_b64 s[6:7], s[0:1], s[50:51]
	s_andn2_b64 vcc, exec, s[6:7]
	v_mov_b32_e32 v8, 0
	s_cbranch_vccnz .LBB79_402
; %bb.401:
	v_mov_b32_e32 v8, s86
	v_cndmask_b32_e64 v8, v17, v8, s[0:1]
	v_or_b32_e32 v8, v8, v15
.LBB79_402:
	s_mov_b64 s[6:7], 0
	global_store_byte v[10:11], v8, off
.LBB79_403:
	s_and_b64 vcc, exec, s[6:7]
	s_cbranch_vccz .LBB79_405
; %bb.404:
	s_and_b64 s[0:1], s[46:47], exec
	s_cselect_b32 s6, s85, s84
	s_and_b64 s[0:1], s[44:45], exec
	s_cselect_b32 s0, s87, s6
	v_or_b32_e32 v8, s0, v15
	global_store_byte v[10:11], v8, off
.LBB79_405:
	s_mov_b64 s[6:7], 0
.LBB79_406:
	s_andn2_b64 vcc, exec, s[6:7]
	s_cbranch_vccnz .LBB79_408
; %bb.407:
	s_and_b64 s[0:1], s[42:43], exec
	s_cselect_b32 s6, s82, s81
	s_and_b64 s[0:1], s[40:41], exec
	s_cselect_b32 s0, s83, s6
	v_or_b32_e32 v8, s0, v15
	global_store_byte v[10:11], v8, off
.LBB79_408:
	s_mov_b64 s[6:7], 0
.LBB79_409:
	s_andn2_b64 vcc, exec, s[6:7]
	s_mov_b64 s[0:1], 0
	s_cbranch_vccnz .LBB79_418
; %bb.410:
	v_cmp_lt_i16_e32 vcc, 14, v22
	s_mov_b64 s[6:7], -1
	s_cbranch_vccz .LBB79_414
; %bb.411:
	v_cmp_eq_u16_e32 vcc, 15, v22
	s_mov_b64 s[8:9], -1
	s_cbranch_vccz .LBB79_413
; %bb.412:
	global_store_short v[10:11], v16, off
	s_mov_b64 s[8:9], 0
.LBB79_413:
	s_mov_b64 s[6:7], 0
.LBB79_414:
	s_and_b64 vcc, exec, s[6:7]
	s_cbranch_vccz .LBB79_418
; %bb.415:
	v_cmp_ne_u16_e32 vcc, 11, v22
	s_andn2_b64 s[6:7], s[8:9], exec
	s_and_b64 s[8:9], vcc, exec
	s_mov_b64 s[0:1], -1
	s_or_b64 s[8:9], s[6:7], s[8:9]
	s_branch .LBB79_418
.LBB79_416:
	s_mov_b64 s[0:1], 0
	s_mov_b64 s[2:3], -1
	s_mov_b64 s[8:9], s[76:77]
	s_branch .LBB79_418
.LBB79_417:
	s_mov_b64 s[0:1], 0
.LBB79_418:
	s_and_b64 s[14:15], s[2:3], exec
	s_and_b64 s[10:11], s[0:1], exec
	s_andn2_b64 s[0:1], s[76:77], exec
	s_and_b64 s[2:3], s[8:9], exec
	s_or_b64 s[12:13], s[0:1], s[2:3]
.LBB79_419:
	s_or_b64 exec, exec, s[78:79]
	s_andn2_b64 s[0:1], s[76:77], exec
	s_and_b64 s[2:3], s[12:13], exec
	s_and_b64 s[14:15], s[14:15], exec
	;; [unrolled: 1-line block ×3, first 2 shown]
	s_or_b64 s[76:77], s[0:1], s[2:3]
.LBB79_420:
	s_or_b64 exec, exec, s[74:75]
	s_andn2_b64 s[0:1], s[70:71], exec
	s_and_b64 s[2:3], s[76:77], exec
	s_and_b64 s[12:13], s[14:15], exec
	;; [unrolled: 1-line block ×3, first 2 shown]
	s_or_b64 s[70:71], s[0:1], s[2:3]
.LBB79_421:
	s_or_b64 exec, exec, s[72:73]
	s_andn2_b64 s[0:1], s[66:67], exec
	s_and_b64 s[2:3], s[70:71], exec
	s_and_b64 s[8:9], s[12:13], exec
	s_and_b64 s[72:73], s[10:11], exec
	s_or_b64 s[66:67], s[0:1], s[2:3]
	s_or_b64 exec, exec, s[68:69]
	s_mov_b64 s[0:1], 0
	s_and_saveexec_b64 s[2:3], s[66:67]
	s_cbranch_execz .LBB79_122
.LBB79_422:
	s_mov_b64 s[0:1], exec
	s_andn2_b64 s[72:73], s[72:73], exec
	s_trap 2
	s_or_b64 exec, exec, s[2:3]
	s_and_saveexec_b64 s[2:3], s[72:73]
	s_xor_b64 s[2:3], exec, s[2:3]
	s_cbranch_execnz .LBB79_123
.LBB79_423:
	s_or_b64 exec, exec, s[2:3]
	s_and_saveexec_b64 s[2:3], s[8:9]
	s_xor_b64 s[2:3], exec, s[2:3]
	s_cbranch_execz .LBB79_461
.LBB79_424:
	v_cmp_gt_i16_e32 vcc, 5, v22
	s_mov_b64 s[6:7], -1
	s_cbranch_vccnz .LBB79_445
; %bb.425:
	v_cmp_gt_i16_e32 vcc, 8, v22
	s_cbranch_vccnz .LBB79_435
; %bb.426:
	v_cmp_gt_i16_e32 vcc, 9, v22
	s_cbranch_vccnz .LBB79_432
; %bb.427:
	v_cmp_lt_i16_e32 vcc, 9, v22
	s_cbranch_vccz .LBB79_429
; %bb.428:
	s_mov_b64 s[6:7], 0
	global_store_dwordx4 v[10:11], v[0:3], off
.LBB79_429:
	s_andn2_b64 vcc, exec, s[6:7]
	s_cbranch_vccnz .LBB79_431
; %bb.430:
	global_store_dwordx2 v[10:11], v[6:7], off
.LBB79_431:
	s_mov_b64 s[6:7], 0
.LBB79_432:
	s_andn2_b64 vcc, exec, s[6:7]
	s_cbranch_vccnz .LBB79_434
; %bb.433:
	v_mov_b32_e32 v2, s18
	global_store_dword v[10:11], v2, off
.LBB79_434:
	s_mov_b64 s[6:7], 0
.LBB79_435:
	s_andn2_b64 vcc, exec, s[6:7]
	s_cbranch_vccnz .LBB79_444
; %bb.436:
	v_cmp_gt_i16_e32 vcc, 6, v22
	s_mov_b64 s[6:7], -1
	s_cbranch_vccnz .LBB79_442
; %bb.437:
	v_cmp_lt_i16_e32 vcc, 6, v22
	s_cbranch_vccz .LBB79_439
; %bb.438:
	s_mov_b64 s[6:7], 0
	global_store_dwordx2 v[10:11], v[0:1], off
.LBB79_439:
	s_andn2_b64 vcc, exec, s[6:7]
	s_cbranch_vccnz .LBB79_441
; %bb.440:
	global_store_dword v[10:11], v6, off
.LBB79_441:
	s_mov_b64 s[6:7], 0
.LBB79_442:
	s_andn2_b64 vcc, exec, s[6:7]
	s_cbranch_vccnz .LBB79_444
; %bb.443:
	v_mov_b32_e32 v0, s18
	global_store_short v[10:11], v0, off
.LBB79_444:
	s_mov_b64 s[6:7], 0
.LBB79_445:
	s_andn2_b64 vcc, exec, s[6:7]
	s_cbranch_vccnz .LBB79_461
; %bb.446:
	v_cmp_gt_i16_e32 vcc, 2, v22
	s_mov_b64 s[6:7], -1
	s_cbranch_vccnz .LBB79_456
; %bb.447:
	v_cmp_gt_i16_e32 vcc, 3, v22
	s_cbranch_vccnz .LBB79_453
; %bb.448:
	v_cmp_lt_i16_e32 vcc, 3, v22
	s_cbranch_vccz .LBB79_450
; %bb.449:
	s_mov_b64 s[6:7], 0
	global_store_dwordx2 v[10:11], v[4:5], off
.LBB79_450:
	s_andn2_b64 vcc, exec, s[6:7]
	s_cbranch_vccnz .LBB79_452
; %bb.451:
	global_store_dword v[10:11], v4, off
.LBB79_452:
	s_mov_b64 s[6:7], 0
.LBB79_453:
	s_andn2_b64 vcc, exec, s[6:7]
	s_cbranch_vccnz .LBB79_455
; %bb.454:
	global_store_short v[10:11], v12, off
.LBB79_455:
	s_mov_b64 s[6:7], 0
.LBB79_456:
	s_andn2_b64 vcc, exec, s[6:7]
	s_cbranch_vccnz .LBB79_461
; %bb.457:
	v_cmp_lt_i16_e32 vcc, 0, v22
	s_mov_b64 s[6:7], -1
	s_cbranch_vccz .LBB79_459
; %bb.458:
	s_mov_b64 s[6:7], 0
	global_store_byte v[10:11], v12, off
.LBB79_459:
	s_andn2_b64 vcc, exec, s[6:7]
	s_cbranch_vccnz .LBB79_461
; %bb.460:
	global_store_byte v[10:11], v4, off
.LBB79_461:
	s_or_b64 exec, exec, s[2:3]
	s_and_b64 s[6:7], s[0:1], exec
                                        ; implicit-def: $vgpr8
                                        ; implicit-def: $vgpr13
.LBB79_462:
	s_or_saveexec_b64 s[24:25], s[38:39]
	s_mov_b64 s[0:1], 0
                                        ; implicit-def: $sgpr3
                                        ; implicit-def: $vgpr0_vgpr1
                                        ; implicit-def: $sgpr2
	s_xor_b64 exec, exec, s[24:25]
	s_cbranch_execz .LBB79_952
; %bb.463:
	v_cndmask_b32_e64 v0, 0, 1, s[36:37]
	v_cmp_ne_u32_e64 s[0:1], 1, v0
	s_andn2_b64 vcc, exec, s[36:37]
	s_cbranch_vccnz .LBB79_469
; %bb.464:
	s_mov_b32 s28, 0
	s_cmp_eq_u32 s33, 0
	v_mov_b32_e32 v6, 0
	s_cbranch_scc1 .LBB79_473
; %bb.465:
	s_min_u32 s29, s80, 15
	s_add_i32 s29, s29, 1
	s_cmp_eq_u32 s80, 2
	v_mov_b32_e32 v6, 0
	s_cbranch_scc1 .LBB79_470
; %bb.466:
	s_add_u32 s2, s4, 0xc4
	s_addc_u32 s3, s5, 0
	s_and_b32 s28, s29, 28
	s_mov_b32 s30, 0
	v_mov_b32_e32 v6, 0
	s_mov_b64 s[26:27], s[4:5]
	v_mov_b32_e32 v0, v13
.LBB79_467:                             ; =>This Inner Loop Header: Depth=1
	s_load_dwordx8 s[8:15], s[26:27], 0x4
	s_load_dwordx4 s[16:19], s[26:27], 0x24
	s_load_dwordx4 s[20:23], s[2:3], 0x0
	s_add_u32 s26, s26, 48
	s_addc_u32 s27, s27, 0
	s_waitcnt lgkmcnt(0)
	v_mul_hi_u32 v1, s9, v0
	v_add_u32_e32 v1, v0, v1
	v_lshrrev_b32_e32 v1, s10, v1
	v_mul_lo_u32 v2, v1, s8
	v_mul_hi_u32 v3, s12, v1
	v_sub_u32_e32 v0, v0, v2
	v_add_u32_e32 v2, v1, v3
	v_lshrrev_b32_e32 v2, s13, v2
	v_mul_lo_u32 v3, v2, s11
	v_mul_hi_u32 v4, s15, v2
	v_sub_u32_e32 v1, v1, v3
	v_add_u32_e32 v3, v2, v4
	v_mul_lo_u32 v0, v0, s20
	v_mul_lo_u32 v1, v1, s21
	v_lshrrev_b32_e32 v3, s16, v3
	v_add3_u32 v1, v0, v6, v1
	v_mul_lo_u32 v0, v3, s14
	v_mul_hi_u32 v4, s18, v3
	v_sub_u32_e32 v0, v2, v0
	v_add_u32_e32 v2, v3, v4
	v_mul_lo_u32 v4, v0, s22
	v_lshrrev_b32_e32 v0, s19, v2
	s_add_i32 s30, s30, 4
	v_mul_lo_u32 v2, v0, s17
	s_add_u32 s2, s2, 16
	v_sub_u32_e32 v2, v3, v2
	s_addc_u32 s3, s3, 0
	v_mul_lo_u32 v2, v2, s23
	s_cmp_lg_u32 s28, s30
	v_add3_u32 v6, v4, v1, v2
	s_cbranch_scc1 .LBB79_467
; %bb.468:
	s_and_b32 s10, s29, 3
	s_cmp_eq_u32 s10, 0
	s_cbranch_scc0 .LBB79_471
	s_branch .LBB79_473
.LBB79_469:
                                        ; implicit-def: $vgpr6
	s_branch .LBB79_474
.LBB79_470:
	v_mov_b32_e32 v0, v13
	s_and_b32 s10, s29, 3
	s_cmp_eq_u32 s10, 0
	s_cbranch_scc1 .LBB79_473
.LBB79_471:
	s_lshl_b32 s2, s28, 2
	s_add_u32 s2, s2, s4
	s_addc_u32 s3, 0, s5
	s_add_u32 s2, s2, 0xc4
	s_addc_u32 s3, s3, 0
	s_mul_i32 s8, s28, 12
	s_add_u32 s8, s4, s8
	s_addc_u32 s9, 0, s5
.LBB79_472:                             ; =>This Inner Loop Header: Depth=1
	s_load_dwordx2 s[12:13], s[8:9], 0x4
	s_load_dword s11, s[8:9], 0xc
	s_load_dword s14, s[2:3], 0x0
	s_add_u32 s8, s8, 12
	s_addc_u32 s9, s9, 0
	s_waitcnt lgkmcnt(0)
	v_mul_hi_u32 v1, s13, v0
	v_add_u32_e32 v1, v0, v1
	v_lshrrev_b32_e32 v1, s11, v1
	s_add_u32 s2, s2, 4
	v_mul_lo_u32 v2, v1, s12
	s_addc_u32 s3, s3, 0
	s_add_i32 s10, s10, -1
	v_sub_u32_e32 v2, v0, v2
	s_cmp_lg_u32 s10, 0
	v_mov_b32_e32 v0, v1
	v_mad_u64_u32 v[6:7], s[12:13], v2, s14, v[6:7]
	s_cbranch_scc1 .LBB79_472
.LBB79_473:
	s_cbranch_execnz .LBB79_476
.LBB79_474:
	s_load_dwordx4 s[8:11], s[4:5], 0x4
	s_load_dword s2, s[4:5], 0xc4
	s_cmp_lt_u32 s33, 2
	s_waitcnt lgkmcnt(0)
	v_mul_hi_u32 v0, s9, v13
	v_add_u32_e32 v0, v13, v0
	v_lshrrev_b32_e32 v0, s10, v0
	v_mul_lo_u32 v1, v0, s8
	v_sub_u32_e32 v1, v13, v1
	v_mul_lo_u32 v6, v1, s2
	s_cbranch_scc1 .LBB79_476
; %bb.475:
	s_load_dwordx4 s[8:11], s[4:5], 0x10
	s_load_dword s2, s[4:5], 0xc8
	s_waitcnt lgkmcnt(0)
	v_mul_hi_u32 v1, s9, v0
	v_add_u32_e32 v1, v0, v1
	v_lshrrev_b32_e32 v1, s10, v1
	v_mul_lo_u32 v1, v1, s8
	v_sub_u32_e32 v0, v0, v1
	v_mad_u64_u32 v[6:7], s[2:3], v0, s2, v[6:7]
.LBB79_476:
	s_and_b64 vcc, exec, s[0:1]
	v_add_u32_e32 v0, 0x80, v13
	s_cbranch_vccnz .LBB79_482
; %bb.477:
	s_mov_b32 s28, 0
	s_cmp_eq_u32 s33, 0
	v_mov_b32_e32 v4, 0
	s_cbranch_scc1 .LBB79_486
; %bb.478:
	s_min_u32 s29, s80, 15
	s_add_i32 s29, s29, 1
	s_cmp_eq_u32 s80, 2
	v_mov_b32_e32 v4, 0
	s_cbranch_scc1 .LBB79_483
; %bb.479:
	s_add_u32 s2, s4, 0xc4
	s_addc_u32 s3, s5, 0
	s_and_b32 s28, s29, 28
	s_mov_b32 s30, 0
	v_mov_b32_e32 v4, 0
	s_mov_b64 s[26:27], s[4:5]
	v_mov_b32_e32 v1, v0
.LBB79_480:                             ; =>This Inner Loop Header: Depth=1
	s_load_dwordx8 s[8:15], s[26:27], 0x4
	s_load_dwordx4 s[16:19], s[26:27], 0x24
	s_load_dwordx4 s[20:23], s[2:3], 0x0
	s_add_u32 s26, s26, 48
	s_addc_u32 s27, s27, 0
	s_waitcnt lgkmcnt(0)
	v_mul_hi_u32 v2, s9, v1
	v_add_u32_e32 v2, v1, v2
	v_lshrrev_b32_e32 v2, s10, v2
	v_mul_lo_u32 v3, v2, s8
	v_mul_hi_u32 v5, s12, v2
	v_sub_u32_e32 v1, v1, v3
	v_add_u32_e32 v3, v2, v5
	v_lshrrev_b32_e32 v3, s13, v3
	v_mul_lo_u32 v5, v3, s11
	v_mul_hi_u32 v7, s15, v3
	v_sub_u32_e32 v2, v2, v5
	v_add_u32_e32 v5, v3, v7
	v_mul_lo_u32 v1, v1, s20
	v_mul_lo_u32 v2, v2, s21
	v_lshrrev_b32_e32 v5, s16, v5
	v_add3_u32 v2, v1, v4, v2
	v_mul_lo_u32 v1, v5, s14
	v_mul_hi_u32 v4, s18, v5
	v_sub_u32_e32 v1, v3, v1
	v_add_u32_e32 v3, v5, v4
	v_mul_lo_u32 v4, v1, s22
	v_lshrrev_b32_e32 v1, s19, v3
	s_add_i32 s30, s30, 4
	v_mul_lo_u32 v3, v1, s17
	s_add_u32 s2, s2, 16
	v_sub_u32_e32 v3, v5, v3
	s_addc_u32 s3, s3, 0
	v_mul_lo_u32 v3, v3, s23
	s_cmp_lg_u32 s28, s30
	v_add3_u32 v4, v4, v2, v3
	s_cbranch_scc1 .LBB79_480
; %bb.481:
	s_and_b32 s10, s29, 3
	s_cmp_eq_u32 s10, 0
	s_cbranch_scc0 .LBB79_484
	s_branch .LBB79_486
.LBB79_482:
                                        ; implicit-def: $vgpr4
	s_branch .LBB79_487
.LBB79_483:
	v_mov_b32_e32 v1, v0
	s_and_b32 s10, s29, 3
	s_cmp_eq_u32 s10, 0
	s_cbranch_scc1 .LBB79_486
.LBB79_484:
	s_lshl_b32 s2, s28, 2
	s_add_u32 s2, s2, s4
	s_addc_u32 s3, 0, s5
	s_add_u32 s2, s2, 0xc4
	s_addc_u32 s3, s3, 0
	s_mul_i32 s8, s28, 12
	s_add_u32 s8, s4, s8
	s_addc_u32 s9, 0, s5
.LBB79_485:                             ; =>This Inner Loop Header: Depth=1
	s_load_dwordx2 s[12:13], s[8:9], 0x4
	s_load_dword s11, s[8:9], 0xc
	s_load_dword s14, s[2:3], 0x0
	s_add_u32 s8, s8, 12
	s_addc_u32 s9, s9, 0
	s_waitcnt lgkmcnt(0)
	v_mul_hi_u32 v2, s13, v1
	v_add_u32_e32 v2, v1, v2
	v_lshrrev_b32_e32 v2, s11, v2
	s_add_u32 s2, s2, 4
	v_mul_lo_u32 v3, v2, s12
	s_addc_u32 s3, s3, 0
	s_add_i32 s10, s10, -1
	v_sub_u32_e32 v3, v1, v3
	s_cmp_lg_u32 s10, 0
	v_mov_b32_e32 v1, v2
	v_mad_u64_u32 v[4:5], s[12:13], v3, s14, v[4:5]
	s_cbranch_scc1 .LBB79_485
.LBB79_486:
	s_cbranch_execnz .LBB79_489
.LBB79_487:
	s_load_dwordx4 s[8:11], s[4:5], 0x4
	s_load_dword s2, s[4:5], 0xc4
	s_cmp_lt_u32 s33, 2
	s_waitcnt lgkmcnt(0)
	v_mul_hi_u32 v1, s9, v0
	v_add_u32_e32 v1, v0, v1
	v_lshrrev_b32_e32 v1, s10, v1
	v_mul_lo_u32 v2, v1, s8
	v_sub_u32_e32 v0, v0, v2
	v_mul_lo_u32 v4, v0, s2
	s_cbranch_scc1 .LBB79_489
; %bb.488:
	s_load_dwordx4 s[8:11], s[4:5], 0x10
	s_load_dword s2, s[4:5], 0xc8
	s_waitcnt lgkmcnt(0)
	v_mul_hi_u32 v0, s9, v1
	v_add_u32_e32 v0, v1, v0
	v_lshrrev_b32_e32 v0, s10, v0
	v_mul_lo_u32 v0, v0, s8
	v_sub_u32_e32 v0, v1, v0
	v_mad_u64_u32 v[4:5], s[2:3], v0, s2, v[4:5]
.LBB79_489:
	s_and_b64 vcc, exec, s[0:1]
	v_add_u32_e32 v0, 0x100, v13
	s_cbranch_vccnz .LBB79_495
; %bb.490:
	s_mov_b32 s28, 0
	s_cmp_eq_u32 s33, 0
	v_mov_b32_e32 v2, 0
	s_cbranch_scc1 .LBB79_499
; %bb.491:
	s_min_u32 s29, s80, 15
	s_add_i32 s29, s29, 1
	s_cmp_eq_u32 s80, 2
	v_mov_b32_e32 v2, 0
	s_cbranch_scc1 .LBB79_496
; %bb.492:
	s_add_u32 s2, s4, 0xc4
	s_addc_u32 s3, s5, 0
	s_and_b32 s28, s29, 28
	s_mov_b32 s30, 0
	v_mov_b32_e32 v2, 0
	s_mov_b64 s[26:27], s[4:5]
	v_mov_b32_e32 v1, v0
.LBB79_493:                             ; =>This Inner Loop Header: Depth=1
	s_load_dwordx8 s[8:15], s[26:27], 0x4
	s_load_dwordx4 s[16:19], s[26:27], 0x24
	s_load_dwordx4 s[20:23], s[2:3], 0x0
	s_add_u32 s26, s26, 48
	s_addc_u32 s27, s27, 0
	s_waitcnt lgkmcnt(0)
	v_mul_hi_u32 v3, s9, v1
	v_add_u32_e32 v3, v1, v3
	v_lshrrev_b32_e32 v3, s10, v3
	v_mul_lo_u32 v5, v3, s8
	v_mul_hi_u32 v7, s12, v3
	v_sub_u32_e32 v1, v1, v5
	v_add_u32_e32 v5, v3, v7
	v_lshrrev_b32_e32 v5, s13, v5
	v_mul_lo_u32 v7, v5, s11
	v_mul_hi_u32 v9, s15, v5
	v_sub_u32_e32 v3, v3, v7
	v_add_u32_e32 v7, v5, v9
	v_mul_lo_u32 v1, v1, s20
	v_mul_lo_u32 v3, v3, s21
	v_lshrrev_b32_e32 v7, s16, v7
	v_add3_u32 v2, v1, v2, v3
	v_mul_lo_u32 v1, v7, s14
	v_mul_hi_u32 v3, s18, v7
	v_sub_u32_e32 v1, v5, v1
	v_add_u32_e32 v3, v7, v3
	v_mul_lo_u32 v5, v1, s22
	v_lshrrev_b32_e32 v1, s19, v3
	s_add_i32 s30, s30, 4
	v_mul_lo_u32 v3, v1, s17
	s_add_u32 s2, s2, 16
	v_sub_u32_e32 v3, v7, v3
	s_addc_u32 s3, s3, 0
	v_mul_lo_u32 v3, v3, s23
	s_cmp_lg_u32 s28, s30
	v_add3_u32 v2, v5, v2, v3
	s_cbranch_scc1 .LBB79_493
; %bb.494:
	s_and_b32 s10, s29, 3
	s_cmp_eq_u32 s10, 0
	s_cbranch_scc0 .LBB79_497
	s_branch .LBB79_499
.LBB79_495:
                                        ; implicit-def: $vgpr2
	s_branch .LBB79_500
.LBB79_496:
	v_mov_b32_e32 v1, v0
	s_and_b32 s10, s29, 3
	s_cmp_eq_u32 s10, 0
	s_cbranch_scc1 .LBB79_499
.LBB79_497:
	s_lshl_b32 s2, s28, 2
	s_add_u32 s2, s2, s4
	s_addc_u32 s3, 0, s5
	s_add_u32 s2, s2, 0xc4
	s_addc_u32 s3, s3, 0
	s_mul_i32 s8, s28, 12
	s_add_u32 s8, s4, s8
	s_addc_u32 s9, 0, s5
.LBB79_498:                             ; =>This Inner Loop Header: Depth=1
	s_load_dwordx2 s[12:13], s[8:9], 0x4
	s_load_dword s11, s[8:9], 0xc
	s_load_dword s14, s[2:3], 0x0
	s_add_u32 s8, s8, 12
	s_addc_u32 s9, s9, 0
	s_waitcnt lgkmcnt(0)
	v_mul_hi_u32 v3, s13, v1
	v_add_u32_e32 v3, v1, v3
	v_lshrrev_b32_e32 v3, s11, v3
	s_add_u32 s2, s2, 4
	v_mul_lo_u32 v5, v3, s12
	s_addc_u32 s3, s3, 0
	s_add_i32 s10, s10, -1
	v_sub_u32_e32 v5, v1, v5
	s_cmp_lg_u32 s10, 0
	v_mov_b32_e32 v1, v3
	v_mad_u64_u32 v[2:3], s[12:13], v5, s14, v[2:3]
	s_cbranch_scc1 .LBB79_498
.LBB79_499:
	s_cbranch_execnz .LBB79_502
.LBB79_500:
	s_load_dwordx4 s[8:11], s[4:5], 0x4
	s_load_dword s2, s[4:5], 0xc4
	s_cmp_lt_u32 s33, 2
	s_waitcnt lgkmcnt(0)
	v_mul_hi_u32 v1, s9, v0
	v_add_u32_e32 v1, v0, v1
	v_lshrrev_b32_e32 v1, s10, v1
	v_mul_lo_u32 v2, v1, s8
	v_sub_u32_e32 v0, v0, v2
	v_mul_lo_u32 v2, v0, s2
	s_cbranch_scc1 .LBB79_502
; %bb.501:
	s_load_dwordx4 s[8:11], s[4:5], 0x10
	s_load_dword s2, s[4:5], 0xc8
	s_waitcnt lgkmcnt(0)
	v_mul_hi_u32 v0, s9, v1
	v_add_u32_e32 v0, v1, v0
	v_lshrrev_b32_e32 v0, s10, v0
	v_mul_lo_u32 v0, v0, s8
	v_sub_u32_e32 v0, v1, v0
	v_mad_u64_u32 v[2:3], s[2:3], v0, s2, v[2:3]
.LBB79_502:
	s_and_b64 vcc, exec, s[0:1]
	s_cbranch_vccnz .LBB79_508
; %bb.503:
	s_mov_b32 s26, 0
	s_cmp_eq_u32 s33, 0
	v_mov_b32_e32 v0, 0
	s_cbranch_scc1 .LBB79_512
; %bb.504:
	s_min_u32 s27, s80, 15
	s_add_i32 s27, s27, 1
	s_cmp_eq_u32 s80, 2
	v_mov_b32_e32 v0, 0
	s_cbranch_scc1 .LBB79_509
; %bb.505:
	s_add_u32 s20, s4, 0xc4
	s_addc_u32 s21, s5, 0
	s_and_b32 s26, s27, 28
	s_mov_b32 s28, 0
	v_mov_b32_e32 v0, 0
	s_mov_b64 s[22:23], s[4:5]
	v_mov_b32_e32 v3, v8
.LBB79_506:                             ; =>This Inner Loop Header: Depth=1
	s_load_dwordx8 s[8:15], s[22:23], 0x4
	s_load_dwordx4 s[0:3], s[22:23], 0x24
	s_load_dwordx4 s[16:19], s[20:21], 0x0
	s_add_u32 s22, s22, 48
	s_addc_u32 s23, s23, 0
	s_waitcnt lgkmcnt(0)
	v_mul_hi_u32 v1, s9, v3
	v_add_u32_e32 v1, v3, v1
	v_lshrrev_b32_e32 v1, s10, v1
	v_mul_lo_u32 v5, v1, s8
	v_mul_hi_u32 v7, s12, v1
	v_sub_u32_e32 v3, v3, v5
	v_add_u32_e32 v5, v1, v7
	v_lshrrev_b32_e32 v5, s13, v5
	v_mul_lo_u32 v7, v5, s11
	v_mul_hi_u32 v9, s15, v5
	v_sub_u32_e32 v1, v1, v7
	v_add_u32_e32 v7, v5, v9
	v_mul_lo_u32 v3, v3, s16
	v_mul_lo_u32 v1, v1, s17
	v_lshrrev_b32_e32 v7, s0, v7
	v_add3_u32 v0, v3, v0, v1
	v_mul_hi_u32 v3, s2, v7
	v_add_u32_e32 v3, v7, v3
	v_mul_lo_u32 v1, v7, s14
	v_lshrrev_b32_e32 v3, s3, v3
	s_add_i32 s28, s28, 4
	v_sub_u32_e32 v1, v5, v1
	v_mul_lo_u32 v5, v3, s1
	s_add_u32 s20, s20, 16
	v_sub_u32_e32 v5, v7, v5
	s_addc_u32 s21, s21, 0
	v_mul_lo_u32 v1, v1, s18
	v_mul_lo_u32 v5, v5, s19
	s_cmp_lg_u32 s26, s28
	v_add3_u32 v0, v1, v0, v5
	s_cbranch_scc1 .LBB79_506
; %bb.507:
	s_and_b32 s8, s27, 3
	s_cmp_eq_u32 s8, 0
	s_cbranch_scc0 .LBB79_510
	s_branch .LBB79_512
.LBB79_508:
                                        ; implicit-def: $vgpr0
	s_branch .LBB79_513
.LBB79_509:
	v_mov_b32_e32 v3, v8
	s_and_b32 s8, s27, 3
	s_cmp_eq_u32 s8, 0
	s_cbranch_scc1 .LBB79_512
.LBB79_510:
	s_lshl_b32 s0, s26, 2
	s_add_u32 s0, s0, s4
	s_addc_u32 s1, 0, s5
	s_add_u32 s0, s0, 0xc4
	s_addc_u32 s1, s1, 0
	s_mul_i32 s2, s26, 12
	s_add_u32 s2, s4, s2
	s_addc_u32 s3, 0, s5
.LBB79_511:                             ; =>This Inner Loop Header: Depth=1
	s_load_dwordx2 s[10:11], s[2:3], 0x4
	s_load_dword s9, s[2:3], 0xc
	s_load_dword s12, s[0:1], 0x0
	s_add_u32 s2, s2, 12
	s_addc_u32 s3, s3, 0
	s_waitcnt lgkmcnt(0)
	v_mul_hi_u32 v1, s11, v3
	v_add_u32_e32 v1, v3, v1
	v_lshrrev_b32_e32 v1, s9, v1
	s_add_u32 s0, s0, 4
	v_mul_lo_u32 v5, v1, s10
	s_addc_u32 s1, s1, 0
	s_add_i32 s8, s8, -1
	v_sub_u32_e32 v5, v3, v5
	s_cmp_lg_u32 s8, 0
	v_mov_b32_e32 v3, v1
	v_mad_u64_u32 v[0:1], s[10:11], v5, s12, v[0:1]
	s_cbranch_scc1 .LBB79_511
.LBB79_512:
	s_cbranch_execnz .LBB79_515
.LBB79_513:
	s_load_dwordx4 s[0:3], s[4:5], 0x4
	s_waitcnt lgkmcnt(0)
	s_load_dword s3, s[4:5], 0xc4
	s_cmp_lt_u32 s33, 2
	v_mul_hi_u32 v0, s1, v8
	v_add_u32_e32 v0, v8, v0
	v_lshrrev_b32_e32 v1, s2, v0
	v_mul_lo_u32 v0, v1, s0
	v_sub_u32_e32 v0, v8, v0
	s_waitcnt lgkmcnt(0)
	v_mul_lo_u32 v0, v0, s3
	s_cbranch_scc1 .LBB79_515
; %bb.514:
	s_load_dwordx4 s[0:3], s[4:5], 0x10
	s_waitcnt lgkmcnt(0)
	s_load_dword s3, s[4:5], 0xc8
	v_mul_hi_u32 v3, s1, v1
	v_add_u32_e32 v3, v1, v3
	v_lshrrev_b32_e32 v3, s2, v3
	v_mul_lo_u32 v3, v3, s0
	v_sub_u32_e32 v1, v1, v3
	s_waitcnt lgkmcnt(0)
	v_mad_u64_u32 v[0:1], s[0:1], v1, s3, v[0:1]
.LBB79_515:
	s_load_dwordx4 s[0:3], s[4:5], 0x108
	s_waitcnt lgkmcnt(0)
	v_mov_b32_e32 v1, s1
	s_and_b32 s3, s3, 0xff
	v_add_co_u32_e32 v6, vcc, s0, v6
	v_addc_co_u32_e32 v7, vcc, 0, v1, vcc
	v_cmp_lt_i16_e64 s[8:9], s3, 11
	s_and_b64 vcc, exec, s[8:9]
	s_cbranch_vccnz .LBB79_522
; %bb.516:
	v_cmp_gt_i16_e64 s[4:5], s3, 25
	s_mov_b64 s[14:15], -1
	s_mov_b64 s[10:11], 0
	s_and_b64 vcc, exec, s[4:5]
	s_mov_b64 s[12:13], 0
	s_mov_b64 s[4:5], 0
	s_cbranch_vccz .LBB79_555
; %bb.517:
	v_cmp_gt_i16_e64 s[4:5], s3, 28
	s_and_b64 vcc, exec, s[4:5]
	s_cbranch_vccz .LBB79_524
; %bb.518:
	v_cmp_gt_i16_e64 s[4:5], s3, 43
	s_and_b64 vcc, exec, s[4:5]
	;; [unrolled: 4-line block ×3, first 2 shown]
	s_cbranch_vccz .LBB79_526
; %bb.520:
	v_cmp_eq_u16_e64 s[12:13], s3, 46
	s_mov_b64 s[4:5], -1
	s_mov_b64 s[14:15], 0
	s_and_b64 vcc, exec, s[12:13]
	s_mov_b64 s[12:13], 0
	s_cbranch_vccz .LBB79_527
; %bb.521:
	s_lshr_b32 s4, s2, 16
	v_cvt_f32_f16_e32 v3, s4
	v_cvt_f32_f16_e32 v1, s2
	v_cmp_o_f16_e64 vcc, s4, s4
	s_mov_b64 s[4:5], 0
	v_bfe_u32 v8, v3, 16, 1
	v_bfe_u32 v5, v1, 16, 1
	v_add_u32_e32 v3, v3, v8
	v_add_u32_e32 v1, v1, v5
	;; [unrolled: 1-line block ×4, first 2 shown]
	v_and_b32_e32 v3, 0xffff0000, v3
	v_mov_b32_e32 v5, 0x7fc00000
	v_lshrrev_b32_e32 v1, 16, v1
	v_cndmask_b32_e32 v3, v5, v3, vcc
	v_mov_b32_e32 v5, 0x7fc0
	v_cmp_o_f16_e64 vcc, s2, s2
	v_cndmask_b32_e32 v1, v5, v1, vcc
	v_or_b32_e32 v1, v3, v1
	global_store_dword v[6:7], v1, off
	s_mov_b64 s[12:13], -1
	s_branch .LBB79_527
.LBB79_522:
	s_mov_b64 s[12:13], 0
	s_mov_b64 s[4:5], s[6:7]
	s_cbranch_execnz .LBB79_605
.LBB79_523:
	s_andn2_b64 vcc, exec, s[12:13]
	s_cbranch_vccz .LBB79_643
	s_branch .LBB79_950
.LBB79_524:
	s_mov_b64 s[4:5], 0
	s_branch .LBB79_536
.LBB79_525:
	s_mov_b64 s[4:5], 0
	s_and_b64 vcc, exec, s[14:15]
	s_cbranch_vccnz .LBB79_533
	s_branch .LBB79_535
.LBB79_526:
	s_mov_b64 s[4:5], 0
.LBB79_527:
	s_and_b64 vcc, exec, s[14:15]
	s_cbranch_vccz .LBB79_532
; %bb.528:
	v_cmp_eq_u16_e64 s[14:15], s3, 44
	s_mov_b64 s[4:5], -1
	s_and_b64 vcc, exec, s[14:15]
	s_cbranch_vccz .LBB79_532
; %bb.529:
	v_cvt_f32_f16_e32 v1, s2
	v_mov_b32_e32 v3, 0xff
	v_readfirstlane_b32 s4, v1
	s_bfe_u32 s5, s4, 0x80017
	s_cmpk_eq_i32 s5, 0xff
	s_cbranch_scc1 .LBB79_531
; %bb.530:
	s_bitcmp1_b32 s4, 22
	s_cselect_b64 s[12:13], -1, 0
	s_and_b32 s4, s4, 0x3fffff
	s_or_b32 s4, s5, s4
	s_cmp_lg_u32 s4, 0
	s_cselect_b64 s[4:5], -1, 0
	s_and_b64 s[4:5], s[12:13], s[4:5]
	v_lshrrev_b32_e32 v1, 23, v1
	v_cndmask_b32_e64 v3, 0, 1, s[4:5]
	v_add_u32_e32 v3, v1, v3
.LBB79_531:
	s_mov_b64 s[4:5], 0
	s_mov_b64 s[12:13], -1
	global_store_byte v[6:7], v3, off
.LBB79_532:
	s_branch .LBB79_535
.LBB79_533:
	v_cmp_eq_u16_e64 s[14:15], s3, 29
	s_mov_b64 s[4:5], -1
	s_and_b64 vcc, exec, s[14:15]
	s_cbranch_vccz .LBB79_535
; %bb.534:
	v_cvt_f32_f16_e32 v1, s2
	v_mov_b32_e32 v9, 0
	s_mov_b64 s[4:5], 0
	s_mov_b64 s[12:13], -1
	v_cvt_u32_f32_e32 v8, v1
	s_mov_b64 s[14:15], 0
	global_store_dwordx2 v[6:7], v[8:9], off
	s_branch .LBB79_536
.LBB79_535:
	s_mov_b64 s[14:15], 0
.LBB79_536:
	s_and_b64 vcc, exec, s[14:15]
	s_cbranch_vccz .LBB79_554
; %bb.537:
	v_cmp_lt_i16_e64 s[14:15], s3, 27
	s_mov_b64 s[12:13], -1
	s_and_b64 vcc, exec, s[14:15]
	s_cbranch_vccnz .LBB79_543
; %bb.538:
	v_cmp_gt_i16_e64 s[14:15], s3, 27
	s_and_b64 vcc, exec, s[14:15]
	s_cbranch_vccz .LBB79_540
; %bb.539:
	v_cvt_f32_f16_e32 v1, s2
	s_mov_b64 s[12:13], 0
	v_cvt_u32_f32_e32 v1, v1
	global_store_dword v[6:7], v1, off
.LBB79_540:
	s_andn2_b64 vcc, exec, s[12:13]
	s_cbranch_vccnz .LBB79_542
; %bb.541:
	v_cvt_u16_f16_e32 v1, s2
	global_store_short v[6:7], v1, off
.LBB79_542:
	s_mov_b64 s[12:13], 0
.LBB79_543:
	s_andn2_b64 vcc, exec, s[12:13]
	s_cbranch_vccnz .LBB79_553
; %bb.544:
	v_cvt_f32_f16_e32 v1, s2
	v_mov_b32_e32 v3, 0x80
	v_readfirstlane_b32 s16, v1
	s_and_b32 s12, s16, 0x7fffffff
	s_cmp_gt_u32 s12, 0x437fffff
	s_cbranch_scc1 .LBB79_552
; %bb.545:
	s_cmp_gt_u32 s12, 0x3bffffff
	s_cbranch_scc0 .LBB79_547
; %bb.546:
	s_bfe_u32 s12, s16, 0x10014
	s_add_i32 s12, s16, s12
	s_add_i32 s12, s12, 0x487ffff
	s_lshr_b32 s17, s12, 20
	s_mov_b64 s[14:15], 0
	s_mov_b64 s[12:13], -1
	s_branch .LBB79_548
.LBB79_547:
	s_mov_b64 s[14:15], -1
	s_mov_b64 s[12:13], 0
                                        ; implicit-def: $sgpr17
.LBB79_548:
	s_andn2_b64 vcc, exec, s[14:15]
	v_mov_b32_e32 v1, s17
                                        ; implicit-def: $sgpr14
	s_cbranch_vccnz .LBB79_550
; %bb.549:
	v_mov_b32_e32 v1, 0x46000000
	v_add_f32_e64 v1, |s16|, v1
	v_and_b32_e32 v1, 0xff, v1
	s_mov_b32 s14, 0
	v_cmp_ne_u32_e64 s[12:13], 0, v1
.LBB79_550:
	s_andn2_b64 vcc, exec, s[12:13]
	v_mov_b32_e32 v3, s14
	s_cbranch_vccnz .LBB79_552
; %bb.551:
	s_lshr_b32 s12, s16, 24
	s_and_b32 s12, s12, 0x80
	v_or_b32_e32 v3, s12, v1
.LBB79_552:
	global_store_byte v[6:7], v3, off
.LBB79_553:
	s_mov_b64 s[12:13], -1
.LBB79_554:
	s_mov_b64 s[14:15], 0
.LBB79_555:
	s_and_b64 vcc, exec, s[14:15]
	s_cbranch_vccz .LBB79_601
; %bb.556:
	v_cmp_gt_i16_e64 s[14:15], s3, 22
	s_mov_b64 s[10:11], -1
	s_and_b64 vcc, exec, s[14:15]
	s_cbranch_vccz .LBB79_594
; %bb.557:
	v_cmp_lt_i16_e64 s[12:13], s3, 24
	s_and_b64 vcc, exec, s[12:13]
	s_cbranch_vccnz .LBB79_581
; %bb.558:
	v_cmp_gt_i16_e64 s[12:13], s3, 24
	s_and_b64 vcc, exec, s[12:13]
	s_cbranch_vccz .LBB79_568
; %bb.559:
	v_cvt_f32_f16_e32 v1, s2
	v_mov_b32_e32 v3, 0x80
	v_readfirstlane_b32 s14, v1
	s_and_b32 s10, s14, 0x7fffffff
	s_cmp_gt_u32 s10, 0x477fffff
	s_cbranch_scc1 .LBB79_567
; %bb.560:
	s_cmp_gt_u32 s10, 0x37ffffff
	s_cbranch_scc0 .LBB79_562
; %bb.561:
	s_bfe_u32 s10, s14, 0x10015
	s_add_i32 s10, s14, s10
	s_add_i32 s10, s10, 0x88fffff
	s_lshr_b32 s15, s10, 21
	s_mov_b64 s[12:13], 0
	s_mov_b64 s[10:11], -1
	s_branch .LBB79_563
.LBB79_562:
	s_mov_b64 s[12:13], -1
	s_mov_b64 s[10:11], 0
                                        ; implicit-def: $sgpr15
.LBB79_563:
	s_andn2_b64 vcc, exec, s[12:13]
	v_mov_b32_e32 v1, s15
                                        ; implicit-def: $sgpr12
	s_cbranch_vccnz .LBB79_565
; %bb.564:
	v_mov_b32_e32 v1, 0x42800000
	v_add_f32_e64 v1, |s14|, v1
	v_and_b32_e32 v1, 0xff, v1
	s_mov_b32 s12, 0
	v_cmp_ne_u32_e64 s[10:11], 0, v1
.LBB79_565:
	s_andn2_b64 vcc, exec, s[10:11]
	v_mov_b32_e32 v3, s12
	s_cbranch_vccnz .LBB79_567
; %bb.566:
	s_lshr_b32 s10, s14, 24
	s_and_b32 s10, s10, 0x80
	v_or_b32_e32 v3, s10, v1
.LBB79_567:
	s_mov_b64 s[10:11], 0
	global_store_byte v[6:7], v3, off
.LBB79_568:
	s_and_b64 vcc, exec, s[10:11]
	s_cbranch_vccz .LBB79_580
; %bb.569:
	v_cvt_f32_f16_e32 v1, s2
	v_readfirstlane_b32 s12, v1
	s_and_b32 s13, s12, 0x7fffffff
	s_cmp_lt_u32 s13, 0x43f00000
	s_cbranch_scc0 .LBB79_572
; %bb.570:
	s_cmp_gt_u32 s13, 0x3c7fffff
	s_cbranch_scc0 .LBB79_573
; %bb.571:
	s_bfe_u32 s10, s12, 0x10014
	s_add_i32 s10, s12, s10
	s_add_i32 s10, s10, 0x407ffff
	s_lshr_b32 s11, s10, 20
	s_and_b32 s10, s10, 0xff00000
	s_cmp_lg_u32 s10, 0x7f00000
	s_cselect_b32 s14, s11, 0x7e
	s_mov_b64 s[10:11], 0
	s_branch .LBB79_574
.LBB79_572:
	s_mov_b64 s[10:11], -1
                                        ; implicit-def: $vgpr3
	s_branch .LBB79_577
.LBB79_573:
	s_mov_b64 s[10:11], -1
                                        ; implicit-def: $sgpr14
.LBB79_574:
	s_andn2_b64 vcc, exec, s[10:11]
	v_mov_b32_e32 v3, s14
	s_cbranch_vccnz .LBB79_576
; %bb.575:
	s_mov_b32 s10, 0x46800000
	v_add_f32_e64 v3, |v1|, s10
.LBB79_576:
	s_mov_b64 s[10:11], 0
.LBB79_577:
	s_andn2_b64 vcc, exec, s[10:11]
	s_cbranch_vccnz .LBB79_579
; %bb.578:
	s_cmp_gt_u32 s13, 0x7f800000
	s_movk_i32 s10, 0x7f
	s_cselect_b32 s10, s10, 0x7e
	v_mov_b32_e32 v3, s10
.LBB79_579:
	s_lshr_b32 s10, s12, 24
	s_and_b32 s10, s10, 0x80
	v_or_b32_e32 v1, s10, v3
	global_store_byte v[6:7], v1, off
.LBB79_580:
	s_mov_b64 s[10:11], 0
.LBB79_581:
	s_andn2_b64 vcc, exec, s[10:11]
	s_cbranch_vccnz .LBB79_593
; %bb.582:
	v_cvt_f32_f16_e32 v1, s2
	v_readfirstlane_b32 s12, v1
	s_and_b32 s13, s12, 0x7fffffff
	s_cmp_lt_u32 s13, 0x47800000
	s_cbranch_scc0 .LBB79_585
; %bb.583:
	s_cmp_gt_u32 s13, 0x387fffff
	s_cbranch_scc0 .LBB79_586
; %bb.584:
	s_bfe_u32 s10, s12, 0x10015
	s_add_i32 s10, s12, s10
	s_add_i32 s10, s10, 0x80fffff
	s_lshr_b32 s14, s10, 21
	s_mov_b64 s[10:11], 0
	s_branch .LBB79_587
.LBB79_585:
	s_mov_b64 s[10:11], -1
                                        ; implicit-def: $vgpr3
	s_branch .LBB79_590
.LBB79_586:
	s_mov_b64 s[10:11], -1
                                        ; implicit-def: $sgpr14
.LBB79_587:
	s_andn2_b64 vcc, exec, s[10:11]
	v_mov_b32_e32 v3, s14
	s_cbranch_vccnz .LBB79_589
; %bb.588:
	s_mov_b32 s10, 0x43000000
	v_add_f32_e64 v3, |v1|, s10
.LBB79_589:
	s_mov_b64 s[10:11], 0
.LBB79_590:
	s_andn2_b64 vcc, exec, s[10:11]
	s_cbranch_vccnz .LBB79_592
; %bb.591:
	s_cmp_gt_u32 s13, 0x7f800000
	s_movk_i32 s10, 0x7f
	s_cselect_b32 s10, s10, 0x7c
	v_mov_b32_e32 v3, s10
.LBB79_592:
	s_lshr_b32 s10, s12, 24
	s_and_b32 s10, s10, 0x80
	v_or_b32_e32 v1, s10, v3
	global_store_byte v[6:7], v1, off
.LBB79_593:
	s_mov_b64 s[10:11], 0
	s_mov_b64 s[12:13], -1
.LBB79_594:
	s_andn2_b64 vcc, exec, s[10:11]
	s_mov_b64 s[10:11], 0
	s_cbranch_vccnz .LBB79_601
; %bb.595:
	v_cmp_gt_i16_e64 s[10:11], s3, 14
	s_mov_b64 s[14:15], -1
	s_and_b64 vcc, exec, s[10:11]
	s_cbranch_vccz .LBB79_599
; %bb.596:
	v_cmp_eq_u16_e64 s[10:11], s3, 15
	s_mov_b64 s[4:5], -1
	s_and_b64 vcc, exec, s[10:11]
	s_cbranch_vccz .LBB79_598
; %bb.597:
	v_cvt_f32_f16_e32 v1, s2
	v_mov_b32_e32 v3, 0x7fc0
	v_cmp_o_f16_e64 vcc, s2, s2
	s_mov_b64 s[4:5], 0
	v_bfe_u32 v5, v1, 16, 1
	v_add_u32_e32 v1, v1, v5
	v_add_u32_e32 v1, 0x7fff, v1
	v_lshrrev_b32_e32 v1, 16, v1
	v_cndmask_b32_e32 v1, v3, v1, vcc
	global_store_short v[6:7], v1, off
	s_mov_b64 s[12:13], -1
.LBB79_598:
	s_mov_b64 s[14:15], 0
.LBB79_599:
	s_mov_b64 s[10:11], 0
	s_and_b64 vcc, exec, s[14:15]
	s_cbranch_vccz .LBB79_601
; %bb.600:
	v_cmp_ne_u16_e64 s[4:5], s3, 11
	s_mov_b64 s[10:11], -1
.LBB79_601:
	s_and_b64 vcc, exec, s[4:5]
	s_mov_b64 s[4:5], s[6:7]
	s_cbranch_vccnz .LBB79_654
; %bb.602:
	s_andn2_b64 vcc, exec, s[10:11]
	s_cbranch_vccnz .LBB79_604
.LBB79_603:
	s_and_b32 s10, s2, 0x7fff7fff
	s_cmp_lg_u32 s10, 0
	s_cselect_b64 s[10:11], -1, 0
	v_cndmask_b32_e64 v1, 0, 1, s[10:11]
	global_store_byte v[6:7], v1, off
	s_mov_b64 s[12:13], -1
.LBB79_604:
	s_branch .LBB79_523
.LBB79_605:
	v_cmp_lt_i16_e64 s[12:13], s3, 5
	s_mov_b64 s[10:11], -1
	s_and_b64 vcc, exec, s[12:13]
	s_cbranch_vccnz .LBB79_626
; %bb.606:
	v_cmp_lt_i16_e64 s[12:13], s3, 8
	s_and_b64 vcc, exec, s[12:13]
	s_cbranch_vccnz .LBB79_616
; %bb.607:
	v_cmp_lt_i16_e64 s[12:13], s3, 9
	s_and_b64 vcc, exec, s[12:13]
	s_cbranch_vccnz .LBB79_613
; %bb.608:
	v_cmp_gt_i16_e64 s[12:13], s3, 9
	s_and_b64 vcc, exec, s[12:13]
	s_cbranch_vccz .LBB79_610
; %bb.609:
	s_lshr_b32 s10, s2, 16
	v_cvt_f32_f16_e32 v1, s2
	v_cvt_f32_f16_e32 v3, s10
	s_mov_b64 s[10:11], 0
	v_cvt_f64_f32_e32 v[8:9], v1
	v_cvt_f64_f32_e32 v[10:11], v3
	global_store_dwordx4 v[6:7], v[8:11], off
.LBB79_610:
	s_andn2_b64 vcc, exec, s[10:11]
	s_cbranch_vccnz .LBB79_612
; %bb.611:
	s_lshr_b32 s10, s2, 16
	v_cvt_f32_f16_e32 v9, s10
	v_cvt_f32_f16_e32 v8, s2
	global_store_dwordx2 v[6:7], v[8:9], off
.LBB79_612:
	s_mov_b64 s[10:11], 0
.LBB79_613:
	s_andn2_b64 vcc, exec, s[10:11]
	s_cbranch_vccnz .LBB79_615
; %bb.614:
	v_mov_b32_e32 v1, s2
	global_store_dword v[6:7], v1, off
.LBB79_615:
	s_mov_b64 s[10:11], 0
.LBB79_616:
	s_andn2_b64 vcc, exec, s[10:11]
	s_cbranch_vccnz .LBB79_625
; %bb.617:
	v_cmp_lt_i16_e64 s[12:13], s3, 6
	s_mov_b64 s[10:11], -1
	s_and_b64 vcc, exec, s[12:13]
	s_cbranch_vccnz .LBB79_623
; %bb.618:
	v_cmp_gt_i16_e64 s[12:13], s3, 6
	s_and_b64 vcc, exec, s[12:13]
	s_cbranch_vccz .LBB79_620
; %bb.619:
	v_cvt_f32_f16_e32 v1, s2
	s_mov_b64 s[10:11], 0
	v_cvt_f64_f32_e32 v[8:9], v1
	global_store_dwordx2 v[6:7], v[8:9], off
.LBB79_620:
	s_andn2_b64 vcc, exec, s[10:11]
	s_cbranch_vccnz .LBB79_622
; %bb.621:
	v_cvt_f32_f16_e32 v1, s2
	global_store_dword v[6:7], v1, off
.LBB79_622:
	s_mov_b64 s[10:11], 0
.LBB79_623:
	s_andn2_b64 vcc, exec, s[10:11]
	s_cbranch_vccnz .LBB79_625
; %bb.624:
	v_mov_b32_e32 v1, s2
	global_store_short v[6:7], v1, off
.LBB79_625:
	s_mov_b64 s[10:11], 0
.LBB79_626:
	s_andn2_b64 vcc, exec, s[10:11]
	s_cbranch_vccnz .LBB79_642
; %bb.627:
	v_cmp_lt_i16_e64 s[12:13], s3, 2
	s_mov_b64 s[10:11], -1
	s_and_b64 vcc, exec, s[12:13]
	s_cbranch_vccnz .LBB79_637
; %bb.628:
	v_cmp_lt_i16_e64 s[12:13], s3, 3
	s_and_b64 vcc, exec, s[12:13]
	s_cbranch_vccnz .LBB79_634
; %bb.629:
	v_cmp_gt_i16_e64 s[12:13], s3, 3
	s_and_b64 vcc, exec, s[12:13]
	s_cbranch_vccz .LBB79_631
; %bb.630:
	v_cvt_f32_f16_e32 v1, s2
	s_mov_b64 s[10:11], 0
	v_cvt_i32_f32_e32 v8, v1
	v_ashrrev_i32_e32 v9, 31, v8
	global_store_dwordx2 v[6:7], v[8:9], off
.LBB79_631:
	s_andn2_b64 vcc, exec, s[10:11]
	s_cbranch_vccnz .LBB79_633
; %bb.632:
	v_cvt_f32_f16_e32 v1, s2
	v_cvt_i32_f32_e32 v1, v1
	global_store_dword v[6:7], v1, off
.LBB79_633:
	s_mov_b64 s[10:11], 0
.LBB79_634:
	s_andn2_b64 vcc, exec, s[10:11]
	s_cbranch_vccnz .LBB79_636
; %bb.635:
	v_cvt_i16_f16_e32 v1, s2
	global_store_short v[6:7], v1, off
.LBB79_636:
	s_mov_b64 s[10:11], 0
.LBB79_637:
	s_andn2_b64 vcc, exec, s[10:11]
	s_cbranch_vccnz .LBB79_642
; %bb.638:
	v_cmp_gt_i16_e64 s[12:13], s3, 0
	s_mov_b64 s[10:11], -1
	s_and_b64 vcc, exec, s[12:13]
	s_cbranch_vccz .LBB79_640
; %bb.639:
	v_cvt_i16_f16_e32 v1, s2
	global_store_byte v[6:7], v1, off
	s_mov_b64 s[10:11], 0
.LBB79_640:
	s_andn2_b64 vcc, exec, s[10:11]
	s_cbranch_vccnz .LBB79_642
; %bb.641:
	v_cvt_f32_f16_e32 v1, s2
	v_cvt_i32_f32_e32 v1, v1
	global_store_byte v[6:7], v1, off
.LBB79_642:
.LBB79_643:
	v_mov_b32_e32 v1, s1
	v_add_co_u32_e32 v4, vcc, s0, v4
	v_addc_co_u32_e32 v5, vcc, 0, v1, vcc
	s_and_b64 vcc, exec, s[8:9]
	s_cbranch_vccnz .LBB79_650
; %bb.644:
	v_cmp_gt_i16_e64 s[10:11], s3, 25
	s_mov_b64 s[16:17], -1
	s_mov_b64 s[12:13], 0
	s_and_b64 vcc, exec, s[10:11]
	s_mov_b64 s[14:15], 0
	s_mov_b64 s[10:11], 0
	s_cbranch_vccz .LBB79_685
; %bb.645:
	v_cmp_gt_i16_e64 s[10:11], s3, 28
	s_and_b64 vcc, exec, s[10:11]
	s_cbranch_vccz .LBB79_652
; %bb.646:
	v_cmp_gt_i16_e64 s[10:11], s3, 43
	s_and_b64 vcc, exec, s[10:11]
	;; [unrolled: 4-line block ×3, first 2 shown]
	s_cbranch_vccz .LBB79_655
; %bb.648:
	v_cmp_eq_u16_e64 s[14:15], s3, 46
	s_mov_b64 s[10:11], -1
	s_mov_b64 s[16:17], 0
	s_and_b64 vcc, exec, s[14:15]
	s_mov_b64 s[14:15], 0
	s_cbranch_vccz .LBB79_656
; %bb.649:
	s_lshr_b32 s10, s2, 16
	v_cvt_f32_f16_e32 v3, s10
	v_cvt_f32_f16_e32 v1, s2
	v_cmp_o_f16_e64 vcc, s10, s10
	s_mov_b64 s[10:11], 0
	v_bfe_u32 v7, v3, 16, 1
	v_bfe_u32 v6, v1, 16, 1
	v_add_u32_e32 v3, v3, v7
	v_add_u32_e32 v1, v1, v6
	;; [unrolled: 1-line block ×4, first 2 shown]
	v_and_b32_e32 v3, 0xffff0000, v3
	v_mov_b32_e32 v6, 0x7fc00000
	v_lshrrev_b32_e32 v1, 16, v1
	v_cndmask_b32_e32 v3, v6, v3, vcc
	v_mov_b32_e32 v6, 0x7fc0
	v_cmp_o_f16_e64 vcc, s2, s2
	v_cndmask_b32_e32 v1, v6, v1, vcc
	v_or_b32_e32 v1, v3, v1
	global_store_dword v[4:5], v1, off
	s_mov_b64 s[14:15], -1
	s_branch .LBB79_656
.LBB79_650:
	s_mov_b64 s[14:15], 0
	s_cbranch_execnz .LBB79_735
.LBB79_651:
	s_andn2_b64 vcc, exec, s[14:15]
	s_cbranch_vccz .LBB79_773
	s_branch .LBB79_950
.LBB79_652:
	s_mov_b64 s[10:11], 0
	s_branch .LBB79_666
.LBB79_653:
	s_mov_b64 s[10:11], 0
	s_branch .LBB79_662
.LBB79_654:
	s_or_b64 s[4:5], s[6:7], exec
	s_trap 2
	s_cbranch_execz .LBB79_603
	s_branch .LBB79_604
.LBB79_655:
	s_mov_b64 s[10:11], 0
.LBB79_656:
	s_and_b64 vcc, exec, s[16:17]
	s_cbranch_vccz .LBB79_661
; %bb.657:
	v_cmp_eq_u16_e64 s[16:17], s3, 44
	s_mov_b64 s[10:11], -1
	s_and_b64 vcc, exec, s[16:17]
	s_cbranch_vccz .LBB79_661
; %bb.658:
	v_cvt_f32_f16_e32 v1, s2
	v_mov_b32_e32 v3, 0xff
	v_readfirstlane_b32 s10, v1
	s_bfe_u32 s11, s10, 0x80017
	s_cmpk_eq_i32 s11, 0xff
	s_cbranch_scc1 .LBB79_660
; %bb.659:
	s_bitcmp1_b32 s10, 22
	s_cselect_b64 s[14:15], -1, 0
	s_and_b32 s10, s10, 0x3fffff
	s_or_b32 s10, s11, s10
	s_cmp_lg_u32 s10, 0
	s_cselect_b64 s[10:11], -1, 0
	s_and_b64 s[10:11], s[14:15], s[10:11]
	v_lshrrev_b32_e32 v1, 23, v1
	v_cndmask_b32_e64 v3, 0, 1, s[10:11]
	v_add_u32_e32 v3, v1, v3
.LBB79_660:
	s_mov_b64 s[10:11], 0
	s_mov_b64 s[14:15], -1
	global_store_byte v[4:5], v3, off
.LBB79_661:
	s_mov_b64 s[16:17], 0
.LBB79_662:
	s_and_b64 vcc, exec, s[16:17]
	s_cbranch_vccz .LBB79_665
; %bb.663:
	v_cmp_eq_u16_e64 s[16:17], s3, 29
	s_mov_b64 s[10:11], -1
	s_and_b64 vcc, exec, s[16:17]
	s_cbranch_vccz .LBB79_665
; %bb.664:
	v_cvt_f32_f16_e32 v1, s2
	v_mov_b32_e32 v7, 0
	s_mov_b64 s[10:11], 0
	s_mov_b64 s[14:15], -1
	v_cvt_u32_f32_e32 v6, v1
	s_mov_b64 s[16:17], 0
	global_store_dwordx2 v[4:5], v[6:7], off
	s_branch .LBB79_666
.LBB79_665:
	s_mov_b64 s[16:17], 0
.LBB79_666:
	s_and_b64 vcc, exec, s[16:17]
	s_cbranch_vccz .LBB79_684
; %bb.667:
	v_cmp_lt_i16_e64 s[16:17], s3, 27
	s_mov_b64 s[14:15], -1
	s_and_b64 vcc, exec, s[16:17]
	s_cbranch_vccnz .LBB79_673
; %bb.668:
	v_cmp_gt_i16_e64 s[16:17], s3, 27
	s_and_b64 vcc, exec, s[16:17]
	s_cbranch_vccz .LBB79_670
; %bb.669:
	v_cvt_f32_f16_e32 v1, s2
	s_mov_b64 s[14:15], 0
	v_cvt_u32_f32_e32 v1, v1
	global_store_dword v[4:5], v1, off
.LBB79_670:
	s_andn2_b64 vcc, exec, s[14:15]
	s_cbranch_vccnz .LBB79_672
; %bb.671:
	v_cvt_u16_f16_e32 v1, s2
	global_store_short v[4:5], v1, off
.LBB79_672:
	s_mov_b64 s[14:15], 0
.LBB79_673:
	s_andn2_b64 vcc, exec, s[14:15]
	s_cbranch_vccnz .LBB79_683
; %bb.674:
	v_cvt_f32_f16_e32 v1, s2
	v_mov_b32_e32 v3, 0x80
	v_readfirstlane_b32 s18, v1
	s_and_b32 s14, s18, 0x7fffffff
	s_cmp_gt_u32 s14, 0x437fffff
	s_cbranch_scc1 .LBB79_682
; %bb.675:
	s_cmp_gt_u32 s14, 0x3bffffff
	s_cbranch_scc0 .LBB79_677
; %bb.676:
	s_bfe_u32 s14, s18, 0x10014
	s_add_i32 s14, s18, s14
	s_add_i32 s14, s14, 0x487ffff
	s_lshr_b32 s19, s14, 20
	s_mov_b64 s[16:17], 0
	s_mov_b64 s[14:15], -1
	s_branch .LBB79_678
.LBB79_677:
	s_mov_b64 s[16:17], -1
	s_mov_b64 s[14:15], 0
                                        ; implicit-def: $sgpr19
.LBB79_678:
	s_andn2_b64 vcc, exec, s[16:17]
	v_mov_b32_e32 v1, s19
                                        ; implicit-def: $sgpr16
	s_cbranch_vccnz .LBB79_680
; %bb.679:
	v_mov_b32_e32 v1, 0x46000000
	v_add_f32_e64 v1, |s18|, v1
	v_and_b32_e32 v1, 0xff, v1
	s_mov_b32 s16, 0
	v_cmp_ne_u32_e64 s[14:15], 0, v1
.LBB79_680:
	s_andn2_b64 vcc, exec, s[14:15]
	v_mov_b32_e32 v3, s16
	s_cbranch_vccnz .LBB79_682
; %bb.681:
	s_lshr_b32 s14, s18, 24
	s_and_b32 s14, s14, 0x80
	v_or_b32_e32 v3, s14, v1
.LBB79_682:
	global_store_byte v[4:5], v3, off
.LBB79_683:
	s_mov_b64 s[14:15], -1
.LBB79_684:
	s_mov_b64 s[16:17], 0
.LBB79_685:
	s_and_b64 vcc, exec, s[16:17]
	s_cbranch_vccz .LBB79_731
; %bb.686:
	v_cmp_gt_i16_e64 s[16:17], s3, 22
	s_mov_b64 s[12:13], -1
	s_and_b64 vcc, exec, s[16:17]
	s_cbranch_vccz .LBB79_724
; %bb.687:
	v_cmp_lt_i16_e64 s[14:15], s3, 24
	s_and_b64 vcc, exec, s[14:15]
	s_cbranch_vccnz .LBB79_711
; %bb.688:
	v_cmp_gt_i16_e64 s[14:15], s3, 24
	s_and_b64 vcc, exec, s[14:15]
	s_cbranch_vccz .LBB79_698
; %bb.689:
	v_cvt_f32_f16_e32 v1, s2
	v_mov_b32_e32 v3, 0x80
	v_readfirstlane_b32 s16, v1
	s_and_b32 s12, s16, 0x7fffffff
	s_cmp_gt_u32 s12, 0x477fffff
	s_cbranch_scc1 .LBB79_697
; %bb.690:
	s_cmp_gt_u32 s12, 0x37ffffff
	s_cbranch_scc0 .LBB79_692
; %bb.691:
	s_bfe_u32 s12, s16, 0x10015
	s_add_i32 s12, s16, s12
	s_add_i32 s12, s12, 0x88fffff
	s_lshr_b32 s17, s12, 21
	s_mov_b64 s[14:15], 0
	s_mov_b64 s[12:13], -1
	s_branch .LBB79_693
.LBB79_692:
	s_mov_b64 s[14:15], -1
	s_mov_b64 s[12:13], 0
                                        ; implicit-def: $sgpr17
.LBB79_693:
	s_andn2_b64 vcc, exec, s[14:15]
	v_mov_b32_e32 v1, s17
                                        ; implicit-def: $sgpr14
	s_cbranch_vccnz .LBB79_695
; %bb.694:
	v_mov_b32_e32 v1, 0x42800000
	v_add_f32_e64 v1, |s16|, v1
	v_and_b32_e32 v1, 0xff, v1
	s_mov_b32 s14, 0
	v_cmp_ne_u32_e64 s[12:13], 0, v1
.LBB79_695:
	s_andn2_b64 vcc, exec, s[12:13]
	v_mov_b32_e32 v3, s14
	s_cbranch_vccnz .LBB79_697
; %bb.696:
	s_lshr_b32 s12, s16, 24
	s_and_b32 s12, s12, 0x80
	v_or_b32_e32 v3, s12, v1
.LBB79_697:
	s_mov_b64 s[12:13], 0
	global_store_byte v[4:5], v3, off
.LBB79_698:
	s_and_b64 vcc, exec, s[12:13]
	s_cbranch_vccz .LBB79_710
; %bb.699:
	v_cvt_f32_f16_e32 v1, s2
	v_readfirstlane_b32 s14, v1
	s_and_b32 s15, s14, 0x7fffffff
	s_cmp_lt_u32 s15, 0x43f00000
	s_cbranch_scc0 .LBB79_702
; %bb.700:
	s_cmp_gt_u32 s15, 0x3c7fffff
	s_cbranch_scc0 .LBB79_703
; %bb.701:
	s_bfe_u32 s12, s14, 0x10014
	s_add_i32 s12, s14, s12
	s_add_i32 s12, s12, 0x407ffff
	s_lshr_b32 s13, s12, 20
	s_and_b32 s12, s12, 0xff00000
	s_cmp_lg_u32 s12, 0x7f00000
	s_cselect_b32 s16, s13, 0x7e
	s_mov_b64 s[12:13], 0
	s_branch .LBB79_704
.LBB79_702:
	s_mov_b64 s[12:13], -1
                                        ; implicit-def: $vgpr3
	s_branch .LBB79_707
.LBB79_703:
	s_mov_b64 s[12:13], -1
                                        ; implicit-def: $sgpr16
.LBB79_704:
	s_andn2_b64 vcc, exec, s[12:13]
	v_mov_b32_e32 v3, s16
	s_cbranch_vccnz .LBB79_706
; %bb.705:
	s_mov_b32 s12, 0x46800000
	v_add_f32_e64 v3, |v1|, s12
.LBB79_706:
	s_mov_b64 s[12:13], 0
.LBB79_707:
	s_andn2_b64 vcc, exec, s[12:13]
	s_cbranch_vccnz .LBB79_709
; %bb.708:
	s_cmp_gt_u32 s15, 0x7f800000
	s_movk_i32 s12, 0x7f
	s_cselect_b32 s12, s12, 0x7e
	v_mov_b32_e32 v3, s12
.LBB79_709:
	s_lshr_b32 s12, s14, 24
	s_and_b32 s12, s12, 0x80
	v_or_b32_e32 v1, s12, v3
	global_store_byte v[4:5], v1, off
.LBB79_710:
	s_mov_b64 s[12:13], 0
.LBB79_711:
	s_andn2_b64 vcc, exec, s[12:13]
	s_cbranch_vccnz .LBB79_723
; %bb.712:
	v_cvt_f32_f16_e32 v1, s2
	v_readfirstlane_b32 s14, v1
	s_and_b32 s15, s14, 0x7fffffff
	s_cmp_lt_u32 s15, 0x47800000
	s_cbranch_scc0 .LBB79_715
; %bb.713:
	s_cmp_gt_u32 s15, 0x387fffff
	s_cbranch_scc0 .LBB79_716
; %bb.714:
	s_bfe_u32 s12, s14, 0x10015
	s_add_i32 s12, s14, s12
	s_add_i32 s12, s12, 0x80fffff
	s_lshr_b32 s16, s12, 21
	s_mov_b64 s[12:13], 0
	s_branch .LBB79_717
.LBB79_715:
	s_mov_b64 s[12:13], -1
                                        ; implicit-def: $vgpr3
	s_branch .LBB79_720
.LBB79_716:
	s_mov_b64 s[12:13], -1
                                        ; implicit-def: $sgpr16
.LBB79_717:
	s_andn2_b64 vcc, exec, s[12:13]
	v_mov_b32_e32 v3, s16
	s_cbranch_vccnz .LBB79_719
; %bb.718:
	s_mov_b32 s12, 0x43000000
	v_add_f32_e64 v3, |v1|, s12
.LBB79_719:
	s_mov_b64 s[12:13], 0
.LBB79_720:
	s_andn2_b64 vcc, exec, s[12:13]
	s_cbranch_vccnz .LBB79_722
; %bb.721:
	s_cmp_gt_u32 s15, 0x7f800000
	s_movk_i32 s12, 0x7f
	s_cselect_b32 s12, s12, 0x7c
	v_mov_b32_e32 v3, s12
.LBB79_722:
	s_lshr_b32 s12, s14, 24
	s_and_b32 s12, s12, 0x80
	v_or_b32_e32 v1, s12, v3
	global_store_byte v[4:5], v1, off
.LBB79_723:
	s_mov_b64 s[12:13], 0
	s_mov_b64 s[14:15], -1
.LBB79_724:
	s_andn2_b64 vcc, exec, s[12:13]
	s_mov_b64 s[12:13], 0
	s_cbranch_vccnz .LBB79_731
; %bb.725:
	v_cmp_gt_i16_e64 s[12:13], s3, 14
	s_mov_b64 s[16:17], -1
	s_and_b64 vcc, exec, s[12:13]
	s_cbranch_vccz .LBB79_729
; %bb.726:
	v_cmp_eq_u16_e64 s[12:13], s3, 15
	s_mov_b64 s[10:11], -1
	s_and_b64 vcc, exec, s[12:13]
	s_cbranch_vccz .LBB79_728
; %bb.727:
	v_cvt_f32_f16_e32 v1, s2
	v_mov_b32_e32 v3, 0x7fc0
	v_cmp_o_f16_e64 vcc, s2, s2
	s_mov_b64 s[10:11], 0
	v_bfe_u32 v6, v1, 16, 1
	v_add_u32_e32 v1, v1, v6
	v_add_u32_e32 v1, 0x7fff, v1
	v_lshrrev_b32_e32 v1, 16, v1
	v_cndmask_b32_e32 v1, v3, v1, vcc
	global_store_short v[4:5], v1, off
	s_mov_b64 s[14:15], -1
.LBB79_728:
	s_mov_b64 s[16:17], 0
.LBB79_729:
	s_mov_b64 s[12:13], 0
	s_and_b64 vcc, exec, s[16:17]
	s_cbranch_vccz .LBB79_731
; %bb.730:
	v_cmp_ne_u16_e64 s[10:11], s3, 11
	s_mov_b64 s[12:13], -1
.LBB79_731:
	s_and_b64 vcc, exec, s[10:11]
	s_cbranch_vccnz .LBB79_794
; %bb.732:
	s_andn2_b64 vcc, exec, s[12:13]
	s_cbranch_vccnz .LBB79_734
.LBB79_733:
	s_and_b32 s10, s2, 0x7fff7fff
	s_cmp_lg_u32 s10, 0
	s_cselect_b64 s[10:11], -1, 0
	v_cndmask_b32_e64 v1, 0, 1, s[10:11]
	s_mov_b64 s[14:15], -1
	global_store_byte v[4:5], v1, off
.LBB79_734:
	s_branch .LBB79_651
.LBB79_735:
	v_cmp_lt_i16_e64 s[12:13], s3, 5
	s_mov_b64 s[10:11], -1
	s_and_b64 vcc, exec, s[12:13]
	s_cbranch_vccnz .LBB79_756
; %bb.736:
	v_cmp_lt_i16_e64 s[12:13], s3, 8
	s_and_b64 vcc, exec, s[12:13]
	s_cbranch_vccnz .LBB79_746
; %bb.737:
	v_cmp_lt_i16_e64 s[12:13], s3, 9
	s_and_b64 vcc, exec, s[12:13]
	s_cbranch_vccnz .LBB79_743
; %bb.738:
	v_cmp_gt_i16_e64 s[12:13], s3, 9
	s_and_b64 vcc, exec, s[12:13]
	s_cbranch_vccz .LBB79_740
; %bb.739:
	s_lshr_b32 s10, s2, 16
	v_cvt_f32_f16_e32 v1, s2
	v_cvt_f32_f16_e32 v3, s10
	s_mov_b64 s[10:11], 0
	v_cvt_f64_f32_e32 v[6:7], v1
	v_cvt_f64_f32_e32 v[8:9], v3
	global_store_dwordx4 v[4:5], v[6:9], off
.LBB79_740:
	s_andn2_b64 vcc, exec, s[10:11]
	s_cbranch_vccnz .LBB79_742
; %bb.741:
	s_lshr_b32 s10, s2, 16
	v_cvt_f32_f16_e32 v7, s10
	v_cvt_f32_f16_e32 v6, s2
	global_store_dwordx2 v[4:5], v[6:7], off
.LBB79_742:
	s_mov_b64 s[10:11], 0
.LBB79_743:
	s_andn2_b64 vcc, exec, s[10:11]
	s_cbranch_vccnz .LBB79_745
; %bb.744:
	v_mov_b32_e32 v1, s2
	global_store_dword v[4:5], v1, off
.LBB79_745:
	s_mov_b64 s[10:11], 0
.LBB79_746:
	s_andn2_b64 vcc, exec, s[10:11]
	s_cbranch_vccnz .LBB79_755
; %bb.747:
	v_cmp_lt_i16_e64 s[12:13], s3, 6
	s_mov_b64 s[10:11], -1
	s_and_b64 vcc, exec, s[12:13]
	s_cbranch_vccnz .LBB79_753
; %bb.748:
	v_cmp_gt_i16_e64 s[12:13], s3, 6
	s_and_b64 vcc, exec, s[12:13]
	s_cbranch_vccz .LBB79_750
; %bb.749:
	v_cvt_f32_f16_e32 v1, s2
	s_mov_b64 s[10:11], 0
	v_cvt_f64_f32_e32 v[6:7], v1
	global_store_dwordx2 v[4:5], v[6:7], off
.LBB79_750:
	s_andn2_b64 vcc, exec, s[10:11]
	s_cbranch_vccnz .LBB79_752
; %bb.751:
	v_cvt_f32_f16_e32 v1, s2
	global_store_dword v[4:5], v1, off
.LBB79_752:
	s_mov_b64 s[10:11], 0
.LBB79_753:
	s_andn2_b64 vcc, exec, s[10:11]
	s_cbranch_vccnz .LBB79_755
; %bb.754:
	v_mov_b32_e32 v1, s2
	global_store_short v[4:5], v1, off
.LBB79_755:
	s_mov_b64 s[10:11], 0
.LBB79_756:
	s_andn2_b64 vcc, exec, s[10:11]
	s_cbranch_vccnz .LBB79_772
; %bb.757:
	v_cmp_lt_i16_e64 s[12:13], s3, 2
	s_mov_b64 s[10:11], -1
	s_and_b64 vcc, exec, s[12:13]
	s_cbranch_vccnz .LBB79_767
; %bb.758:
	v_cmp_lt_i16_e64 s[12:13], s3, 3
	s_and_b64 vcc, exec, s[12:13]
	s_cbranch_vccnz .LBB79_764
; %bb.759:
	v_cmp_gt_i16_e64 s[12:13], s3, 3
	s_and_b64 vcc, exec, s[12:13]
	s_cbranch_vccz .LBB79_761
; %bb.760:
	v_cvt_f32_f16_e32 v1, s2
	s_mov_b64 s[10:11], 0
	v_cvt_i32_f32_e32 v6, v1
	v_ashrrev_i32_e32 v7, 31, v6
	global_store_dwordx2 v[4:5], v[6:7], off
.LBB79_761:
	s_andn2_b64 vcc, exec, s[10:11]
	s_cbranch_vccnz .LBB79_763
; %bb.762:
	v_cvt_f32_f16_e32 v1, s2
	v_cvt_i32_f32_e32 v1, v1
	global_store_dword v[4:5], v1, off
.LBB79_763:
	s_mov_b64 s[10:11], 0
.LBB79_764:
	s_andn2_b64 vcc, exec, s[10:11]
	s_cbranch_vccnz .LBB79_766
; %bb.765:
	v_cvt_i16_f16_e32 v1, s2
	global_store_short v[4:5], v1, off
.LBB79_766:
	s_mov_b64 s[10:11], 0
.LBB79_767:
	s_andn2_b64 vcc, exec, s[10:11]
	s_cbranch_vccnz .LBB79_772
; %bb.768:
	v_cmp_gt_i16_e64 s[12:13], s3, 0
	s_mov_b64 s[10:11], -1
	s_and_b64 vcc, exec, s[12:13]
	s_cbranch_vccz .LBB79_770
; %bb.769:
	v_cvt_i16_f16_e32 v1, s2
	global_store_byte v[4:5], v1, off
	s_mov_b64 s[10:11], 0
.LBB79_770:
	s_andn2_b64 vcc, exec, s[10:11]
	s_cbranch_vccnz .LBB79_772
; %bb.771:
	v_cvt_f32_f16_e32 v1, s2
	v_cvt_i32_f32_e32 v1, v1
	global_store_byte v[4:5], v1, off
.LBB79_772:
.LBB79_773:
	v_mov_b32_e32 v1, s1
	v_add_co_u32_e32 v2, vcc, s0, v2
	v_addc_co_u32_e32 v3, vcc, 0, v1, vcc
	s_and_b64 vcc, exec, s[8:9]
	s_cbranch_vccnz .LBB79_780
; %bb.774:
	v_cmp_gt_i16_e64 s[10:11], s3, 25
	s_mov_b64 s[16:17], -1
	s_mov_b64 s[12:13], 0
	s_and_b64 vcc, exec, s[10:11]
	s_mov_b64 s[14:15], 0
	s_mov_b64 s[10:11], 0
	s_cbranch_vccz .LBB79_848
; %bb.775:
	v_cmp_gt_i16_e64 s[10:11], s3, 28
	s_and_b64 vcc, exec, s[10:11]
	s_cbranch_vccz .LBB79_791
; %bb.776:
	v_cmp_gt_i16_e64 s[10:11], s3, 43
	s_and_b64 vcc, exec, s[10:11]
	;; [unrolled: 4-line block ×3, first 2 shown]
	s_cbranch_vccz .LBB79_795
; %bb.778:
	v_cmp_eq_u16_e64 s[14:15], s3, 46
	s_mov_b64 s[10:11], -1
	s_mov_b64 s[16:17], 0
	s_and_b64 vcc, exec, s[14:15]
	s_mov_b64 s[14:15], 0
	s_cbranch_vccz .LBB79_796
; %bb.779:
	s_lshr_b32 s10, s2, 16
	v_cvt_f32_f16_e32 v4, s10
	v_cvt_f32_f16_e32 v1, s2
	v_cmp_o_f16_e64 vcc, s10, s10
	s_mov_b64 s[10:11], 0
	v_bfe_u32 v6, v4, 16, 1
	v_bfe_u32 v5, v1, 16, 1
	v_add_u32_e32 v4, v4, v6
	v_add_u32_e32 v1, v1, v5
	;; [unrolled: 1-line block ×4, first 2 shown]
	v_and_b32_e32 v4, 0xffff0000, v4
	v_mov_b32_e32 v5, 0x7fc00000
	v_lshrrev_b32_e32 v1, 16, v1
	v_cndmask_b32_e32 v4, v5, v4, vcc
	v_mov_b32_e32 v5, 0x7fc0
	v_cmp_o_f16_e64 vcc, s2, s2
	v_cndmask_b32_e32 v1, v5, v1, vcc
	v_or_b32_e32 v1, v4, v1
	global_store_dword v[2:3], v1, off
	s_mov_b64 s[14:15], -1
	s_branch .LBB79_796
.LBB79_780:
	s_mov_b64 s[14:15], 0
	s_cbranch_execnz .LBB79_912
.LBB79_781:
	s_andn2_b64 vcc, exec, s[14:15]
	s_cbranch_vccnz .LBB79_950
.LBB79_782:
	v_mov_b32_e32 v1, s1
	v_add_co_u32_e32 v0, vcc, s0, v0
	v_addc_co_u32_e32 v1, vcc, 0, v1, vcc
	s_and_b64 vcc, exec, s[8:9]
	s_cbranch_vccnz .LBB79_790
; %bb.783:
	v_cmp_gt_i16_e64 s[0:1], s3, 25
	s_mov_b64 s[10:11], -1
	s_mov_b64 s[8:9], 0
	s_and_b64 vcc, exec, s[0:1]
	s_mov_b64 s[0:1], 0
	s_cbranch_vccz .LBB79_862
; %bb.784:
	v_cmp_gt_i16_e64 s[0:1], s3, 28
	s_and_b64 vcc, exec, s[0:1]
	s_cbranch_vccz .LBB79_793
; %bb.785:
	v_cmp_gt_i16_e64 s[0:1], s3, 43
	s_and_b64 vcc, exec, s[0:1]
	;; [unrolled: 4-line block ×3, first 2 shown]
	s_cbranch_vccz .LBB79_818
; %bb.787:
	v_cmp_eq_u16_e64 s[10:11], s3, 46
	s_mov_b64 s[0:1], -1
	s_and_b64 vcc, exec, s[10:11]
	s_cbranch_vccz .LBB79_789
; %bb.788:
	s_lshr_b32 s0, s2, 16
	v_cvt_f32_f16_e32 v3, s0
	v_cvt_f32_f16_e32 v2, s2
	v_cmp_o_f16_e64 vcc, s0, s0
	s_mov_b64 s[0:1], 0
	v_bfe_u32 v5, v3, 16, 1
	v_bfe_u32 v4, v2, 16, 1
	v_add_u32_e32 v3, v3, v5
	v_add_u32_e32 v2, v2, v4
	;; [unrolled: 1-line block ×4, first 2 shown]
	v_and_b32_e32 v3, 0xffff0000, v3
	v_mov_b32_e32 v4, 0x7fc00000
	v_lshrrev_b32_e32 v2, 16, v2
	v_cndmask_b32_e32 v3, v4, v3, vcc
	v_mov_b32_e32 v4, 0x7fc0
	v_cmp_o_f16_e64 vcc, s2, s2
	v_cndmask_b32_e32 v2, v4, v2, vcc
	v_or_b32_e32 v2, v3, v2
	global_store_dword v[0:1], v2, off
.LBB79_789:
	s_mov_b64 s[10:11], 0
	s_branch .LBB79_819
.LBB79_790:
	s_mov_b64 s[8:9], 0
	s_mov_b64 s[0:1], -1
	s_branch .LBB79_951
.LBB79_791:
	s_mov_b64 s[10:11], 0
	s_branch .LBB79_806
.LBB79_792:
	s_mov_b64 s[10:11], 0
	s_branch .LBB79_802
.LBB79_793:
	s_mov_b64 s[0:1], 0
	s_branch .LBB79_829
.LBB79_794:
	s_trap 2
	s_or_b64 s[4:5], s[4:5], exec
	s_cbranch_execz .LBB79_733
	s_branch .LBB79_734
.LBB79_795:
	s_mov_b64 s[10:11], 0
.LBB79_796:
	s_and_b64 vcc, exec, s[16:17]
	s_cbranch_vccz .LBB79_801
; %bb.797:
	v_cmp_eq_u16_e64 s[16:17], s3, 44
	s_mov_b64 s[10:11], -1
	s_and_b64 vcc, exec, s[16:17]
	s_cbranch_vccz .LBB79_801
; %bb.798:
	v_cvt_f32_f16_e32 v1, s2
	v_mov_b32_e32 v4, 0xff
	v_readfirstlane_b32 s10, v1
	s_bfe_u32 s11, s10, 0x80017
	s_cmpk_eq_i32 s11, 0xff
	s_cbranch_scc1 .LBB79_800
; %bb.799:
	s_bitcmp1_b32 s10, 22
	s_cselect_b64 s[14:15], -1, 0
	s_and_b32 s10, s10, 0x3fffff
	s_or_b32 s10, s11, s10
	s_cmp_lg_u32 s10, 0
	s_cselect_b64 s[10:11], -1, 0
	s_and_b64 s[10:11], s[14:15], s[10:11]
	v_lshrrev_b32_e32 v1, 23, v1
	v_cndmask_b32_e64 v4, 0, 1, s[10:11]
	v_add_u32_e32 v4, v1, v4
.LBB79_800:
	s_mov_b64 s[10:11], 0
	s_mov_b64 s[14:15], -1
	global_store_byte v[2:3], v4, off
.LBB79_801:
	s_mov_b64 s[16:17], 0
.LBB79_802:
	s_and_b64 vcc, exec, s[16:17]
	s_cbranch_vccz .LBB79_805
; %bb.803:
	v_cmp_eq_u16_e64 s[16:17], s3, 29
	s_mov_b64 s[10:11], -1
	s_and_b64 vcc, exec, s[16:17]
	s_cbranch_vccz .LBB79_805
; %bb.804:
	v_cvt_f32_f16_e32 v1, s2
	v_mov_b32_e32 v5, 0
	s_mov_b64 s[10:11], 0
	s_mov_b64 s[14:15], -1
	v_cvt_u32_f32_e32 v4, v1
	s_mov_b64 s[16:17], 0
	global_store_dwordx2 v[2:3], v[4:5], off
	s_branch .LBB79_806
.LBB79_805:
	s_mov_b64 s[16:17], 0
.LBB79_806:
	s_and_b64 vcc, exec, s[16:17]
	s_cbranch_vccz .LBB79_847
; %bb.807:
	v_cmp_lt_i16_e64 s[16:17], s3, 27
	s_mov_b64 s[14:15], -1
	s_and_b64 vcc, exec, s[16:17]
	s_cbranch_vccnz .LBB79_813
; %bb.808:
	v_cmp_gt_i16_e64 s[16:17], s3, 27
	s_and_b64 vcc, exec, s[16:17]
	s_cbranch_vccz .LBB79_810
; %bb.809:
	v_cvt_f32_f16_e32 v1, s2
	s_mov_b64 s[14:15], 0
	v_cvt_u32_f32_e32 v1, v1
	global_store_dword v[2:3], v1, off
.LBB79_810:
	s_andn2_b64 vcc, exec, s[14:15]
	s_cbranch_vccnz .LBB79_812
; %bb.811:
	v_cvt_u16_f16_e32 v1, s2
	global_store_short v[2:3], v1, off
.LBB79_812:
	s_mov_b64 s[14:15], 0
.LBB79_813:
	s_andn2_b64 vcc, exec, s[14:15]
	s_cbranch_vccnz .LBB79_846
; %bb.814:
	v_cvt_f32_f16_e32 v1, s2
	v_mov_b32_e32 v4, 0x80
	v_readfirstlane_b32 s18, v1
	s_and_b32 s14, s18, 0x7fffffff
	s_cmp_gt_u32 s14, 0x437fffff
	s_cbranch_scc1 .LBB79_845
; %bb.815:
	s_cmp_gt_u32 s14, 0x3bffffff
	s_cbranch_scc0 .LBB79_840
; %bb.816:
	s_bfe_u32 s14, s18, 0x10014
	s_add_i32 s14, s18, s14
	s_add_i32 s14, s14, 0x487ffff
	s_lshr_b32 s19, s14, 20
	s_mov_b64 s[16:17], 0
	s_mov_b64 s[14:15], -1
	s_branch .LBB79_841
.LBB79_817:
	s_mov_b64 s[0:1], 0
	s_branch .LBB79_825
.LBB79_818:
	s_mov_b64 s[0:1], 0
.LBB79_819:
	s_and_b64 vcc, exec, s[10:11]
	s_cbranch_vccz .LBB79_824
; %bb.820:
	v_cmp_eq_u16_e64 s[10:11], s3, 44
	s_mov_b64 s[0:1], -1
	s_and_b64 vcc, exec, s[10:11]
	s_cbranch_vccz .LBB79_824
; %bb.821:
	v_cvt_f32_f16_e32 v2, s2
	v_mov_b32_e32 v3, 0xff
	v_readfirstlane_b32 s0, v2
	s_bfe_u32 s1, s0, 0x80017
	s_cmpk_eq_i32 s1, 0xff
	s_cbranch_scc1 .LBB79_823
; %bb.822:
	s_bitcmp1_b32 s0, 22
	s_cselect_b64 s[10:11], -1, 0
	s_and_b32 s0, s0, 0x3fffff
	s_or_b32 s0, s1, s0
	s_cmp_lg_u32 s0, 0
	s_cselect_b64 s[0:1], -1, 0
	s_and_b64 s[0:1], s[10:11], s[0:1]
	v_lshrrev_b32_e32 v2, 23, v2
	v_cndmask_b32_e64 v3, 0, 1, s[0:1]
	v_add_u32_e32 v3, v2, v3
.LBB79_823:
	s_mov_b64 s[0:1], 0
	global_store_byte v[0:1], v3, off
.LBB79_824:
	s_mov_b64 s[10:11], 0
.LBB79_825:
	s_and_b64 vcc, exec, s[10:11]
	s_cbranch_vccz .LBB79_828
; %bb.826:
	v_cmp_eq_u16_e64 s[10:11], s3, 29
	s_mov_b64 s[0:1], -1
	s_and_b64 vcc, exec, s[10:11]
	s_cbranch_vccz .LBB79_828
; %bb.827:
	v_cvt_f32_f16_e32 v2, s2
	v_mov_b32_e32 v3, 0
	s_mov_b64 s[0:1], 0
	v_cvt_u32_f32_e32 v2, v2
	global_store_dwordx2 v[0:1], v[2:3], off
.LBB79_828:
	s_mov_b64 s[10:11], 0
.LBB79_829:
	s_and_b64 vcc, exec, s[10:11]
	s_cbranch_vccz .LBB79_861
; %bb.830:
	v_cmp_lt_i16_e64 s[12:13], s3, 27
	s_mov_b64 s[10:11], -1
	s_and_b64 vcc, exec, s[12:13]
	s_cbranch_vccnz .LBB79_836
; %bb.831:
	v_cmp_gt_i16_e64 s[12:13], s3, 27
	s_and_b64 vcc, exec, s[12:13]
	s_cbranch_vccz .LBB79_833
; %bb.832:
	v_cvt_f32_f16_e32 v2, s2
	s_mov_b64 s[10:11], 0
	v_cvt_u32_f32_e32 v2, v2
	global_store_dword v[0:1], v2, off
.LBB79_833:
	s_andn2_b64 vcc, exec, s[10:11]
	s_cbranch_vccnz .LBB79_835
; %bb.834:
	v_cvt_u16_f16_e32 v2, s2
	global_store_short v[0:1], v2, off
.LBB79_835:
	s_mov_b64 s[10:11], 0
.LBB79_836:
	s_andn2_b64 vcc, exec, s[10:11]
	s_cbranch_vccnz .LBB79_861
; %bb.837:
	v_cvt_f32_f16_e32 v2, s2
	v_mov_b32_e32 v3, 0x80
	v_readfirstlane_b32 s14, v2
	s_and_b32 s10, s14, 0x7fffffff
	s_cmp_gt_u32 s10, 0x437fffff
	s_cbranch_scc1 .LBB79_860
; %bb.838:
	s_cmp_gt_u32 s10, 0x3bffffff
	s_cbranch_scc0 .LBB79_855
; %bb.839:
	s_bfe_u32 s10, s14, 0x10014
	s_add_i32 s10, s14, s10
	s_add_i32 s10, s10, 0x487ffff
	s_lshr_b32 s15, s10, 20
	s_mov_b64 s[12:13], 0
	s_mov_b64 s[10:11], -1
	s_branch .LBB79_856
.LBB79_840:
	s_mov_b64 s[16:17], -1
	s_mov_b64 s[14:15], 0
                                        ; implicit-def: $sgpr19
.LBB79_841:
	s_andn2_b64 vcc, exec, s[16:17]
	v_mov_b32_e32 v1, s19
                                        ; implicit-def: $sgpr16
	s_cbranch_vccnz .LBB79_843
; %bb.842:
	v_mov_b32_e32 v1, 0x46000000
	v_add_f32_e64 v1, |s18|, v1
	v_and_b32_e32 v1, 0xff, v1
	s_mov_b32 s16, 0
	v_cmp_ne_u32_e64 s[14:15], 0, v1
.LBB79_843:
	s_andn2_b64 vcc, exec, s[14:15]
	v_mov_b32_e32 v4, s16
	s_cbranch_vccnz .LBB79_845
; %bb.844:
	s_lshr_b32 s14, s18, 24
	s_and_b32 s14, s14, 0x80
	v_or_b32_e32 v4, s14, v1
.LBB79_845:
	global_store_byte v[2:3], v4, off
.LBB79_846:
	s_mov_b64 s[14:15], -1
.LBB79_847:
	s_mov_b64 s[16:17], 0
.LBB79_848:
	s_and_b64 vcc, exec, s[16:17]
	s_cbranch_vccz .LBB79_908
; %bb.849:
	v_cmp_gt_i16_e64 s[16:17], s3, 22
	s_mov_b64 s[12:13], -1
	s_and_b64 vcc, exec, s[16:17]
	s_cbranch_vccz .LBB79_901
; %bb.850:
	v_cmp_lt_i16_e64 s[14:15], s3, 24
	s_and_b64 vcc, exec, s[14:15]
	s_cbranch_vccnz .LBB79_888
; %bb.851:
	v_cmp_gt_i16_e64 s[14:15], s3, 24
	s_and_b64 vcc, exec, s[14:15]
	s_cbranch_vccz .LBB79_875
; %bb.852:
	v_cvt_f32_f16_e32 v1, s2
	v_mov_b32_e32 v4, 0x80
	v_readfirstlane_b32 s16, v1
	s_and_b32 s12, s16, 0x7fffffff
	s_cmp_gt_u32 s12, 0x477fffff
	s_cbranch_scc1 .LBB79_874
; %bb.853:
	s_cmp_gt_u32 s12, 0x37ffffff
	s_cbranch_scc0 .LBB79_869
; %bb.854:
	s_bfe_u32 s12, s16, 0x10015
	s_add_i32 s12, s16, s12
	s_add_i32 s12, s12, 0x88fffff
	s_lshr_b32 s17, s12, 21
	s_mov_b64 s[14:15], 0
	s_mov_b64 s[12:13], -1
	s_branch .LBB79_870
.LBB79_855:
	s_mov_b64 s[12:13], -1
	s_mov_b64 s[10:11], 0
                                        ; implicit-def: $sgpr15
.LBB79_856:
	s_andn2_b64 vcc, exec, s[12:13]
	v_mov_b32_e32 v2, s15
                                        ; implicit-def: $sgpr12
	s_cbranch_vccnz .LBB79_858
; %bb.857:
	v_mov_b32_e32 v2, 0x46000000
	v_add_f32_e64 v2, |s14|, v2
	v_and_b32_e32 v2, 0xff, v2
	s_mov_b32 s12, 0
	v_cmp_ne_u32_e64 s[10:11], 0, v2
.LBB79_858:
	s_andn2_b64 vcc, exec, s[10:11]
	v_mov_b32_e32 v3, s12
	s_cbranch_vccnz .LBB79_860
; %bb.859:
	s_lshr_b32 s10, s14, 24
	s_and_b32 s10, s10, 0x80
	v_or_b32_e32 v3, s10, v2
.LBB79_860:
	global_store_byte v[0:1], v3, off
.LBB79_861:
	s_mov_b64 s[10:11], 0
.LBB79_862:
	s_and_b64 vcc, exec, s[10:11]
	s_cbranch_vccz .LBB79_1035
; %bb.863:
	v_cmp_gt_i16_e64 s[10:11], s3, 22
	s_mov_b64 s[8:9], -1
	s_and_b64 vcc, exec, s[10:11]
	s_cbranch_vccz .LBB79_1028
; %bb.864:
	v_cmp_lt_i16_e64 s[10:11], s3, 24
	s_and_b64 vcc, exec, s[10:11]
	s_cbranch_vccnz .LBB79_1015
; %bb.865:
	v_cmp_gt_i16_e64 s[10:11], s3, 24
	s_and_b64 vcc, exec, s[10:11]
	s_cbranch_vccz .LBB79_1002
; %bb.866:
	v_cvt_f32_f16_e32 v2, s2
	v_mov_b32_e32 v3, 0x80
	v_readfirstlane_b32 s12, v2
	s_and_b32 s8, s12, 0x7fffffff
	s_cmp_gt_u32 s8, 0x477fffff
	s_cbranch_scc1 .LBB79_1001
; %bb.867:
	s_cmp_gt_u32 s8, 0x37ffffff
	s_cbranch_scc0 .LBB79_996
; %bb.868:
	s_bfe_u32 s8, s12, 0x10015
	s_add_i32 s8, s12, s8
	s_add_i32 s8, s8, 0x88fffff
	s_lshr_b32 s13, s8, 21
	s_mov_b64 s[10:11], 0
	s_mov_b64 s[8:9], -1
	s_branch .LBB79_997
.LBB79_869:
	s_mov_b64 s[14:15], -1
	s_mov_b64 s[12:13], 0
                                        ; implicit-def: $sgpr17
.LBB79_870:
	s_andn2_b64 vcc, exec, s[14:15]
	v_mov_b32_e32 v1, s17
                                        ; implicit-def: $sgpr14
	s_cbranch_vccnz .LBB79_872
; %bb.871:
	v_mov_b32_e32 v1, 0x42800000
	v_add_f32_e64 v1, |s16|, v1
	v_and_b32_e32 v1, 0xff, v1
	s_mov_b32 s14, 0
	v_cmp_ne_u32_e64 s[12:13], 0, v1
.LBB79_872:
	s_andn2_b64 vcc, exec, s[12:13]
	v_mov_b32_e32 v4, s14
	s_cbranch_vccnz .LBB79_874
; %bb.873:
	s_lshr_b32 s12, s16, 24
	s_and_b32 s12, s12, 0x80
	v_or_b32_e32 v4, s12, v1
.LBB79_874:
	s_mov_b64 s[12:13], 0
	global_store_byte v[2:3], v4, off
.LBB79_875:
	s_and_b64 vcc, exec, s[12:13]
	s_cbranch_vccz .LBB79_887
; %bb.876:
	v_cvt_f32_f16_e32 v1, s2
	v_readfirstlane_b32 s14, v1
	s_and_b32 s15, s14, 0x7fffffff
	s_cmp_lt_u32 s15, 0x43f00000
	s_cbranch_scc0 .LBB79_879
; %bb.877:
	s_cmp_gt_u32 s15, 0x3c7fffff
	s_cbranch_scc0 .LBB79_880
; %bb.878:
	s_bfe_u32 s12, s14, 0x10014
	s_add_i32 s12, s14, s12
	s_add_i32 s12, s12, 0x407ffff
	s_lshr_b32 s13, s12, 20
	s_and_b32 s12, s12, 0xff00000
	s_cmp_lg_u32 s12, 0x7f00000
	s_cselect_b32 s16, s13, 0x7e
	s_mov_b64 s[12:13], 0
	s_branch .LBB79_881
.LBB79_879:
	s_mov_b64 s[12:13], -1
                                        ; implicit-def: $vgpr4
	s_branch .LBB79_884
.LBB79_880:
	s_mov_b64 s[12:13], -1
                                        ; implicit-def: $sgpr16
.LBB79_881:
	s_andn2_b64 vcc, exec, s[12:13]
	v_mov_b32_e32 v4, s16
	s_cbranch_vccnz .LBB79_883
; %bb.882:
	s_mov_b32 s12, 0x46800000
	v_add_f32_e64 v4, |v1|, s12
.LBB79_883:
	s_mov_b64 s[12:13], 0
.LBB79_884:
	s_andn2_b64 vcc, exec, s[12:13]
	s_cbranch_vccnz .LBB79_886
; %bb.885:
	s_cmp_gt_u32 s15, 0x7f800000
	s_movk_i32 s12, 0x7f
	s_cselect_b32 s12, s12, 0x7e
	v_mov_b32_e32 v4, s12
.LBB79_886:
	s_lshr_b32 s12, s14, 24
	s_and_b32 s12, s12, 0x80
	v_or_b32_e32 v1, s12, v4
	global_store_byte v[2:3], v1, off
.LBB79_887:
	s_mov_b64 s[12:13], 0
.LBB79_888:
	s_andn2_b64 vcc, exec, s[12:13]
	s_cbranch_vccnz .LBB79_900
; %bb.889:
	v_cvt_f32_f16_e32 v1, s2
	v_readfirstlane_b32 s14, v1
	s_and_b32 s15, s14, 0x7fffffff
	s_cmp_lt_u32 s15, 0x47800000
	s_cbranch_scc0 .LBB79_892
; %bb.890:
	s_cmp_gt_u32 s15, 0x387fffff
	s_cbranch_scc0 .LBB79_893
; %bb.891:
	s_bfe_u32 s12, s14, 0x10015
	s_add_i32 s12, s14, s12
	s_add_i32 s12, s12, 0x80fffff
	s_lshr_b32 s16, s12, 21
	s_mov_b64 s[12:13], 0
	s_branch .LBB79_894
.LBB79_892:
	s_mov_b64 s[12:13], -1
                                        ; implicit-def: $vgpr4
	s_branch .LBB79_897
.LBB79_893:
	s_mov_b64 s[12:13], -1
                                        ; implicit-def: $sgpr16
.LBB79_894:
	s_andn2_b64 vcc, exec, s[12:13]
	v_mov_b32_e32 v4, s16
	s_cbranch_vccnz .LBB79_896
; %bb.895:
	s_mov_b32 s12, 0x43000000
	v_add_f32_e64 v4, |v1|, s12
.LBB79_896:
	s_mov_b64 s[12:13], 0
.LBB79_897:
	s_andn2_b64 vcc, exec, s[12:13]
	s_cbranch_vccnz .LBB79_899
; %bb.898:
	s_cmp_gt_u32 s15, 0x7f800000
	s_movk_i32 s12, 0x7f
	s_cselect_b32 s12, s12, 0x7c
	v_mov_b32_e32 v4, s12
.LBB79_899:
	s_lshr_b32 s12, s14, 24
	s_and_b32 s12, s12, 0x80
	v_or_b32_e32 v1, s12, v4
	global_store_byte v[2:3], v1, off
.LBB79_900:
	s_mov_b64 s[12:13], 0
	s_mov_b64 s[14:15], -1
.LBB79_901:
	s_andn2_b64 vcc, exec, s[12:13]
	s_mov_b64 s[12:13], 0
	s_cbranch_vccnz .LBB79_908
; %bb.902:
	v_cmp_gt_i16_e64 s[12:13], s3, 14
	s_mov_b64 s[16:17], -1
	s_and_b64 vcc, exec, s[12:13]
	s_cbranch_vccz .LBB79_906
; %bb.903:
	v_cmp_eq_u16_e64 s[12:13], s3, 15
	s_mov_b64 s[10:11], -1
	s_and_b64 vcc, exec, s[12:13]
	s_cbranch_vccz .LBB79_905
; %bb.904:
	v_cvt_f32_f16_e32 v1, s2
	v_mov_b32_e32 v4, 0x7fc0
	v_cmp_o_f16_e64 vcc, s2, s2
	s_mov_b64 s[10:11], 0
	v_bfe_u32 v5, v1, 16, 1
	v_add_u32_e32 v1, v1, v5
	v_add_u32_e32 v1, 0x7fff, v1
	v_lshrrev_b32_e32 v1, 16, v1
	v_cndmask_b32_e32 v1, v4, v1, vcc
	global_store_short v[2:3], v1, off
	s_mov_b64 s[14:15], -1
.LBB79_905:
	s_mov_b64 s[16:17], 0
.LBB79_906:
	s_mov_b64 s[12:13], 0
	s_and_b64 vcc, exec, s[16:17]
	s_cbranch_vccz .LBB79_908
; %bb.907:
	v_cmp_ne_u16_e64 s[10:11], s3, 11
	s_mov_b64 s[12:13], -1
.LBB79_908:
	s_and_b64 vcc, exec, s[10:11]
	s_cbranch_vccnz .LBB79_995
; %bb.909:
	s_andn2_b64 vcc, exec, s[12:13]
	s_cbranch_vccnz .LBB79_911
.LBB79_910:
	s_and_b32 s10, s2, 0x7fff7fff
	s_cmp_lg_u32 s10, 0
	s_cselect_b64 s[10:11], -1, 0
	v_cndmask_b32_e64 v1, 0, 1, s[10:11]
	s_mov_b64 s[14:15], -1
	global_store_byte v[2:3], v1, off
.LBB79_911:
	s_branch .LBB79_781
.LBB79_912:
	v_cmp_lt_i16_e64 s[12:13], s3, 5
	s_mov_b64 s[10:11], -1
	s_and_b64 vcc, exec, s[12:13]
	s_cbranch_vccnz .LBB79_933
; %bb.913:
	v_cmp_lt_i16_e64 s[12:13], s3, 8
	s_and_b64 vcc, exec, s[12:13]
	s_cbranch_vccnz .LBB79_923
; %bb.914:
	v_cmp_lt_i16_e64 s[12:13], s3, 9
	s_and_b64 vcc, exec, s[12:13]
	s_cbranch_vccnz .LBB79_920
; %bb.915:
	v_cmp_gt_i16_e64 s[12:13], s3, 9
	s_and_b64 vcc, exec, s[12:13]
	s_cbranch_vccz .LBB79_917
; %bb.916:
	s_lshr_b32 s10, s2, 16
	v_cvt_f32_f16_e32 v1, s2
	v_cvt_f32_f16_e32 v6, s10
	s_mov_b64 s[10:11], 0
	v_cvt_f64_f32_e32 v[4:5], v1
	v_cvt_f64_f32_e32 v[6:7], v6
	global_store_dwordx4 v[2:3], v[4:7], off
.LBB79_917:
	s_andn2_b64 vcc, exec, s[10:11]
	s_cbranch_vccnz .LBB79_919
; %bb.918:
	s_lshr_b32 s10, s2, 16
	v_cvt_f32_f16_e32 v5, s10
	v_cvt_f32_f16_e32 v4, s2
	global_store_dwordx2 v[2:3], v[4:5], off
.LBB79_919:
	s_mov_b64 s[10:11], 0
.LBB79_920:
	s_andn2_b64 vcc, exec, s[10:11]
	s_cbranch_vccnz .LBB79_922
; %bb.921:
	v_mov_b32_e32 v1, s2
	global_store_dword v[2:3], v1, off
.LBB79_922:
	s_mov_b64 s[10:11], 0
.LBB79_923:
	s_andn2_b64 vcc, exec, s[10:11]
	s_cbranch_vccnz .LBB79_932
; %bb.924:
	v_cmp_lt_i16_e64 s[12:13], s3, 6
	s_mov_b64 s[10:11], -1
	s_and_b64 vcc, exec, s[12:13]
	s_cbranch_vccnz .LBB79_930
; %bb.925:
	v_cmp_gt_i16_e64 s[12:13], s3, 6
	s_and_b64 vcc, exec, s[12:13]
	s_cbranch_vccz .LBB79_927
; %bb.926:
	v_cvt_f32_f16_e32 v1, s2
	s_mov_b64 s[10:11], 0
	v_cvt_f64_f32_e32 v[4:5], v1
	global_store_dwordx2 v[2:3], v[4:5], off
.LBB79_927:
	s_andn2_b64 vcc, exec, s[10:11]
	s_cbranch_vccnz .LBB79_929
; %bb.928:
	v_cvt_f32_f16_e32 v1, s2
	global_store_dword v[2:3], v1, off
.LBB79_929:
	s_mov_b64 s[10:11], 0
.LBB79_930:
	s_andn2_b64 vcc, exec, s[10:11]
	s_cbranch_vccnz .LBB79_932
; %bb.931:
	v_mov_b32_e32 v1, s2
	global_store_short v[2:3], v1, off
.LBB79_932:
	s_mov_b64 s[10:11], 0
.LBB79_933:
	s_andn2_b64 vcc, exec, s[10:11]
	s_cbranch_vccnz .LBB79_949
; %bb.934:
	v_cmp_lt_i16_e64 s[12:13], s3, 2
	s_mov_b64 s[10:11], -1
	s_and_b64 vcc, exec, s[12:13]
	s_cbranch_vccnz .LBB79_944
; %bb.935:
	v_cmp_lt_i16_e64 s[12:13], s3, 3
	s_and_b64 vcc, exec, s[12:13]
	s_cbranch_vccnz .LBB79_941
; %bb.936:
	v_cmp_gt_i16_e64 s[12:13], s3, 3
	s_and_b64 vcc, exec, s[12:13]
	s_cbranch_vccz .LBB79_938
; %bb.937:
	v_cvt_f32_f16_e32 v1, s2
	s_mov_b64 s[10:11], 0
	v_cvt_i32_f32_e32 v4, v1
	v_ashrrev_i32_e32 v5, 31, v4
	global_store_dwordx2 v[2:3], v[4:5], off
.LBB79_938:
	s_andn2_b64 vcc, exec, s[10:11]
	s_cbranch_vccnz .LBB79_940
; %bb.939:
	v_cvt_f32_f16_e32 v1, s2
	v_cvt_i32_f32_e32 v1, v1
	global_store_dword v[2:3], v1, off
.LBB79_940:
	s_mov_b64 s[10:11], 0
.LBB79_941:
	s_andn2_b64 vcc, exec, s[10:11]
	s_cbranch_vccnz .LBB79_943
; %bb.942:
	v_cvt_i16_f16_e32 v1, s2
	global_store_short v[2:3], v1, off
.LBB79_943:
	s_mov_b64 s[10:11], 0
.LBB79_944:
	s_andn2_b64 vcc, exec, s[10:11]
	s_cbranch_vccnz .LBB79_949
; %bb.945:
	v_cmp_gt_i16_e64 s[12:13], s3, 0
	s_mov_b64 s[10:11], -1
	s_and_b64 vcc, exec, s[12:13]
	s_cbranch_vccz .LBB79_947
; %bb.946:
	v_cvt_i16_f16_e32 v1, s2
	global_store_byte v[2:3], v1, off
	s_mov_b64 s[10:11], 0
.LBB79_947:
	s_andn2_b64 vcc, exec, s[10:11]
	s_cbranch_vccnz .LBB79_949
; %bb.948:
	v_cvt_f32_f16_e32 v1, s2
	v_cvt_i32_f32_e32 v1, v1
	global_store_byte v[2:3], v1, off
.LBB79_949:
	s_branch .LBB79_782
.LBB79_950:
	s_mov_b64 s[0:1], 0
	s_mov_b64 s[8:9], 0
                                        ; implicit-def: $sgpr3
                                        ; implicit-def: $vgpr0_vgpr1
.LBB79_951:
	s_andn2_b64 s[6:7], s[6:7], exec
	s_and_b64 s[4:5], s[4:5], exec
	s_and_b64 s[0:1], s[0:1], exec
	;; [unrolled: 1-line block ×3, first 2 shown]
	s_or_b64 s[6:7], s[6:7], s[4:5]
.LBB79_952:
	s_or_b64 exec, exec, s[24:25]
	s_and_saveexec_b64 s[4:5], s[6:7]
	s_cbranch_execz .LBB79_955
; %bb.953:
	; divergent unreachable
	s_or_b64 exec, exec, s[4:5]
	s_and_saveexec_b64 s[4:5], s[34:35]
	s_xor_b64 s[4:5], exec, s[4:5]
	s_cbranch_execnz .LBB79_956
.LBB79_954:
	s_or_b64 exec, exec, s[4:5]
	s_and_saveexec_b64 s[4:5], s[0:1]
	s_cbranch_execnz .LBB79_957
	s_branch .LBB79_994
.LBB79_955:
	s_or_b64 exec, exec, s[4:5]
	s_and_saveexec_b64 s[4:5], s[34:35]
	s_xor_b64 s[4:5], exec, s[4:5]
	s_cbranch_execz .LBB79_954
.LBB79_956:
	s_and_b32 s6, s2, 0x7fff7fff
	s_cmp_lg_u32 s6, 0
	s_cselect_b64 s[6:7], -1, 0
	v_cndmask_b32_e64 v2, 0, 1, s[6:7]
	global_store_byte v[0:1], v2, off
	s_or_b64 exec, exec, s[4:5]
	s_and_saveexec_b64 s[4:5], s[0:1]
	s_cbranch_execz .LBB79_994
.LBB79_957:
	v_cmp_lt_i16_e64 s[4:5], s3, 5
	s_mov_b64 s[0:1], -1
	s_and_b64 vcc, exec, s[4:5]
	s_cbranch_vccnz .LBB79_978
; %bb.958:
	v_cmp_lt_i16_e64 s[4:5], s3, 8
	s_and_b64 vcc, exec, s[4:5]
	s_cbranch_vccnz .LBB79_968
; %bb.959:
	v_cmp_lt_i16_e64 s[4:5], s3, 9
	s_and_b64 vcc, exec, s[4:5]
	s_cbranch_vccnz .LBB79_965
; %bb.960:
	v_cmp_gt_i16_e64 s[4:5], s3, 9
	s_and_b64 vcc, exec, s[4:5]
	s_cbranch_vccz .LBB79_962
; %bb.961:
	s_lshr_b32 s0, s2, 16
	v_cvt_f32_f16_e32 v2, s2
	v_cvt_f32_f16_e32 v4, s0
	s_mov_b64 s[0:1], 0
	v_cvt_f64_f32_e32 v[2:3], v2
	v_cvt_f64_f32_e32 v[4:5], v4
	global_store_dwordx4 v[0:1], v[2:5], off
.LBB79_962:
	s_andn2_b64 vcc, exec, s[0:1]
	s_cbranch_vccnz .LBB79_964
; %bb.963:
	s_lshr_b32 s0, s2, 16
	v_cvt_f32_f16_e32 v3, s0
	v_cvt_f32_f16_e32 v2, s2
	global_store_dwordx2 v[0:1], v[2:3], off
.LBB79_964:
	s_mov_b64 s[0:1], 0
.LBB79_965:
	s_andn2_b64 vcc, exec, s[0:1]
	s_cbranch_vccnz .LBB79_967
; %bb.966:
	v_mov_b32_e32 v2, s2
	global_store_dword v[0:1], v2, off
.LBB79_967:
	s_mov_b64 s[0:1], 0
.LBB79_968:
	s_andn2_b64 vcc, exec, s[0:1]
	s_cbranch_vccnz .LBB79_977
; %bb.969:
	v_cmp_lt_i16_e64 s[4:5], s3, 6
	s_mov_b64 s[0:1], -1
	s_and_b64 vcc, exec, s[4:5]
	s_cbranch_vccnz .LBB79_975
; %bb.970:
	v_cmp_gt_i16_e64 s[4:5], s3, 6
	s_and_b64 vcc, exec, s[4:5]
	s_cbranch_vccz .LBB79_972
; %bb.971:
	v_cvt_f32_f16_e32 v2, s2
	s_mov_b64 s[0:1], 0
	v_cvt_f64_f32_e32 v[2:3], v2
	global_store_dwordx2 v[0:1], v[2:3], off
.LBB79_972:
	s_andn2_b64 vcc, exec, s[0:1]
	s_cbranch_vccnz .LBB79_974
; %bb.973:
	v_cvt_f32_f16_e32 v2, s2
	global_store_dword v[0:1], v2, off
.LBB79_974:
	s_mov_b64 s[0:1], 0
.LBB79_975:
	s_andn2_b64 vcc, exec, s[0:1]
	s_cbranch_vccnz .LBB79_977
; %bb.976:
	v_mov_b32_e32 v2, s2
	global_store_short v[0:1], v2, off
.LBB79_977:
	s_mov_b64 s[0:1], 0
.LBB79_978:
	s_andn2_b64 vcc, exec, s[0:1]
	s_cbranch_vccnz .LBB79_994
; %bb.979:
	v_cmp_lt_i16_e64 s[4:5], s3, 2
	s_mov_b64 s[0:1], -1
	s_and_b64 vcc, exec, s[4:5]
	s_cbranch_vccnz .LBB79_989
; %bb.980:
	v_cmp_lt_i16_e64 s[4:5], s3, 3
	s_and_b64 vcc, exec, s[4:5]
	s_cbranch_vccnz .LBB79_986
; %bb.981:
	v_cmp_gt_i16_e64 s[4:5], s3, 3
	s_and_b64 vcc, exec, s[4:5]
	s_cbranch_vccz .LBB79_983
; %bb.982:
	v_cvt_f32_f16_e32 v2, s2
	s_mov_b64 s[0:1], 0
	v_cvt_i32_f32_e32 v2, v2
	v_ashrrev_i32_e32 v3, 31, v2
	global_store_dwordx2 v[0:1], v[2:3], off
.LBB79_983:
	s_andn2_b64 vcc, exec, s[0:1]
	s_cbranch_vccnz .LBB79_985
; %bb.984:
	v_cvt_f32_f16_e32 v2, s2
	v_cvt_i32_f32_e32 v2, v2
	global_store_dword v[0:1], v2, off
.LBB79_985:
	s_mov_b64 s[0:1], 0
.LBB79_986:
	s_andn2_b64 vcc, exec, s[0:1]
	s_cbranch_vccnz .LBB79_988
; %bb.987:
	v_cvt_i16_f16_e32 v2, s2
	global_store_short v[0:1], v2, off
.LBB79_988:
	s_mov_b64 s[0:1], 0
.LBB79_989:
	s_andn2_b64 vcc, exec, s[0:1]
	s_cbranch_vccnz .LBB79_994
; %bb.990:
	v_cmp_gt_i16_e64 s[4:5], s3, 0
	s_mov_b64 s[0:1], -1
	s_and_b64 vcc, exec, s[4:5]
	s_cbranch_vccz .LBB79_992
; %bb.991:
	v_cvt_i16_f16_e32 v2, s2
	global_store_byte v[0:1], v2, off
	s_mov_b64 s[0:1], 0
.LBB79_992:
	s_andn2_b64 vcc, exec, s[0:1]
	s_cbranch_vccnz .LBB79_994
; %bb.993:
	v_cvt_f32_f16_e32 v2, s2
	v_cvt_i32_f32_e32 v2, v2
	global_store_byte v[0:1], v2, off
	s_endpgm
.LBB79_994:
	s_endpgm
.LBB79_995:
	s_trap 2
	s_or_b64 s[4:5], s[4:5], exec
	s_cbranch_execz .LBB79_910
	s_branch .LBB79_911
.LBB79_996:
	s_mov_b64 s[10:11], -1
	s_mov_b64 s[8:9], 0
                                        ; implicit-def: $sgpr13
.LBB79_997:
	s_andn2_b64 vcc, exec, s[10:11]
	v_mov_b32_e32 v2, s13
                                        ; implicit-def: $sgpr10
	s_cbranch_vccnz .LBB79_999
; %bb.998:
	v_mov_b32_e32 v2, 0x42800000
	v_add_f32_e64 v2, |s12|, v2
	v_and_b32_e32 v2, 0xff, v2
	s_mov_b32 s10, 0
	v_cmp_ne_u32_e64 s[8:9], 0, v2
.LBB79_999:
	s_andn2_b64 vcc, exec, s[8:9]
	v_mov_b32_e32 v3, s10
	s_cbranch_vccnz .LBB79_1001
; %bb.1000:
	s_lshr_b32 s8, s12, 24
	s_and_b32 s8, s8, 0x80
	v_or_b32_e32 v3, s8, v2
.LBB79_1001:
	s_mov_b64 s[8:9], 0
	global_store_byte v[0:1], v3, off
.LBB79_1002:
	s_and_b64 vcc, exec, s[8:9]
	s_cbranch_vccz .LBB79_1014
; %bb.1003:
	v_cvt_f32_f16_e32 v2, s2
	v_readfirstlane_b32 s10, v2
	s_and_b32 s11, s10, 0x7fffffff
	s_cmp_lt_u32 s11, 0x43f00000
	s_cbranch_scc0 .LBB79_1006
; %bb.1004:
	s_cmp_gt_u32 s11, 0x3c7fffff
	s_cbranch_scc0 .LBB79_1007
; %bb.1005:
	s_bfe_u32 s8, s10, 0x10014
	s_add_i32 s8, s10, s8
	s_add_i32 s8, s8, 0x407ffff
	s_lshr_b32 s9, s8, 20
	s_and_b32 s8, s8, 0xff00000
	s_cmp_lg_u32 s8, 0x7f00000
	s_cselect_b32 s12, s9, 0x7e
	s_mov_b64 s[8:9], 0
	s_branch .LBB79_1008
.LBB79_1006:
	s_mov_b64 s[8:9], -1
                                        ; implicit-def: $vgpr3
	s_branch .LBB79_1011
.LBB79_1007:
	s_mov_b64 s[8:9], -1
                                        ; implicit-def: $sgpr12
.LBB79_1008:
	s_andn2_b64 vcc, exec, s[8:9]
	v_mov_b32_e32 v3, s12
	s_cbranch_vccnz .LBB79_1010
; %bb.1009:
	s_mov_b32 s8, 0x46800000
	v_add_f32_e64 v3, |v2|, s8
.LBB79_1010:
	s_mov_b64 s[8:9], 0
.LBB79_1011:
	s_andn2_b64 vcc, exec, s[8:9]
	s_cbranch_vccnz .LBB79_1013
; %bb.1012:
	s_cmp_gt_u32 s11, 0x7f800000
	s_movk_i32 s8, 0x7f
	s_cselect_b32 s8, s8, 0x7e
	v_mov_b32_e32 v3, s8
.LBB79_1013:
	s_lshr_b32 s8, s10, 24
	s_and_b32 s8, s8, 0x80
	v_or_b32_e32 v2, s8, v3
	global_store_byte v[0:1], v2, off
.LBB79_1014:
	s_mov_b64 s[8:9], 0
.LBB79_1015:
	s_andn2_b64 vcc, exec, s[8:9]
	s_cbranch_vccnz .LBB79_1027
; %bb.1016:
	v_cvt_f32_f16_e32 v2, s2
	v_readfirstlane_b32 s10, v2
	s_and_b32 s11, s10, 0x7fffffff
	s_cmp_lt_u32 s11, 0x47800000
	s_cbranch_scc0 .LBB79_1019
; %bb.1017:
	s_cmp_gt_u32 s11, 0x387fffff
	s_cbranch_scc0 .LBB79_1020
; %bb.1018:
	s_bfe_u32 s8, s10, 0x10015
	s_add_i32 s8, s10, s8
	s_add_i32 s8, s8, 0x80fffff
	s_lshr_b32 s12, s8, 21
	s_mov_b64 s[8:9], 0
	s_branch .LBB79_1021
.LBB79_1019:
	s_mov_b64 s[8:9], -1
                                        ; implicit-def: $vgpr3
	s_branch .LBB79_1024
.LBB79_1020:
	s_mov_b64 s[8:9], -1
                                        ; implicit-def: $sgpr12
.LBB79_1021:
	s_andn2_b64 vcc, exec, s[8:9]
	v_mov_b32_e32 v3, s12
	s_cbranch_vccnz .LBB79_1023
; %bb.1022:
	s_mov_b32 s8, 0x43000000
	v_add_f32_e64 v3, |v2|, s8
.LBB79_1023:
	s_mov_b64 s[8:9], 0
.LBB79_1024:
	s_andn2_b64 vcc, exec, s[8:9]
	s_cbranch_vccnz .LBB79_1026
; %bb.1025:
	s_cmp_gt_u32 s11, 0x7f800000
	s_movk_i32 s8, 0x7f
	s_cselect_b32 s8, s8, 0x7c
	v_mov_b32_e32 v3, s8
.LBB79_1026:
	s_lshr_b32 s8, s10, 24
	s_and_b32 s8, s8, 0x80
	v_or_b32_e32 v2, s8, v3
	global_store_byte v[0:1], v2, off
.LBB79_1027:
	s_mov_b64 s[8:9], 0
.LBB79_1028:
	s_andn2_b64 vcc, exec, s[8:9]
	s_mov_b64 s[8:9], 0
	s_cbranch_vccnz .LBB79_1035
; %bb.1029:
	v_cmp_gt_i16_e64 s[8:9], s3, 14
	s_mov_b64 s[10:11], -1
	s_and_b64 vcc, exec, s[8:9]
	s_cbranch_vccz .LBB79_1033
; %bb.1030:
	v_cmp_eq_u16_e64 s[8:9], s3, 15
	s_mov_b64 s[0:1], -1
	s_and_b64 vcc, exec, s[8:9]
	s_cbranch_vccz .LBB79_1032
; %bb.1031:
	v_cvt_f32_f16_e32 v2, s2
	v_mov_b32_e32 v3, 0x7fc0
	v_cmp_o_f16_e64 vcc, s2, s2
	s_mov_b64 s[0:1], 0
	v_bfe_u32 v4, v2, 16, 1
	v_add_u32_e32 v2, v2, v4
	v_add_u32_e32 v2, 0x7fff, v2
	v_lshrrev_b32_e32 v2, 16, v2
	v_cndmask_b32_e32 v2, v3, v2, vcc
	global_store_short v[0:1], v2, off
.LBB79_1032:
	s_mov_b64 s[10:11], 0
.LBB79_1033:
	s_mov_b64 s[8:9], 0
	s_and_b64 vcc, exec, s[10:11]
	s_cbranch_vccz .LBB79_1035
; %bb.1034:
	v_cmp_ne_u16_e64 s[0:1], s3, 11
	s_mov_b64 s[8:9], -1
.LBB79_1035:
	s_and_b64 vcc, exec, s[0:1]
	s_cbranch_vccnz .LBB79_1037
.LBB79_1036:
	s_mov_b64 s[0:1], 0
	s_branch .LBB79_951
.LBB79_1037:
	s_mov_b64 s[8:9], 0
	s_or_b64 s[4:5], s[4:5], exec
	s_trap 2
	s_branch .LBB79_1036
	.section	.rodata,"a",@progbits
	.p2align	6, 0x0
	.amdhsa_kernel _ZN2at6native32elementwise_kernel_manual_unrollILi128ELi4EZNS0_15gpu_kernel_implINS0_11FillFunctorIN3c107complexINS4_4HalfEEEEEEEvRNS_18TensorIteratorBaseERKT_EUlibE0_EEviT1_
		.amdhsa_group_segment_fixed_size 0
		.amdhsa_private_segment_fixed_size 0
		.amdhsa_kernarg_size 288
		.amdhsa_user_sgpr_count 6
		.amdhsa_user_sgpr_private_segment_buffer 1
		.amdhsa_user_sgpr_dispatch_ptr 0
		.amdhsa_user_sgpr_queue_ptr 0
		.amdhsa_user_sgpr_kernarg_segment_ptr 1
		.amdhsa_user_sgpr_dispatch_id 0
		.amdhsa_user_sgpr_flat_scratch_init 0
		.amdhsa_user_sgpr_kernarg_preload_length 0
		.amdhsa_user_sgpr_kernarg_preload_offset 0
		.amdhsa_user_sgpr_private_segment_size 0
		.amdhsa_uses_dynamic_stack 0
		.amdhsa_system_sgpr_private_segment_wavefront_offset 0
		.amdhsa_system_sgpr_workgroup_id_x 1
		.amdhsa_system_sgpr_workgroup_id_y 0
		.amdhsa_system_sgpr_workgroup_id_z 0
		.amdhsa_system_sgpr_workgroup_info 0
		.amdhsa_system_vgpr_workitem_id 0
		.amdhsa_next_free_vgpr 26
		.amdhsa_next_free_sgpr 94
		.amdhsa_accum_offset 28
		.amdhsa_reserve_vcc 1
		.amdhsa_reserve_flat_scratch 0
		.amdhsa_float_round_mode_32 0
		.amdhsa_float_round_mode_16_64 0
		.amdhsa_float_denorm_mode_32 3
		.amdhsa_float_denorm_mode_16_64 3
		.amdhsa_dx10_clamp 1
		.amdhsa_ieee_mode 1
		.amdhsa_fp16_overflow 0
		.amdhsa_tg_split 0
		.amdhsa_exception_fp_ieee_invalid_op 0
		.amdhsa_exception_fp_denorm_src 0
		.amdhsa_exception_fp_ieee_div_zero 0
		.amdhsa_exception_fp_ieee_overflow 0
		.amdhsa_exception_fp_ieee_underflow 0
		.amdhsa_exception_fp_ieee_inexact 0
		.amdhsa_exception_int_div_zero 0
	.end_amdhsa_kernel
	.section	.text._ZN2at6native32elementwise_kernel_manual_unrollILi128ELi4EZNS0_15gpu_kernel_implINS0_11FillFunctorIN3c107complexINS4_4HalfEEEEEEEvRNS_18TensorIteratorBaseERKT_EUlibE0_EEviT1_,"axG",@progbits,_ZN2at6native32elementwise_kernel_manual_unrollILi128ELi4EZNS0_15gpu_kernel_implINS0_11FillFunctorIN3c107complexINS4_4HalfEEEEEEEvRNS_18TensorIteratorBaseERKT_EUlibE0_EEviT1_,comdat
.Lfunc_end79:
	.size	_ZN2at6native32elementwise_kernel_manual_unrollILi128ELi4EZNS0_15gpu_kernel_implINS0_11FillFunctorIN3c107complexINS4_4HalfEEEEEEEvRNS_18TensorIteratorBaseERKT_EUlibE0_EEviT1_, .Lfunc_end79-_ZN2at6native32elementwise_kernel_manual_unrollILi128ELi4EZNS0_15gpu_kernel_implINS0_11FillFunctorIN3c107complexINS4_4HalfEEEEEEEvRNS_18TensorIteratorBaseERKT_EUlibE0_EEviT1_
                                        ; -- End function
	.section	.AMDGPU.csdata,"",@progbits
; Kernel info:
; codeLenInByte = 18968
; NumSgprs: 98
; NumVgprs: 26
; NumAgprs: 0
; TotalNumVgprs: 26
; ScratchSize: 0
; MemoryBound: 0
; FloatMode: 240
; IeeeMode: 1
; LDSByteSize: 0 bytes/workgroup (compile time only)
; SGPRBlocks: 12
; VGPRBlocks: 3
; NumSGPRsForWavesPerEU: 98
; NumVGPRsForWavesPerEU: 26
; AccumOffset: 28
; Occupancy: 8
; WaveLimiterHint : 1
; COMPUTE_PGM_RSRC2:SCRATCH_EN: 0
; COMPUTE_PGM_RSRC2:USER_SGPR: 6
; COMPUTE_PGM_RSRC2:TRAP_HANDLER: 0
; COMPUTE_PGM_RSRC2:TGID_X_EN: 1
; COMPUTE_PGM_RSRC2:TGID_Y_EN: 0
; COMPUTE_PGM_RSRC2:TGID_Z_EN: 0
; COMPUTE_PGM_RSRC2:TIDIG_COMP_CNT: 0
; COMPUTE_PGM_RSRC3_GFX90A:ACCUM_OFFSET: 6
; COMPUTE_PGM_RSRC3_GFX90A:TG_SPLIT: 0
	.section	.text._ZN2at6native29vectorized_elementwise_kernelILi16ENS0_11FillFunctorIN3c107complexINS3_8BFloat16EEEEESt5arrayIPcLm1EEEEviT0_T1_,"axG",@progbits,_ZN2at6native29vectorized_elementwise_kernelILi16ENS0_11FillFunctorIN3c107complexINS3_8BFloat16EEEEESt5arrayIPcLm1EEEEviT0_T1_,comdat
	.protected	_ZN2at6native29vectorized_elementwise_kernelILi16ENS0_11FillFunctorIN3c107complexINS3_8BFloat16EEEEESt5arrayIPcLm1EEEEviT0_T1_ ; -- Begin function _ZN2at6native29vectorized_elementwise_kernelILi16ENS0_11FillFunctorIN3c107complexINS3_8BFloat16EEEEESt5arrayIPcLm1EEEEviT0_T1_
	.globl	_ZN2at6native29vectorized_elementwise_kernelILi16ENS0_11FillFunctorIN3c107complexINS3_8BFloat16EEEEESt5arrayIPcLm1EEEEviT0_T1_
	.p2align	8
	.type	_ZN2at6native29vectorized_elementwise_kernelILi16ENS0_11FillFunctorIN3c107complexINS3_8BFloat16EEEEESt5arrayIPcLm1EEEEviT0_T1_,@function
_ZN2at6native29vectorized_elementwise_kernelILi16ENS0_11FillFunctorIN3c107complexINS3_8BFloat16EEEEESt5arrayIPcLm1EEEEviT0_T1_: ; @_ZN2at6native29vectorized_elementwise_kernelILi16ENS0_11FillFunctorIN3c107complexINS3_8BFloat16EEEEESt5arrayIPcLm1EEEEviT0_T1_
; %bb.0:
	s_load_dwordx4 s[0:3], s[4:5], 0x0
	s_lshl_b32 s4, s6, 10
	s_waitcnt lgkmcnt(0)
	s_sub_i32 s0, s0, s4
	s_cmpk_gt_i32 s0, 0x3ff
	s_cbranch_scc0 .LBB80_4
; %bb.1:
	s_ashr_i32 s5, s4, 31
	s_lshl_b64 s[6:7], s[4:5], 2
	s_add_u32 s6, s2, s6
	s_addc_u32 s7, s3, s7
	v_lshlrev_b32_e32 v1, 4, v0
	v_mov_b32_e32 v2, s7
	v_add_co_u32_e32 v5, vcc, s6, v1
	v_addc_co_u32_e32 v6, vcc, 0, v2, vcc
	v_mov_b32_e32 v2, s1
	v_mov_b32_e32 v3, s1
	v_mov_b32_e32 v4, s1
	global_store_dwordx3 v1, v[2:4], s[6:7]
	s_nop 0
	v_add_co_u32_e32 v2, vcc, 12, v5
	v_addc_co_u32_e32 v3, vcc, 0, v6, vcc
	s_mov_b64 s[6:7], -1
	s_cbranch_execz .LBB80_5
; %bb.2:
	s_and_saveexec_b64 s[2:3], s[6:7]
	s_cbranch_execz .LBB80_12
.LBB80_3:
	v_mov_b32_e32 v0, s1
	global_store_dword v[2:3], v0, off
	s_endpgm
.LBB80_4:
	s_mov_b64 s[6:7], 0
                                        ; implicit-def: $vgpr2_vgpr3
.LBB80_5:
	v_cmp_gt_i32_e32 vcc, s0, v0
	s_and_saveexec_b64 s[8:9], vcc
	s_cbranch_execz .LBB80_13
; %bb.6:
	v_or_b32_e32 v2, 0x100, v0
	v_or_b32_e32 v0, s4, v0
	v_mov_b32_e32 v1, 0
	v_lshlrev_b64 v[0:1], 2, v[0:1]
	v_mov_b32_e32 v3, s3
	v_add_co_u32_e32 v0, vcc, s2, v0
	v_addc_co_u32_e32 v1, vcc, v3, v1, vcc
	v_mov_b32_e32 v3, s1
	global_store_dword v[0:1], v3, off
	v_mov_b32_e32 v0, v2
	s_or_b64 exec, exec, s[8:9]
	v_cmp_gt_i32_e32 vcc, s0, v0
	s_and_saveexec_b64 s[8:9], vcc
	s_cbranch_execnz .LBB80_14
.LBB80_7:
	s_or_b64 exec, exec, s[8:9]
	v_cmp_gt_i32_e32 vcc, s0, v0
	s_and_saveexec_b64 s[8:9], vcc
	s_cbranch_execz .LBB80_9
.LBB80_8:
	v_add_u32_e32 v2, s4, v0
	v_mov_b32_e32 v3, 0
	v_lshlrev_b64 v[2:3], 2, v[2:3]
	v_mov_b32_e32 v1, s3
	v_add_co_u32_e32 v2, vcc, s2, v2
	v_addc_co_u32_e32 v3, vcc, v1, v3, vcc
	v_add_u32_e32 v0, 0x100, v0
	v_mov_b32_e32 v1, s1
	global_store_dword v[2:3], v1, off
.LBB80_9:
	s_or_b64 exec, exec, s[8:9]
	v_cmp_gt_i32_e32 vcc, s0, v0
                                        ; implicit-def: $vgpr2_vgpr3
	s_and_saveexec_b64 s[8:9], vcc
; %bb.10:
	v_add_u32_e32 v0, s4, v0
	v_mov_b32_e32 v1, 0
	v_lshlrev_b64 v[0:1], 2, v[0:1]
	v_mov_b32_e32 v3, s3
	v_add_co_u32_e32 v2, vcc, s2, v0
	v_addc_co_u32_e32 v3, vcc, v3, v1, vcc
	s_or_b64 s[6:7], s[6:7], exec
; %bb.11:
	s_or_b64 exec, exec, s[8:9]
	s_and_saveexec_b64 s[2:3], s[6:7]
	s_cbranch_execnz .LBB80_3
.LBB80_12:
	s_endpgm
.LBB80_13:
	s_or_b64 exec, exec, s[8:9]
	v_cmp_gt_i32_e32 vcc, s0, v0
	s_and_saveexec_b64 s[8:9], vcc
	s_cbranch_execz .LBB80_7
.LBB80_14:
	v_add_u32_e32 v2, s4, v0
	v_mov_b32_e32 v3, 0
	v_lshlrev_b64 v[2:3], 2, v[2:3]
	v_mov_b32_e32 v1, s3
	v_add_co_u32_e32 v2, vcc, s2, v2
	v_addc_co_u32_e32 v3, vcc, v1, v3, vcc
	v_add_u32_e32 v0, 0x100, v0
	v_mov_b32_e32 v1, s1
	global_store_dword v[2:3], v1, off
	s_or_b64 exec, exec, s[8:9]
	v_cmp_gt_i32_e32 vcc, s0, v0
	s_and_saveexec_b64 s[8:9], vcc
	s_cbranch_execz .LBB80_9
	s_branch .LBB80_8
	.section	.rodata,"a",@progbits
	.p2align	6, 0x0
	.amdhsa_kernel _ZN2at6native29vectorized_elementwise_kernelILi16ENS0_11FillFunctorIN3c107complexINS3_8BFloat16EEEEESt5arrayIPcLm1EEEEviT0_T1_
		.amdhsa_group_segment_fixed_size 0
		.amdhsa_private_segment_fixed_size 0
		.amdhsa_kernarg_size 16
		.amdhsa_user_sgpr_count 6
		.amdhsa_user_sgpr_private_segment_buffer 1
		.amdhsa_user_sgpr_dispatch_ptr 0
		.amdhsa_user_sgpr_queue_ptr 0
		.amdhsa_user_sgpr_kernarg_segment_ptr 1
		.amdhsa_user_sgpr_dispatch_id 0
		.amdhsa_user_sgpr_flat_scratch_init 0
		.amdhsa_user_sgpr_kernarg_preload_length 0
		.amdhsa_user_sgpr_kernarg_preload_offset 0
		.amdhsa_user_sgpr_private_segment_size 0
		.amdhsa_uses_dynamic_stack 0
		.amdhsa_system_sgpr_private_segment_wavefront_offset 0
		.amdhsa_system_sgpr_workgroup_id_x 1
		.amdhsa_system_sgpr_workgroup_id_y 0
		.amdhsa_system_sgpr_workgroup_id_z 0
		.amdhsa_system_sgpr_workgroup_info 0
		.amdhsa_system_vgpr_workitem_id 0
		.amdhsa_next_free_vgpr 7
		.amdhsa_next_free_sgpr 10
		.amdhsa_accum_offset 8
		.amdhsa_reserve_vcc 1
		.amdhsa_reserve_flat_scratch 0
		.amdhsa_float_round_mode_32 0
		.amdhsa_float_round_mode_16_64 0
		.amdhsa_float_denorm_mode_32 3
		.amdhsa_float_denorm_mode_16_64 3
		.amdhsa_dx10_clamp 1
		.amdhsa_ieee_mode 1
		.amdhsa_fp16_overflow 0
		.amdhsa_tg_split 0
		.amdhsa_exception_fp_ieee_invalid_op 0
		.amdhsa_exception_fp_denorm_src 0
		.amdhsa_exception_fp_ieee_div_zero 0
		.amdhsa_exception_fp_ieee_overflow 0
		.amdhsa_exception_fp_ieee_underflow 0
		.amdhsa_exception_fp_ieee_inexact 0
		.amdhsa_exception_int_div_zero 0
	.end_amdhsa_kernel
	.section	.text._ZN2at6native29vectorized_elementwise_kernelILi16ENS0_11FillFunctorIN3c107complexINS3_8BFloat16EEEEESt5arrayIPcLm1EEEEviT0_T1_,"axG",@progbits,_ZN2at6native29vectorized_elementwise_kernelILi16ENS0_11FillFunctorIN3c107complexINS3_8BFloat16EEEEESt5arrayIPcLm1EEEEviT0_T1_,comdat
.Lfunc_end80:
	.size	_ZN2at6native29vectorized_elementwise_kernelILi16ENS0_11FillFunctorIN3c107complexINS3_8BFloat16EEEEESt5arrayIPcLm1EEEEviT0_T1_, .Lfunc_end80-_ZN2at6native29vectorized_elementwise_kernelILi16ENS0_11FillFunctorIN3c107complexINS3_8BFloat16EEEEESt5arrayIPcLm1EEEEviT0_T1_
                                        ; -- End function
	.section	.AMDGPU.csdata,"",@progbits
; Kernel info:
; codeLenInByte = 416
; NumSgprs: 14
; NumVgprs: 7
; NumAgprs: 0
; TotalNumVgprs: 7
; ScratchSize: 0
; MemoryBound: 0
; FloatMode: 240
; IeeeMode: 1
; LDSByteSize: 0 bytes/workgroup (compile time only)
; SGPRBlocks: 1
; VGPRBlocks: 0
; NumSGPRsForWavesPerEU: 14
; NumVGPRsForWavesPerEU: 7
; AccumOffset: 8
; Occupancy: 8
; WaveLimiterHint : 0
; COMPUTE_PGM_RSRC2:SCRATCH_EN: 0
; COMPUTE_PGM_RSRC2:USER_SGPR: 6
; COMPUTE_PGM_RSRC2:TRAP_HANDLER: 0
; COMPUTE_PGM_RSRC2:TGID_X_EN: 1
; COMPUTE_PGM_RSRC2:TGID_Y_EN: 0
; COMPUTE_PGM_RSRC2:TGID_Z_EN: 0
; COMPUTE_PGM_RSRC2:TIDIG_COMP_CNT: 0
; COMPUTE_PGM_RSRC3_GFX90A:ACCUM_OFFSET: 1
; COMPUTE_PGM_RSRC3_GFX90A:TG_SPLIT: 0
	.section	.text._ZN2at6native29vectorized_elementwise_kernelILi8ENS0_11FillFunctorIN3c107complexINS3_8BFloat16EEEEESt5arrayIPcLm1EEEEviT0_T1_,"axG",@progbits,_ZN2at6native29vectorized_elementwise_kernelILi8ENS0_11FillFunctorIN3c107complexINS3_8BFloat16EEEEESt5arrayIPcLm1EEEEviT0_T1_,comdat
	.protected	_ZN2at6native29vectorized_elementwise_kernelILi8ENS0_11FillFunctorIN3c107complexINS3_8BFloat16EEEEESt5arrayIPcLm1EEEEviT0_T1_ ; -- Begin function _ZN2at6native29vectorized_elementwise_kernelILi8ENS0_11FillFunctorIN3c107complexINS3_8BFloat16EEEEESt5arrayIPcLm1EEEEviT0_T1_
	.globl	_ZN2at6native29vectorized_elementwise_kernelILi8ENS0_11FillFunctorIN3c107complexINS3_8BFloat16EEEEESt5arrayIPcLm1EEEEviT0_T1_
	.p2align	8
	.type	_ZN2at6native29vectorized_elementwise_kernelILi8ENS0_11FillFunctorIN3c107complexINS3_8BFloat16EEEEESt5arrayIPcLm1EEEEviT0_T1_,@function
_ZN2at6native29vectorized_elementwise_kernelILi8ENS0_11FillFunctorIN3c107complexINS3_8BFloat16EEEEESt5arrayIPcLm1EEEEviT0_T1_: ; @_ZN2at6native29vectorized_elementwise_kernelILi8ENS0_11FillFunctorIN3c107complexINS3_8BFloat16EEEEESt5arrayIPcLm1EEEEviT0_T1_
; %bb.0:
	s_load_dwordx4 s[0:3], s[4:5], 0x0
	s_lshl_b32 s4, s6, 10
	s_waitcnt lgkmcnt(0)
	s_sub_i32 s0, s0, s4
	s_cmpk_gt_i32 s0, 0x3ff
	s_cbranch_scc0 .LBB81_4
; %bb.1:
	s_ashr_i32 s5, s4, 31
	s_lshl_b64 s[6:7], s[4:5], 2
	s_add_u32 s6, s2, s6
	s_addc_u32 s7, s3, s7
	v_lshlrev_b32_e32 v1, 4, v0
	v_mov_b32_e32 v2, s7
	v_add_co_u32_e32 v5, vcc, s6, v1
	v_addc_co_u32_e32 v6, vcc, 0, v2, vcc
	v_mov_b32_e32 v2, s1
	v_mov_b32_e32 v3, s1
	;; [unrolled: 1-line block ×3, first 2 shown]
	global_store_dwordx3 v1, v[2:4], s[6:7]
	s_nop 0
	v_add_co_u32_e32 v2, vcc, 12, v5
	v_addc_co_u32_e32 v3, vcc, 0, v6, vcc
	s_mov_b64 s[6:7], -1
	s_cbranch_execz .LBB81_5
; %bb.2:
	s_and_saveexec_b64 s[2:3], s[6:7]
	s_cbranch_execz .LBB81_12
.LBB81_3:
	v_mov_b32_e32 v0, s1
	global_store_dword v[2:3], v0, off
	s_endpgm
.LBB81_4:
	s_mov_b64 s[6:7], 0
                                        ; implicit-def: $vgpr2_vgpr3
.LBB81_5:
	v_cmp_gt_i32_e32 vcc, s0, v0
	s_and_saveexec_b64 s[8:9], vcc
	s_cbranch_execz .LBB81_13
; %bb.6:
	v_or_b32_e32 v2, 0x100, v0
	v_or_b32_e32 v0, s4, v0
	v_mov_b32_e32 v1, 0
	v_lshlrev_b64 v[0:1], 2, v[0:1]
	v_mov_b32_e32 v3, s3
	v_add_co_u32_e32 v0, vcc, s2, v0
	v_addc_co_u32_e32 v1, vcc, v3, v1, vcc
	v_mov_b32_e32 v3, s1
	global_store_dword v[0:1], v3, off
	v_mov_b32_e32 v0, v2
	s_or_b64 exec, exec, s[8:9]
	v_cmp_gt_i32_e32 vcc, s0, v0
	s_and_saveexec_b64 s[8:9], vcc
	s_cbranch_execnz .LBB81_14
.LBB81_7:
	s_or_b64 exec, exec, s[8:9]
	v_cmp_gt_i32_e32 vcc, s0, v0
	s_and_saveexec_b64 s[8:9], vcc
	s_cbranch_execz .LBB81_9
.LBB81_8:
	v_add_u32_e32 v2, s4, v0
	v_mov_b32_e32 v3, 0
	v_lshlrev_b64 v[2:3], 2, v[2:3]
	v_mov_b32_e32 v1, s3
	v_add_co_u32_e32 v2, vcc, s2, v2
	v_addc_co_u32_e32 v3, vcc, v1, v3, vcc
	v_add_u32_e32 v0, 0x100, v0
	v_mov_b32_e32 v1, s1
	global_store_dword v[2:3], v1, off
.LBB81_9:
	s_or_b64 exec, exec, s[8:9]
	v_cmp_gt_i32_e32 vcc, s0, v0
                                        ; implicit-def: $vgpr2_vgpr3
	s_and_saveexec_b64 s[8:9], vcc
; %bb.10:
	v_add_u32_e32 v0, s4, v0
	v_mov_b32_e32 v1, 0
	v_lshlrev_b64 v[0:1], 2, v[0:1]
	v_mov_b32_e32 v3, s3
	v_add_co_u32_e32 v2, vcc, s2, v0
	v_addc_co_u32_e32 v3, vcc, v3, v1, vcc
	s_or_b64 s[6:7], s[6:7], exec
; %bb.11:
	s_or_b64 exec, exec, s[8:9]
	s_and_saveexec_b64 s[2:3], s[6:7]
	s_cbranch_execnz .LBB81_3
.LBB81_12:
	s_endpgm
.LBB81_13:
	s_or_b64 exec, exec, s[8:9]
	v_cmp_gt_i32_e32 vcc, s0, v0
	s_and_saveexec_b64 s[8:9], vcc
	s_cbranch_execz .LBB81_7
.LBB81_14:
	v_add_u32_e32 v2, s4, v0
	v_mov_b32_e32 v3, 0
	v_lshlrev_b64 v[2:3], 2, v[2:3]
	v_mov_b32_e32 v1, s3
	v_add_co_u32_e32 v2, vcc, s2, v2
	v_addc_co_u32_e32 v3, vcc, v1, v3, vcc
	v_add_u32_e32 v0, 0x100, v0
	v_mov_b32_e32 v1, s1
	global_store_dword v[2:3], v1, off
	s_or_b64 exec, exec, s[8:9]
	v_cmp_gt_i32_e32 vcc, s0, v0
	s_and_saveexec_b64 s[8:9], vcc
	s_cbranch_execz .LBB81_9
	s_branch .LBB81_8
	.section	.rodata,"a",@progbits
	.p2align	6, 0x0
	.amdhsa_kernel _ZN2at6native29vectorized_elementwise_kernelILi8ENS0_11FillFunctorIN3c107complexINS3_8BFloat16EEEEESt5arrayIPcLm1EEEEviT0_T1_
		.amdhsa_group_segment_fixed_size 0
		.amdhsa_private_segment_fixed_size 0
		.amdhsa_kernarg_size 16
		.amdhsa_user_sgpr_count 6
		.amdhsa_user_sgpr_private_segment_buffer 1
		.amdhsa_user_sgpr_dispatch_ptr 0
		.amdhsa_user_sgpr_queue_ptr 0
		.amdhsa_user_sgpr_kernarg_segment_ptr 1
		.amdhsa_user_sgpr_dispatch_id 0
		.amdhsa_user_sgpr_flat_scratch_init 0
		.amdhsa_user_sgpr_kernarg_preload_length 0
		.amdhsa_user_sgpr_kernarg_preload_offset 0
		.amdhsa_user_sgpr_private_segment_size 0
		.amdhsa_uses_dynamic_stack 0
		.amdhsa_system_sgpr_private_segment_wavefront_offset 0
		.amdhsa_system_sgpr_workgroup_id_x 1
		.amdhsa_system_sgpr_workgroup_id_y 0
		.amdhsa_system_sgpr_workgroup_id_z 0
		.amdhsa_system_sgpr_workgroup_info 0
		.amdhsa_system_vgpr_workitem_id 0
		.amdhsa_next_free_vgpr 7
		.amdhsa_next_free_sgpr 10
		.amdhsa_accum_offset 8
		.amdhsa_reserve_vcc 1
		.amdhsa_reserve_flat_scratch 0
		.amdhsa_float_round_mode_32 0
		.amdhsa_float_round_mode_16_64 0
		.amdhsa_float_denorm_mode_32 3
		.amdhsa_float_denorm_mode_16_64 3
		.amdhsa_dx10_clamp 1
		.amdhsa_ieee_mode 1
		.amdhsa_fp16_overflow 0
		.amdhsa_tg_split 0
		.amdhsa_exception_fp_ieee_invalid_op 0
		.amdhsa_exception_fp_denorm_src 0
		.amdhsa_exception_fp_ieee_div_zero 0
		.amdhsa_exception_fp_ieee_overflow 0
		.amdhsa_exception_fp_ieee_underflow 0
		.amdhsa_exception_fp_ieee_inexact 0
		.amdhsa_exception_int_div_zero 0
	.end_amdhsa_kernel
	.section	.text._ZN2at6native29vectorized_elementwise_kernelILi8ENS0_11FillFunctorIN3c107complexINS3_8BFloat16EEEEESt5arrayIPcLm1EEEEviT0_T1_,"axG",@progbits,_ZN2at6native29vectorized_elementwise_kernelILi8ENS0_11FillFunctorIN3c107complexINS3_8BFloat16EEEEESt5arrayIPcLm1EEEEviT0_T1_,comdat
.Lfunc_end81:
	.size	_ZN2at6native29vectorized_elementwise_kernelILi8ENS0_11FillFunctorIN3c107complexINS3_8BFloat16EEEEESt5arrayIPcLm1EEEEviT0_T1_, .Lfunc_end81-_ZN2at6native29vectorized_elementwise_kernelILi8ENS0_11FillFunctorIN3c107complexINS3_8BFloat16EEEEESt5arrayIPcLm1EEEEviT0_T1_
                                        ; -- End function
	.section	.AMDGPU.csdata,"",@progbits
; Kernel info:
; codeLenInByte = 416
; NumSgprs: 14
; NumVgprs: 7
; NumAgprs: 0
; TotalNumVgprs: 7
; ScratchSize: 0
; MemoryBound: 0
; FloatMode: 240
; IeeeMode: 1
; LDSByteSize: 0 bytes/workgroup (compile time only)
; SGPRBlocks: 1
; VGPRBlocks: 0
; NumSGPRsForWavesPerEU: 14
; NumVGPRsForWavesPerEU: 7
; AccumOffset: 8
; Occupancy: 8
; WaveLimiterHint : 0
; COMPUTE_PGM_RSRC2:SCRATCH_EN: 0
; COMPUTE_PGM_RSRC2:USER_SGPR: 6
; COMPUTE_PGM_RSRC2:TRAP_HANDLER: 0
; COMPUTE_PGM_RSRC2:TGID_X_EN: 1
; COMPUTE_PGM_RSRC2:TGID_Y_EN: 0
; COMPUTE_PGM_RSRC2:TGID_Z_EN: 0
; COMPUTE_PGM_RSRC2:TIDIG_COMP_CNT: 0
; COMPUTE_PGM_RSRC3_GFX90A:ACCUM_OFFSET: 1
; COMPUTE_PGM_RSRC3_GFX90A:TG_SPLIT: 0
	.section	.text._ZN2at6native29vectorized_elementwise_kernelILi4ENS0_11FillFunctorIN3c107complexINS3_8BFloat16EEEEESt5arrayIPcLm1EEEEviT0_T1_,"axG",@progbits,_ZN2at6native29vectorized_elementwise_kernelILi4ENS0_11FillFunctorIN3c107complexINS3_8BFloat16EEEEESt5arrayIPcLm1EEEEviT0_T1_,comdat
	.protected	_ZN2at6native29vectorized_elementwise_kernelILi4ENS0_11FillFunctorIN3c107complexINS3_8BFloat16EEEEESt5arrayIPcLm1EEEEviT0_T1_ ; -- Begin function _ZN2at6native29vectorized_elementwise_kernelILi4ENS0_11FillFunctorIN3c107complexINS3_8BFloat16EEEEESt5arrayIPcLm1EEEEviT0_T1_
	.globl	_ZN2at6native29vectorized_elementwise_kernelILi4ENS0_11FillFunctorIN3c107complexINS3_8BFloat16EEEEESt5arrayIPcLm1EEEEviT0_T1_
	.p2align	8
	.type	_ZN2at6native29vectorized_elementwise_kernelILi4ENS0_11FillFunctorIN3c107complexINS3_8BFloat16EEEEESt5arrayIPcLm1EEEEviT0_T1_,@function
_ZN2at6native29vectorized_elementwise_kernelILi4ENS0_11FillFunctorIN3c107complexINS3_8BFloat16EEEEESt5arrayIPcLm1EEEEviT0_T1_: ; @_ZN2at6native29vectorized_elementwise_kernelILi4ENS0_11FillFunctorIN3c107complexINS3_8BFloat16EEEEESt5arrayIPcLm1EEEEviT0_T1_
; %bb.0:
	s_load_dwordx4 s[0:3], s[4:5], 0x0
	s_lshl_b32 s4, s6, 10
	s_waitcnt lgkmcnt(0)
	s_sub_i32 s0, s0, s4
	s_cmpk_gt_i32 s0, 0x3ff
	s_cbranch_scc0 .LBB82_4
; %bb.1:
	s_ashr_i32 s5, s4, 31
	s_lshl_b64 s[6:7], s[4:5], 2
	s_add_u32 s6, s2, s6
	s_addc_u32 s7, s3, s7
	v_lshlrev_b32_e32 v1, 4, v0
	v_mov_b32_e32 v2, s7
	v_add_co_u32_e32 v5, vcc, s6, v1
	v_addc_co_u32_e32 v6, vcc, 0, v2, vcc
	v_mov_b32_e32 v2, s1
	v_mov_b32_e32 v3, s1
	;; [unrolled: 1-line block ×3, first 2 shown]
	global_store_dwordx3 v1, v[2:4], s[6:7]
	s_nop 0
	v_add_co_u32_e32 v2, vcc, 12, v5
	v_addc_co_u32_e32 v3, vcc, 0, v6, vcc
	s_mov_b64 s[6:7], -1
	s_cbranch_execz .LBB82_5
; %bb.2:
	s_and_saveexec_b64 s[2:3], s[6:7]
	s_cbranch_execz .LBB82_12
.LBB82_3:
	v_mov_b32_e32 v0, s1
	global_store_dword v[2:3], v0, off
	s_endpgm
.LBB82_4:
	s_mov_b64 s[6:7], 0
                                        ; implicit-def: $vgpr2_vgpr3
.LBB82_5:
	v_cmp_gt_i32_e32 vcc, s0, v0
	s_and_saveexec_b64 s[8:9], vcc
	s_cbranch_execz .LBB82_13
; %bb.6:
	v_or_b32_e32 v2, 0x100, v0
	v_or_b32_e32 v0, s4, v0
	v_mov_b32_e32 v1, 0
	v_lshlrev_b64 v[0:1], 2, v[0:1]
	v_mov_b32_e32 v3, s3
	v_add_co_u32_e32 v0, vcc, s2, v0
	v_addc_co_u32_e32 v1, vcc, v3, v1, vcc
	v_mov_b32_e32 v3, s1
	global_store_dword v[0:1], v3, off
	v_mov_b32_e32 v0, v2
	s_or_b64 exec, exec, s[8:9]
	v_cmp_gt_i32_e32 vcc, s0, v0
	s_and_saveexec_b64 s[8:9], vcc
	s_cbranch_execnz .LBB82_14
.LBB82_7:
	s_or_b64 exec, exec, s[8:9]
	v_cmp_gt_i32_e32 vcc, s0, v0
	s_and_saveexec_b64 s[8:9], vcc
	s_cbranch_execz .LBB82_9
.LBB82_8:
	v_add_u32_e32 v2, s4, v0
	v_mov_b32_e32 v3, 0
	v_lshlrev_b64 v[2:3], 2, v[2:3]
	v_mov_b32_e32 v1, s3
	v_add_co_u32_e32 v2, vcc, s2, v2
	v_addc_co_u32_e32 v3, vcc, v1, v3, vcc
	v_add_u32_e32 v0, 0x100, v0
	v_mov_b32_e32 v1, s1
	global_store_dword v[2:3], v1, off
.LBB82_9:
	s_or_b64 exec, exec, s[8:9]
	v_cmp_gt_i32_e32 vcc, s0, v0
                                        ; implicit-def: $vgpr2_vgpr3
	s_and_saveexec_b64 s[8:9], vcc
; %bb.10:
	v_add_u32_e32 v0, s4, v0
	v_mov_b32_e32 v1, 0
	v_lshlrev_b64 v[0:1], 2, v[0:1]
	v_mov_b32_e32 v3, s3
	v_add_co_u32_e32 v2, vcc, s2, v0
	v_addc_co_u32_e32 v3, vcc, v3, v1, vcc
	s_or_b64 s[6:7], s[6:7], exec
; %bb.11:
	s_or_b64 exec, exec, s[8:9]
	s_and_saveexec_b64 s[2:3], s[6:7]
	s_cbranch_execnz .LBB82_3
.LBB82_12:
	s_endpgm
.LBB82_13:
	s_or_b64 exec, exec, s[8:9]
	v_cmp_gt_i32_e32 vcc, s0, v0
	s_and_saveexec_b64 s[8:9], vcc
	s_cbranch_execz .LBB82_7
.LBB82_14:
	v_add_u32_e32 v2, s4, v0
	v_mov_b32_e32 v3, 0
	v_lshlrev_b64 v[2:3], 2, v[2:3]
	v_mov_b32_e32 v1, s3
	v_add_co_u32_e32 v2, vcc, s2, v2
	v_addc_co_u32_e32 v3, vcc, v1, v3, vcc
	v_add_u32_e32 v0, 0x100, v0
	v_mov_b32_e32 v1, s1
	global_store_dword v[2:3], v1, off
	s_or_b64 exec, exec, s[8:9]
	v_cmp_gt_i32_e32 vcc, s0, v0
	s_and_saveexec_b64 s[8:9], vcc
	s_cbranch_execz .LBB82_9
	s_branch .LBB82_8
	.section	.rodata,"a",@progbits
	.p2align	6, 0x0
	.amdhsa_kernel _ZN2at6native29vectorized_elementwise_kernelILi4ENS0_11FillFunctorIN3c107complexINS3_8BFloat16EEEEESt5arrayIPcLm1EEEEviT0_T1_
		.amdhsa_group_segment_fixed_size 0
		.amdhsa_private_segment_fixed_size 0
		.amdhsa_kernarg_size 16
		.amdhsa_user_sgpr_count 6
		.amdhsa_user_sgpr_private_segment_buffer 1
		.amdhsa_user_sgpr_dispatch_ptr 0
		.amdhsa_user_sgpr_queue_ptr 0
		.amdhsa_user_sgpr_kernarg_segment_ptr 1
		.amdhsa_user_sgpr_dispatch_id 0
		.amdhsa_user_sgpr_flat_scratch_init 0
		.amdhsa_user_sgpr_kernarg_preload_length 0
		.amdhsa_user_sgpr_kernarg_preload_offset 0
		.amdhsa_user_sgpr_private_segment_size 0
		.amdhsa_uses_dynamic_stack 0
		.amdhsa_system_sgpr_private_segment_wavefront_offset 0
		.amdhsa_system_sgpr_workgroup_id_x 1
		.amdhsa_system_sgpr_workgroup_id_y 0
		.amdhsa_system_sgpr_workgroup_id_z 0
		.amdhsa_system_sgpr_workgroup_info 0
		.amdhsa_system_vgpr_workitem_id 0
		.amdhsa_next_free_vgpr 7
		.amdhsa_next_free_sgpr 10
		.amdhsa_accum_offset 8
		.amdhsa_reserve_vcc 1
		.amdhsa_reserve_flat_scratch 0
		.amdhsa_float_round_mode_32 0
		.amdhsa_float_round_mode_16_64 0
		.amdhsa_float_denorm_mode_32 3
		.amdhsa_float_denorm_mode_16_64 3
		.amdhsa_dx10_clamp 1
		.amdhsa_ieee_mode 1
		.amdhsa_fp16_overflow 0
		.amdhsa_tg_split 0
		.amdhsa_exception_fp_ieee_invalid_op 0
		.amdhsa_exception_fp_denorm_src 0
		.amdhsa_exception_fp_ieee_div_zero 0
		.amdhsa_exception_fp_ieee_overflow 0
		.amdhsa_exception_fp_ieee_underflow 0
		.amdhsa_exception_fp_ieee_inexact 0
		.amdhsa_exception_int_div_zero 0
	.end_amdhsa_kernel
	.section	.text._ZN2at6native29vectorized_elementwise_kernelILi4ENS0_11FillFunctorIN3c107complexINS3_8BFloat16EEEEESt5arrayIPcLm1EEEEviT0_T1_,"axG",@progbits,_ZN2at6native29vectorized_elementwise_kernelILi4ENS0_11FillFunctorIN3c107complexINS3_8BFloat16EEEEESt5arrayIPcLm1EEEEviT0_T1_,comdat
.Lfunc_end82:
	.size	_ZN2at6native29vectorized_elementwise_kernelILi4ENS0_11FillFunctorIN3c107complexINS3_8BFloat16EEEEESt5arrayIPcLm1EEEEviT0_T1_, .Lfunc_end82-_ZN2at6native29vectorized_elementwise_kernelILi4ENS0_11FillFunctorIN3c107complexINS3_8BFloat16EEEEESt5arrayIPcLm1EEEEviT0_T1_
                                        ; -- End function
	.section	.AMDGPU.csdata,"",@progbits
; Kernel info:
; codeLenInByte = 416
; NumSgprs: 14
; NumVgprs: 7
; NumAgprs: 0
; TotalNumVgprs: 7
; ScratchSize: 0
; MemoryBound: 0
; FloatMode: 240
; IeeeMode: 1
; LDSByteSize: 0 bytes/workgroup (compile time only)
; SGPRBlocks: 1
; VGPRBlocks: 0
; NumSGPRsForWavesPerEU: 14
; NumVGPRsForWavesPerEU: 7
; AccumOffset: 8
; Occupancy: 8
; WaveLimiterHint : 0
; COMPUTE_PGM_RSRC2:SCRATCH_EN: 0
; COMPUTE_PGM_RSRC2:USER_SGPR: 6
; COMPUTE_PGM_RSRC2:TRAP_HANDLER: 0
; COMPUTE_PGM_RSRC2:TGID_X_EN: 1
; COMPUTE_PGM_RSRC2:TGID_Y_EN: 0
; COMPUTE_PGM_RSRC2:TGID_Z_EN: 0
; COMPUTE_PGM_RSRC2:TIDIG_COMP_CNT: 0
; COMPUTE_PGM_RSRC3_GFX90A:ACCUM_OFFSET: 1
; COMPUTE_PGM_RSRC3_GFX90A:TG_SPLIT: 0
	.section	.text._ZN2at6native29vectorized_elementwise_kernelILi2ENS0_11FillFunctorIN3c107complexINS3_8BFloat16EEEEESt5arrayIPcLm1EEEEviT0_T1_,"axG",@progbits,_ZN2at6native29vectorized_elementwise_kernelILi2ENS0_11FillFunctorIN3c107complexINS3_8BFloat16EEEEESt5arrayIPcLm1EEEEviT0_T1_,comdat
	.protected	_ZN2at6native29vectorized_elementwise_kernelILi2ENS0_11FillFunctorIN3c107complexINS3_8BFloat16EEEEESt5arrayIPcLm1EEEEviT0_T1_ ; -- Begin function _ZN2at6native29vectorized_elementwise_kernelILi2ENS0_11FillFunctorIN3c107complexINS3_8BFloat16EEEEESt5arrayIPcLm1EEEEviT0_T1_
	.globl	_ZN2at6native29vectorized_elementwise_kernelILi2ENS0_11FillFunctorIN3c107complexINS3_8BFloat16EEEEESt5arrayIPcLm1EEEEviT0_T1_
	.p2align	8
	.type	_ZN2at6native29vectorized_elementwise_kernelILi2ENS0_11FillFunctorIN3c107complexINS3_8BFloat16EEEEESt5arrayIPcLm1EEEEviT0_T1_,@function
_ZN2at6native29vectorized_elementwise_kernelILi2ENS0_11FillFunctorIN3c107complexINS3_8BFloat16EEEEESt5arrayIPcLm1EEEEviT0_T1_: ; @_ZN2at6native29vectorized_elementwise_kernelILi2ENS0_11FillFunctorIN3c107complexINS3_8BFloat16EEEEESt5arrayIPcLm1EEEEviT0_T1_
; %bb.0:
	s_load_dwordx4 s[0:3], s[4:5], 0x0
	s_lshl_b32 s4, s6, 10
	s_mov_b64 s[6:7], -1
	s_waitcnt lgkmcnt(0)
	s_sub_i32 s8, s0, s4
	s_cmpk_gt_i32 s8, 0x3ff
	s_cbranch_scc0 .LBB83_2
; %bb.1:
	s_ashr_i32 s5, s4, 31
	s_lshl_b64 s[6:7], s[4:5], 2
	s_mov_b32 s0, s1
	s_add_u32 s6, s2, s6
	s_addc_u32 s7, s3, s7
	v_lshlrev_b32_e32 v1, 3, v0
	v_pk_mov_b32 v[2:3], s[0:1], s[0:1] op_sel:[0,1]
	global_store_dwordx2 v1, v[2:3], s[6:7]
	global_store_dwordx2 v1, v[2:3], s[6:7] offset:2048
	s_mov_b64 s[6:7], 0
.LBB83_2:
	s_andn2_b64 vcc, exec, s[6:7]
	s_cbranch_vccnz .LBB83_8
; %bb.3:
	v_cmp_gt_i32_e32 vcc, s8, v0
	s_and_saveexec_b64 s[6:7], vcc
	s_cbranch_execnz .LBB83_9
; %bb.4:
	s_or_b64 exec, exec, s[6:7]
	v_cmp_gt_i32_e32 vcc, s8, v0
	s_and_saveexec_b64 s[6:7], vcc
	s_cbranch_execnz .LBB83_10
.LBB83_5:
	s_or_b64 exec, exec, s[6:7]
	v_cmp_gt_i32_e32 vcc, s8, v0
	s_and_saveexec_b64 s[6:7], vcc
	s_cbranch_execnz .LBB83_11
.LBB83_6:
	s_or_b64 exec, exec, s[6:7]
	v_cmp_gt_i32_e32 vcc, s8, v0
	s_and_saveexec_b64 s[6:7], vcc
	s_cbranch_execz .LBB83_8
.LBB83_7:
	v_add_u32_e32 v0, s4, v0
	v_mov_b32_e32 v1, 0
	v_lshlrev_b64 v[0:1], 2, v[0:1]
	v_mov_b32_e32 v2, s3
	v_add_co_u32_e32 v0, vcc, s2, v0
	v_addc_co_u32_e32 v1, vcc, v2, v1, vcc
	v_mov_b32_e32 v2, s1
	global_store_dword v[0:1], v2, off
.LBB83_8:
	s_endpgm
.LBB83_9:
	v_or_b32_e32 v2, 0x100, v0
	v_or_b32_e32 v0, s4, v0
	v_mov_b32_e32 v1, 0
	v_lshlrev_b64 v[0:1], 2, v[0:1]
	v_mov_b32_e32 v3, s3
	v_add_co_u32_e32 v0, vcc, s2, v0
	v_addc_co_u32_e32 v1, vcc, v3, v1, vcc
	v_mov_b32_e32 v3, s1
	global_store_dword v[0:1], v3, off
	v_mov_b32_e32 v0, v2
	s_or_b64 exec, exec, s[6:7]
	v_cmp_gt_i32_e32 vcc, s8, v0
	s_and_saveexec_b64 s[6:7], vcc
	s_cbranch_execz .LBB83_5
.LBB83_10:
	v_add_u32_e32 v2, s4, v0
	v_mov_b32_e32 v3, 0
	v_lshlrev_b64 v[2:3], 2, v[2:3]
	v_mov_b32_e32 v1, s3
	v_add_co_u32_e32 v2, vcc, s2, v2
	v_addc_co_u32_e32 v3, vcc, v1, v3, vcc
	v_add_u32_e32 v0, 0x100, v0
	v_mov_b32_e32 v1, s1
	global_store_dword v[2:3], v1, off
	s_or_b64 exec, exec, s[6:7]
	v_cmp_gt_i32_e32 vcc, s8, v0
	s_and_saveexec_b64 s[6:7], vcc
	s_cbranch_execz .LBB83_6
.LBB83_11:
	v_add_u32_e32 v2, s4, v0
	v_mov_b32_e32 v3, 0
	v_lshlrev_b64 v[2:3], 2, v[2:3]
	v_mov_b32_e32 v1, s3
	v_add_co_u32_e32 v2, vcc, s2, v2
	v_addc_co_u32_e32 v3, vcc, v1, v3, vcc
	v_add_u32_e32 v0, 0x100, v0
	v_mov_b32_e32 v1, s1
	global_store_dword v[2:3], v1, off
	s_or_b64 exec, exec, s[6:7]
	v_cmp_gt_i32_e32 vcc, s8, v0
	s_and_saveexec_b64 s[6:7], vcc
	s_cbranch_execnz .LBB83_7
	s_branch .LBB83_8
	.section	.rodata,"a",@progbits
	.p2align	6, 0x0
	.amdhsa_kernel _ZN2at6native29vectorized_elementwise_kernelILi2ENS0_11FillFunctorIN3c107complexINS3_8BFloat16EEEEESt5arrayIPcLm1EEEEviT0_T1_
		.amdhsa_group_segment_fixed_size 0
		.amdhsa_private_segment_fixed_size 0
		.amdhsa_kernarg_size 16
		.amdhsa_user_sgpr_count 6
		.amdhsa_user_sgpr_private_segment_buffer 1
		.amdhsa_user_sgpr_dispatch_ptr 0
		.amdhsa_user_sgpr_queue_ptr 0
		.amdhsa_user_sgpr_kernarg_segment_ptr 1
		.amdhsa_user_sgpr_dispatch_id 0
		.amdhsa_user_sgpr_flat_scratch_init 0
		.amdhsa_user_sgpr_kernarg_preload_length 0
		.amdhsa_user_sgpr_kernarg_preload_offset 0
		.amdhsa_user_sgpr_private_segment_size 0
		.amdhsa_uses_dynamic_stack 0
		.amdhsa_system_sgpr_private_segment_wavefront_offset 0
		.amdhsa_system_sgpr_workgroup_id_x 1
		.amdhsa_system_sgpr_workgroup_id_y 0
		.amdhsa_system_sgpr_workgroup_id_z 0
		.amdhsa_system_sgpr_workgroup_info 0
		.amdhsa_system_vgpr_workitem_id 0
		.amdhsa_next_free_vgpr 4
		.amdhsa_next_free_sgpr 9
		.amdhsa_accum_offset 4
		.amdhsa_reserve_vcc 1
		.amdhsa_reserve_flat_scratch 0
		.amdhsa_float_round_mode_32 0
		.amdhsa_float_round_mode_16_64 0
		.amdhsa_float_denorm_mode_32 3
		.amdhsa_float_denorm_mode_16_64 3
		.amdhsa_dx10_clamp 1
		.amdhsa_ieee_mode 1
		.amdhsa_fp16_overflow 0
		.amdhsa_tg_split 0
		.amdhsa_exception_fp_ieee_invalid_op 0
		.amdhsa_exception_fp_denorm_src 0
		.amdhsa_exception_fp_ieee_div_zero 0
		.amdhsa_exception_fp_ieee_overflow 0
		.amdhsa_exception_fp_ieee_underflow 0
		.amdhsa_exception_fp_ieee_inexact 0
		.amdhsa_exception_int_div_zero 0
	.end_amdhsa_kernel
	.section	.text._ZN2at6native29vectorized_elementwise_kernelILi2ENS0_11FillFunctorIN3c107complexINS3_8BFloat16EEEEESt5arrayIPcLm1EEEEviT0_T1_,"axG",@progbits,_ZN2at6native29vectorized_elementwise_kernelILi2ENS0_11FillFunctorIN3c107complexINS3_8BFloat16EEEEESt5arrayIPcLm1EEEEviT0_T1_,comdat
.Lfunc_end83:
	.size	_ZN2at6native29vectorized_elementwise_kernelILi2ENS0_11FillFunctorIN3c107complexINS3_8BFloat16EEEEESt5arrayIPcLm1EEEEviT0_T1_, .Lfunc_end83-_ZN2at6native29vectorized_elementwise_kernelILi2ENS0_11FillFunctorIN3c107complexINS3_8BFloat16EEEEESt5arrayIPcLm1EEEEviT0_T1_
                                        ; -- End function
	.section	.AMDGPU.csdata,"",@progbits
; Kernel info:
; codeLenInByte = 396
; NumSgprs: 13
; NumVgprs: 4
; NumAgprs: 0
; TotalNumVgprs: 4
; ScratchSize: 0
; MemoryBound: 0
; FloatMode: 240
; IeeeMode: 1
; LDSByteSize: 0 bytes/workgroup (compile time only)
; SGPRBlocks: 1
; VGPRBlocks: 0
; NumSGPRsForWavesPerEU: 13
; NumVGPRsForWavesPerEU: 4
; AccumOffset: 4
; Occupancy: 8
; WaveLimiterHint : 1
; COMPUTE_PGM_RSRC2:SCRATCH_EN: 0
; COMPUTE_PGM_RSRC2:USER_SGPR: 6
; COMPUTE_PGM_RSRC2:TRAP_HANDLER: 0
; COMPUTE_PGM_RSRC2:TGID_X_EN: 1
; COMPUTE_PGM_RSRC2:TGID_Y_EN: 0
; COMPUTE_PGM_RSRC2:TGID_Z_EN: 0
; COMPUTE_PGM_RSRC2:TIDIG_COMP_CNT: 0
; COMPUTE_PGM_RSRC3_GFX90A:ACCUM_OFFSET: 0
; COMPUTE_PGM_RSRC3_GFX90A:TG_SPLIT: 0
	.section	.text._ZN2at6native27unrolled_elementwise_kernelINS0_11FillFunctorIN3c107complexINS3_8BFloat16EEEEESt5arrayIPcLm1EELi4E23TrivialOffsetCalculatorILi0EjESB_ILi1EjENS0_6memory15LoadWithoutCastENSE_16StoreWithoutCastEEEviT_T0_T2_T3_T4_T5_,"axG",@progbits,_ZN2at6native27unrolled_elementwise_kernelINS0_11FillFunctorIN3c107complexINS3_8BFloat16EEEEESt5arrayIPcLm1EELi4E23TrivialOffsetCalculatorILi0EjESB_ILi1EjENS0_6memory15LoadWithoutCastENSE_16StoreWithoutCastEEEviT_T0_T2_T3_T4_T5_,comdat
	.protected	_ZN2at6native27unrolled_elementwise_kernelINS0_11FillFunctorIN3c107complexINS3_8BFloat16EEEEESt5arrayIPcLm1EELi4E23TrivialOffsetCalculatorILi0EjESB_ILi1EjENS0_6memory15LoadWithoutCastENSE_16StoreWithoutCastEEEviT_T0_T2_T3_T4_T5_ ; -- Begin function _ZN2at6native27unrolled_elementwise_kernelINS0_11FillFunctorIN3c107complexINS3_8BFloat16EEEEESt5arrayIPcLm1EELi4E23TrivialOffsetCalculatorILi0EjESB_ILi1EjENS0_6memory15LoadWithoutCastENSE_16StoreWithoutCastEEEviT_T0_T2_T3_T4_T5_
	.globl	_ZN2at6native27unrolled_elementwise_kernelINS0_11FillFunctorIN3c107complexINS3_8BFloat16EEEEESt5arrayIPcLm1EELi4E23TrivialOffsetCalculatorILi0EjESB_ILi1EjENS0_6memory15LoadWithoutCastENSE_16StoreWithoutCastEEEviT_T0_T2_T3_T4_T5_
	.p2align	8
	.type	_ZN2at6native27unrolled_elementwise_kernelINS0_11FillFunctorIN3c107complexINS3_8BFloat16EEEEESt5arrayIPcLm1EELi4E23TrivialOffsetCalculatorILi0EjESB_ILi1EjENS0_6memory15LoadWithoutCastENSE_16StoreWithoutCastEEEviT_T0_T2_T3_T4_T5_,@function
_ZN2at6native27unrolled_elementwise_kernelINS0_11FillFunctorIN3c107complexINS3_8BFloat16EEEEESt5arrayIPcLm1EELi4E23TrivialOffsetCalculatorILi0EjESB_ILi1EjENS0_6memory15LoadWithoutCastENSE_16StoreWithoutCastEEEviT_T0_T2_T3_T4_T5_: ; @_ZN2at6native27unrolled_elementwise_kernelINS0_11FillFunctorIN3c107complexINS3_8BFloat16EEEEESt5arrayIPcLm1EELi4E23TrivialOffsetCalculatorILi0EjESB_ILi1EjENS0_6memory15LoadWithoutCastENSE_16StoreWithoutCastEEEviT_T0_T2_T3_T4_T5_
; %bb.0:
	s_load_dwordx4 s[0:3], s[4:5], 0x0
	s_lshl_b32 s6, s6, 10
	s_waitcnt lgkmcnt(0)
	s_sub_i32 s0, s0, s6
	v_cmp_gt_i32_e32 vcc, s0, v0
	s_and_saveexec_b64 s[4:5], vcc
	s_cbranch_execnz .LBB84_5
; %bb.1:
	s_or_b64 exec, exec, s[4:5]
	v_cmp_gt_i32_e32 vcc, s0, v0
	s_and_saveexec_b64 s[4:5], vcc
	s_cbranch_execnz .LBB84_6
.LBB84_2:
	s_or_b64 exec, exec, s[4:5]
	v_cmp_gt_i32_e32 vcc, s0, v0
	s_and_saveexec_b64 s[4:5], vcc
	s_cbranch_execnz .LBB84_7
.LBB84_3:
	s_or_b64 exec, exec, s[4:5]
	v_cmp_gt_i32_e32 vcc, s0, v0
	s_and_saveexec_b64 s[4:5], vcc
	s_cbranch_execnz .LBB84_8
.LBB84_4:
	s_endpgm
.LBB84_5:
	v_or_b32_e32 v2, s6, v0
	v_mov_b32_e32 v3, 0
	v_lshlrev_b64 v[2:3], 2, v[2:3]
	v_mov_b32_e32 v1, s3
	v_add_co_u32_e32 v2, vcc, s2, v2
	v_addc_co_u32_e32 v3, vcc, v1, v3, vcc
	v_or_b32_e32 v0, 0x100, v0
	v_mov_b32_e32 v1, s1
	global_store_dword v[2:3], v1, off
	s_or_b64 exec, exec, s[4:5]
	v_cmp_gt_i32_e32 vcc, s0, v0
	s_and_saveexec_b64 s[4:5], vcc
	s_cbranch_execz .LBB84_2
.LBB84_6:
	v_add_u32_e32 v2, 0x100, v0
	v_add_u32_e32 v0, s6, v0
	v_mov_b32_e32 v1, 0
	v_lshlrev_b64 v[0:1], 2, v[0:1]
	v_mov_b32_e32 v3, s3
	v_add_co_u32_e32 v0, vcc, s2, v0
	v_addc_co_u32_e32 v1, vcc, v3, v1, vcc
	v_mov_b32_e32 v3, s1
	global_store_dword v[0:1], v3, off
	v_mov_b32_e32 v0, v2
	s_or_b64 exec, exec, s[4:5]
	v_cmp_gt_i32_e32 vcc, s0, v0
	s_and_saveexec_b64 s[4:5], vcc
	s_cbranch_execz .LBB84_3
.LBB84_7:
	v_add_u32_e32 v2, 0x100, v0
	v_add_u32_e32 v0, s6, v0
	v_mov_b32_e32 v1, 0
	v_lshlrev_b64 v[0:1], 2, v[0:1]
	v_mov_b32_e32 v3, s3
	v_add_co_u32_e32 v0, vcc, s2, v0
	v_addc_co_u32_e32 v1, vcc, v3, v1, vcc
	v_mov_b32_e32 v3, s1
	global_store_dword v[0:1], v3, off
	v_mov_b32_e32 v0, v2
	s_or_b64 exec, exec, s[4:5]
	v_cmp_gt_i32_e32 vcc, s0, v0
	s_and_saveexec_b64 s[4:5], vcc
	s_cbranch_execz .LBB84_4
.LBB84_8:
	v_add_u32_e32 v0, s6, v0
	v_mov_b32_e32 v1, 0
	v_lshlrev_b64 v[0:1], 2, v[0:1]
	v_mov_b32_e32 v2, s3
	v_add_co_u32_e32 v0, vcc, s2, v0
	v_addc_co_u32_e32 v1, vcc, v2, v1, vcc
	v_mov_b32_e32 v2, s1
	global_store_dword v[0:1], v2, off
	s_endpgm
	.section	.rodata,"a",@progbits
	.p2align	6, 0x0
	.amdhsa_kernel _ZN2at6native27unrolled_elementwise_kernelINS0_11FillFunctorIN3c107complexINS3_8BFloat16EEEEESt5arrayIPcLm1EELi4E23TrivialOffsetCalculatorILi0EjESB_ILi1EjENS0_6memory15LoadWithoutCastENSE_16StoreWithoutCastEEEviT_T0_T2_T3_T4_T5_
		.amdhsa_group_segment_fixed_size 0
		.amdhsa_private_segment_fixed_size 0
		.amdhsa_kernarg_size 20
		.amdhsa_user_sgpr_count 6
		.amdhsa_user_sgpr_private_segment_buffer 1
		.amdhsa_user_sgpr_dispatch_ptr 0
		.amdhsa_user_sgpr_queue_ptr 0
		.amdhsa_user_sgpr_kernarg_segment_ptr 1
		.amdhsa_user_sgpr_dispatch_id 0
		.amdhsa_user_sgpr_flat_scratch_init 0
		.amdhsa_user_sgpr_kernarg_preload_length 0
		.amdhsa_user_sgpr_kernarg_preload_offset 0
		.amdhsa_user_sgpr_private_segment_size 0
		.amdhsa_uses_dynamic_stack 0
		.amdhsa_system_sgpr_private_segment_wavefront_offset 0
		.amdhsa_system_sgpr_workgroup_id_x 1
		.amdhsa_system_sgpr_workgroup_id_y 0
		.amdhsa_system_sgpr_workgroup_id_z 0
		.amdhsa_system_sgpr_workgroup_info 0
		.amdhsa_system_vgpr_workitem_id 0
		.amdhsa_next_free_vgpr 4
		.amdhsa_next_free_sgpr 7
		.amdhsa_accum_offset 4
		.amdhsa_reserve_vcc 1
		.amdhsa_reserve_flat_scratch 0
		.amdhsa_float_round_mode_32 0
		.amdhsa_float_round_mode_16_64 0
		.amdhsa_float_denorm_mode_32 3
		.amdhsa_float_denorm_mode_16_64 3
		.amdhsa_dx10_clamp 1
		.amdhsa_ieee_mode 1
		.amdhsa_fp16_overflow 0
		.amdhsa_tg_split 0
		.amdhsa_exception_fp_ieee_invalid_op 0
		.amdhsa_exception_fp_denorm_src 0
		.amdhsa_exception_fp_ieee_div_zero 0
		.amdhsa_exception_fp_ieee_overflow 0
		.amdhsa_exception_fp_ieee_underflow 0
		.amdhsa_exception_fp_ieee_inexact 0
		.amdhsa_exception_int_div_zero 0
	.end_amdhsa_kernel
	.section	.text._ZN2at6native27unrolled_elementwise_kernelINS0_11FillFunctorIN3c107complexINS3_8BFloat16EEEEESt5arrayIPcLm1EELi4E23TrivialOffsetCalculatorILi0EjESB_ILi1EjENS0_6memory15LoadWithoutCastENSE_16StoreWithoutCastEEEviT_T0_T2_T3_T4_T5_,"axG",@progbits,_ZN2at6native27unrolled_elementwise_kernelINS0_11FillFunctorIN3c107complexINS3_8BFloat16EEEEESt5arrayIPcLm1EELi4E23TrivialOffsetCalculatorILi0EjESB_ILi1EjENS0_6memory15LoadWithoutCastENSE_16StoreWithoutCastEEEviT_T0_T2_T3_T4_T5_,comdat
.Lfunc_end84:
	.size	_ZN2at6native27unrolled_elementwise_kernelINS0_11FillFunctorIN3c107complexINS3_8BFloat16EEEEESt5arrayIPcLm1EELi4E23TrivialOffsetCalculatorILi0EjESB_ILi1EjENS0_6memory15LoadWithoutCastENSE_16StoreWithoutCastEEEviT_T0_T2_T3_T4_T5_, .Lfunc_end84-_ZN2at6native27unrolled_elementwise_kernelINS0_11FillFunctorIN3c107complexINS3_8BFloat16EEEEESt5arrayIPcLm1EELi4E23TrivialOffsetCalculatorILi0EjESB_ILi1EjENS0_6memory15LoadWithoutCastENSE_16StoreWithoutCastEEEviT_T0_T2_T3_T4_T5_
                                        ; -- End function
	.section	.AMDGPU.csdata,"",@progbits
; Kernel info:
; codeLenInByte = 328
; NumSgprs: 11
; NumVgprs: 4
; NumAgprs: 0
; TotalNumVgprs: 4
; ScratchSize: 0
; MemoryBound: 0
; FloatMode: 240
; IeeeMode: 1
; LDSByteSize: 0 bytes/workgroup (compile time only)
; SGPRBlocks: 1
; VGPRBlocks: 0
; NumSGPRsForWavesPerEU: 11
; NumVGPRsForWavesPerEU: 4
; AccumOffset: 4
; Occupancy: 8
; WaveLimiterHint : 0
; COMPUTE_PGM_RSRC2:SCRATCH_EN: 0
; COMPUTE_PGM_RSRC2:USER_SGPR: 6
; COMPUTE_PGM_RSRC2:TRAP_HANDLER: 0
; COMPUTE_PGM_RSRC2:TGID_X_EN: 1
; COMPUTE_PGM_RSRC2:TGID_Y_EN: 0
; COMPUTE_PGM_RSRC2:TGID_Z_EN: 0
; COMPUTE_PGM_RSRC2:TIDIG_COMP_CNT: 0
; COMPUTE_PGM_RSRC3_GFX90A:ACCUM_OFFSET: 0
; COMPUTE_PGM_RSRC3_GFX90A:TG_SPLIT: 0
	.section	.text._ZN2at6native32elementwise_kernel_manual_unrollILi128ELi4EZNS0_22gpu_kernel_impl_nocastINS0_11FillFunctorIN3c107complexINS4_8BFloat16EEEEEEEvRNS_18TensorIteratorBaseERKT_EUlibE_EEviT1_,"axG",@progbits,_ZN2at6native32elementwise_kernel_manual_unrollILi128ELi4EZNS0_22gpu_kernel_impl_nocastINS0_11FillFunctorIN3c107complexINS4_8BFloat16EEEEEEEvRNS_18TensorIteratorBaseERKT_EUlibE_EEviT1_,comdat
	.protected	_ZN2at6native32elementwise_kernel_manual_unrollILi128ELi4EZNS0_22gpu_kernel_impl_nocastINS0_11FillFunctorIN3c107complexINS4_8BFloat16EEEEEEEvRNS_18TensorIteratorBaseERKT_EUlibE_EEviT1_ ; -- Begin function _ZN2at6native32elementwise_kernel_manual_unrollILi128ELi4EZNS0_22gpu_kernel_impl_nocastINS0_11FillFunctorIN3c107complexINS4_8BFloat16EEEEEEEvRNS_18TensorIteratorBaseERKT_EUlibE_EEviT1_
	.globl	_ZN2at6native32elementwise_kernel_manual_unrollILi128ELi4EZNS0_22gpu_kernel_impl_nocastINS0_11FillFunctorIN3c107complexINS4_8BFloat16EEEEEEEvRNS_18TensorIteratorBaseERKT_EUlibE_EEviT1_
	.p2align	8
	.type	_ZN2at6native32elementwise_kernel_manual_unrollILi128ELi4EZNS0_22gpu_kernel_impl_nocastINS0_11FillFunctorIN3c107complexINS4_8BFloat16EEEEEEEvRNS_18TensorIteratorBaseERKT_EUlibE_EEviT1_,@function
_ZN2at6native32elementwise_kernel_manual_unrollILi128ELi4EZNS0_22gpu_kernel_impl_nocastINS0_11FillFunctorIN3c107complexINS4_8BFloat16EEEEEEEvRNS_18TensorIteratorBaseERKT_EUlibE_EEviT1_: ; @_ZN2at6native32elementwise_kernel_manual_unrollILi128ELi4EZNS0_22gpu_kernel_impl_nocastINS0_11FillFunctorIN3c107complexINS4_8BFloat16EEEEEEEvRNS_18TensorIteratorBaseERKT_EUlibE_EEviT1_
; %bb.0:
	s_load_dword s48, s[4:5], 0x0
	s_load_dword s33, s[4:5], 0x8
	s_or_b32 s4, s4, 8
	v_lshl_or_b32 v4, s6, 9, v0
	v_or_b32_e32 v8, 0x180, v4
	s_waitcnt lgkmcnt(0)
	v_cmp_le_i32_e32 vcc, s48, v8
	s_add_i32 s46, s33, -1
	s_cmp_gt_u32 s46, 1
	s_cselect_b64 s[6:7], -1, 0
	s_and_saveexec_b64 s[0:1], vcc
	s_xor_b64 s[24:25], exec, s[0:1]
	s_cbranch_execz .LBB85_7
; %bb.1:
	s_load_dwordx4 s[0:3], s[4:5], 0x4
	s_load_dwordx2 s[30:31], s[4:5], 0x14
	s_load_dwordx2 s[28:29], s[4:5], 0xc4
	;; [unrolled: 1-line block ×3, first 2 shown]
	s_load_dword s47, s[4:5], 0x110
	s_cmp_lg_u32 s33, 0
	s_cselect_b64 s[38:39], -1, 0
	s_add_u32 s36, s4, 0xc4
	s_addc_u32 s37, s5, 0
	s_min_u32 s49, s46, 15
	s_cmp_gt_u32 s33, 1
	s_cselect_b64 s[34:35], -1, 0
	v_cmp_gt_i32_e32 vcc, s48, v4
	s_and_saveexec_b64 s[40:41], vcc
	s_cbranch_execz .LBB85_14
; %bb.2:
	s_andn2_b64 vcc, exec, s[6:7]
	s_cbranch_vccnz .LBB85_21
; %bb.3:
	s_andn2_b64 vcc, exec, s[38:39]
	s_cbranch_vccnz .LBB85_69
; %bb.4:
	s_add_i32 s51, s49, 1
	s_mov_b32 s50, 0
	s_cmp_eq_u32 s46, 2
	v_mov_b32_e32 v0, 0
	s_cbranch_scc1 .LBB85_71
; %bb.5:
	s_and_b32 s50, s51, 28
	s_mov_b32 s52, 0
	v_mov_b32_e32 v0, 0
	s_mov_b64 s[42:43], s[4:5]
	s_mov_b64 s[44:45], s[36:37]
	v_mov_b32_e32 v2, v4
.LBB85_6:                               ; =>This Inner Loop Header: Depth=1
	s_load_dwordx8 s[8:15], s[42:43], 0x4
	s_load_dwordx4 s[16:19], s[42:43], 0x24
	s_load_dwordx4 s[20:23], s[44:45], 0x0
	s_add_u32 s42, s42, 48
	s_addc_u32 s43, s43, 0
	s_waitcnt lgkmcnt(0)
	v_mul_hi_u32 v1, s9, v2
	v_add_u32_e32 v1, v2, v1
	v_lshrrev_b32_e32 v1, s10, v1
	v_mul_lo_u32 v3, v1, s8
	v_mul_hi_u32 v5, s12, v1
	v_sub_u32_e32 v2, v2, v3
	v_add_u32_e32 v3, v1, v5
	v_lshrrev_b32_e32 v3, s13, v3
	v_mul_lo_u32 v5, v3, s11
	v_mul_hi_u32 v6, s15, v3
	v_sub_u32_e32 v1, v1, v5
	v_add_u32_e32 v5, v3, v6
	v_mul_lo_u32 v2, v2, s20
	v_mul_lo_u32 v1, v1, s21
	v_lshrrev_b32_e32 v5, s16, v5
	v_add3_u32 v0, v2, v0, v1
	v_mul_hi_u32 v2, s18, v5
	v_add_u32_e32 v2, v5, v2
	v_mul_lo_u32 v1, v5, s14
	v_lshrrev_b32_e32 v2, s19, v2
	s_add_i32 s52, s52, 4
	v_sub_u32_e32 v1, v3, v1
	v_mul_lo_u32 v3, v2, s17
	s_add_u32 s44, s44, 16
	v_sub_u32_e32 v3, v5, v3
	s_addc_u32 s45, s45, 0
	v_mul_lo_u32 v1, v1, s22
	v_mul_lo_u32 v3, v3, s23
	s_cmp_lg_u32 s50, s52
	v_add3_u32 v0, v1, v0, v3
	s_cbranch_scc1 .LBB85_6
	s_branch .LBB85_72
.LBB85_7:
	s_andn2_saveexec_b64 s[0:1], s[24:25]
	s_cbranch_execz .LBB85_97
.LBB85_8:
	v_cndmask_b32_e64 v0, 0, 1, s[6:7]
	v_cmp_ne_u32_e64 s[0:1], 1, v0
	s_andn2_b64 vcc, exec, s[6:7]
	s_cbranch_vccnz .LBB85_20
; %bb.9:
	s_mov_b32 s24, 0
	s_cmp_eq_u32 s33, 0
	v_mov_b32_e32 v0, 0
	s_cbranch_scc1 .LBB85_26
; %bb.10:
	s_min_u32 s25, s46, 15
	s_add_i32 s25, s25, 1
	s_cmp_eq_u32 s46, 2
	v_mov_b32_e32 v0, 0
	s_cbranch_scc1 .LBB85_23
; %bb.11:
	s_add_u32 s2, s4, 0xc4
	s_addc_u32 s3, s5, 0
	s_and_b32 s24, s25, 28
	s_mov_b32 s26, 0
	v_mov_b32_e32 v0, 0
	s_mov_b64 s[6:7], s[4:5]
	v_mov_b32_e32 v2, v4
.LBB85_12:                              ; =>This Inner Loop Header: Depth=1
	s_load_dwordx8 s[8:15], s[6:7], 0x4
	s_load_dwordx4 s[16:19], s[6:7], 0x24
	s_load_dwordx4 s[20:23], s[2:3], 0x0
	s_add_u32 s6, s6, 48
	s_addc_u32 s7, s7, 0
	s_waitcnt lgkmcnt(0)
	v_mul_hi_u32 v1, s9, v2
	v_add_u32_e32 v1, v2, v1
	v_lshrrev_b32_e32 v1, s10, v1
	v_mul_lo_u32 v3, v1, s8
	v_mul_hi_u32 v5, s12, v1
	v_sub_u32_e32 v2, v2, v3
	v_add_u32_e32 v3, v1, v5
	v_lshrrev_b32_e32 v3, s13, v3
	v_mul_lo_u32 v5, v3, s11
	v_mul_hi_u32 v6, s15, v3
	v_sub_u32_e32 v1, v1, v5
	v_add_u32_e32 v5, v3, v6
	v_mul_lo_u32 v2, v2, s20
	v_mul_lo_u32 v1, v1, s21
	v_lshrrev_b32_e32 v5, s16, v5
	v_add3_u32 v0, v2, v0, v1
	v_mul_hi_u32 v2, s18, v5
	v_add_u32_e32 v2, v5, v2
	v_mul_lo_u32 v1, v5, s14
	v_lshrrev_b32_e32 v2, s19, v2
	s_add_i32 s26, s26, 4
	v_sub_u32_e32 v1, v3, v1
	v_mul_lo_u32 v3, v2, s17
	s_add_u32 s2, s2, 16
	v_sub_u32_e32 v3, v5, v3
	s_addc_u32 s3, s3, 0
	v_mul_lo_u32 v1, v1, s22
	v_mul_lo_u32 v3, v3, s23
	s_cmp_lg_u32 s24, s26
	v_add3_u32 v0, v1, v0, v3
	s_cbranch_scc1 .LBB85_12
; %bb.13:
	s_and_b32 s8, s25, 3
	s_cmp_eq_u32 s8, 0
	s_cbranch_scc0 .LBB85_24
	s_branch .LBB85_26
.LBB85_14:
	s_or_b64 exec, exec, s[40:41]
	v_cmp_gt_i32_e32 vcc, s48, v4
	s_and_saveexec_b64 s[40:41], vcc
	s_cbranch_execz .LBB85_79
.LBB85_15:
	s_andn2_b64 vcc, exec, s[6:7]
	s_cbranch_vccnz .LBB85_22
; %bb.16:
	s_andn2_b64 vcc, exec, s[38:39]
	s_cbranch_vccnz .LBB85_70
; %bb.17:
	s_add_i32 s51, s49, 1
	s_mov_b32 s50, 0
	s_cmp_eq_u32 s46, 2
	v_mov_b32_e32 v0, 0
	s_cbranch_scc1 .LBB85_87
; %bb.18:
	s_and_b32 s50, s51, 28
	s_mov_b32 s52, 0
	v_mov_b32_e32 v0, 0
	s_mov_b64 s[42:43], s[4:5]
	s_mov_b64 s[44:45], s[36:37]
	v_mov_b32_e32 v2, v4
.LBB85_19:                              ; =>This Inner Loop Header: Depth=1
	s_load_dwordx8 s[8:15], s[42:43], 0x4
	s_load_dwordx4 s[16:19], s[42:43], 0x24
	s_load_dwordx4 s[20:23], s[44:45], 0x0
	s_add_u32 s42, s42, 48
	s_addc_u32 s43, s43, 0
	s_waitcnt lgkmcnt(0)
	v_mul_hi_u32 v1, s9, v2
	v_add_u32_e32 v1, v2, v1
	v_lshrrev_b32_e32 v1, s10, v1
	v_mul_lo_u32 v3, v1, s8
	v_mul_hi_u32 v5, s12, v1
	v_sub_u32_e32 v2, v2, v3
	v_add_u32_e32 v3, v1, v5
	v_lshrrev_b32_e32 v3, s13, v3
	v_mul_lo_u32 v5, v3, s11
	v_mul_hi_u32 v6, s15, v3
	v_sub_u32_e32 v1, v1, v5
	v_add_u32_e32 v5, v3, v6
	v_mul_lo_u32 v2, v2, s20
	v_mul_lo_u32 v1, v1, s21
	v_lshrrev_b32_e32 v5, s16, v5
	v_add3_u32 v0, v2, v0, v1
	v_mul_hi_u32 v2, s18, v5
	v_add_u32_e32 v2, v5, v2
	v_mul_lo_u32 v1, v5, s14
	v_lshrrev_b32_e32 v2, s19, v2
	s_add_i32 s52, s52, 4
	v_sub_u32_e32 v1, v3, v1
	v_mul_lo_u32 v3, v2, s17
	s_add_u32 s44, s44, 16
	v_sub_u32_e32 v3, v5, v3
	s_addc_u32 s45, s45, 0
	v_mul_lo_u32 v1, v1, s22
	v_mul_lo_u32 v3, v3, s23
	s_cmp_eq_u32 s50, s52
	v_add3_u32 v0, v1, v0, v3
	s_cbranch_scc0 .LBB85_19
	s_branch .LBB85_88
.LBB85_20:
                                        ; implicit-def: $vgpr0
	s_branch .LBB85_27
.LBB85_21:
                                        ; implicit-def: $vgpr0
	s_branch .LBB85_76
.LBB85_22:
                                        ; implicit-def: $vgpr0
	s_branch .LBB85_92
.LBB85_23:
	v_mov_b32_e32 v2, v4
	s_and_b32 s8, s25, 3
	s_cmp_eq_u32 s8, 0
	s_cbranch_scc1 .LBB85_26
.LBB85_24:
	s_lshl_b32 s2, s24, 2
	s_add_u32 s2, s2, s4
	s_addc_u32 s3, 0, s5
	s_add_u32 s2, s2, 0xc4
	s_addc_u32 s3, s3, 0
	s_mul_i32 s6, s24, 12
	s_add_u32 s6, s4, s6
	s_addc_u32 s7, 0, s5
.LBB85_25:                              ; =>This Inner Loop Header: Depth=1
	s_load_dwordx2 s[10:11], s[6:7], 0x4
	s_load_dword s9, s[6:7], 0xc
	s_load_dword s12, s[2:3], 0x0
	s_add_u32 s6, s6, 12
	s_addc_u32 s7, s7, 0
	s_waitcnt lgkmcnt(0)
	v_mul_hi_u32 v1, s11, v2
	v_add_u32_e32 v1, v2, v1
	v_lshrrev_b32_e32 v1, s9, v1
	s_add_u32 s2, s2, 4
	v_mul_lo_u32 v3, v1, s10
	s_addc_u32 s3, s3, 0
	s_add_i32 s8, s8, -1
	v_sub_u32_e32 v3, v2, v3
	s_cmp_lg_u32 s8, 0
	v_mov_b32_e32 v2, v1
	v_mad_u64_u32 v[0:1], s[10:11], v3, s12, v[0:1]
	s_cbranch_scc1 .LBB85_25
.LBB85_26:
	s_cbranch_execnz .LBB85_29
.LBB85_27:
	s_load_dwordx4 s[8:11], s[4:5], 0x4
	s_load_dword s2, s[4:5], 0xc4
	s_cmp_lt_u32 s33, 2
	s_waitcnt lgkmcnt(0)
	v_mul_hi_u32 v0, s9, v4
	v_add_u32_e32 v0, v4, v0
	v_lshrrev_b32_e32 v1, s10, v0
	v_mul_lo_u32 v0, v1, s8
	v_sub_u32_e32 v0, v4, v0
	v_mul_lo_u32 v0, v0, s2
	s_cbranch_scc1 .LBB85_29
; %bb.28:
	s_load_dwordx4 s[8:11], s[4:5], 0x10
	s_load_dword s2, s[4:5], 0xc8
	s_waitcnt lgkmcnt(0)
	v_mul_hi_u32 v2, s9, v1
	v_add_u32_e32 v2, v1, v2
	v_lshrrev_b32_e32 v2, s10, v2
	v_mul_lo_u32 v2, v2, s8
	v_sub_u32_e32 v1, v1, v2
	v_mad_u64_u32 v[0:1], s[2:3], v1, s2, v[0:1]
.LBB85_29:
	s_and_b64 vcc, exec, s[0:1]
	v_add_u32_e32 v1, 0x80, v4
	s_cbranch_vccnz .LBB85_35
; %bb.30:
	s_mov_b32 s24, 0
	s_cmp_eq_u32 s33, 0
	v_mov_b32_e32 v2, 0
	s_cbranch_scc1 .LBB85_39
; %bb.31:
	s_min_u32 s25, s46, 15
	s_add_i32 s25, s25, 1
	s_cmp_eq_u32 s46, 2
	v_mov_b32_e32 v2, 0
	s_cbranch_scc1 .LBB85_36
; %bb.32:
	s_add_u32 s2, s4, 0xc4
	s_addc_u32 s3, s5, 0
	s_and_b32 s24, s25, 28
	s_mov_b32 s26, 0
	v_mov_b32_e32 v2, 0
	s_mov_b64 s[6:7], s[4:5]
	v_mov_b32_e32 v5, v1
.LBB85_33:                              ; =>This Inner Loop Header: Depth=1
	s_load_dwordx8 s[8:15], s[6:7], 0x4
	s_load_dwordx4 s[16:19], s[6:7], 0x24
	s_load_dwordx4 s[20:23], s[2:3], 0x0
	s_add_u32 s6, s6, 48
	s_addc_u32 s7, s7, 0
	s_waitcnt lgkmcnt(0)
	v_mul_hi_u32 v3, s9, v5
	v_add_u32_e32 v3, v5, v3
	v_lshrrev_b32_e32 v3, s10, v3
	v_mul_lo_u32 v6, v3, s8
	v_mul_hi_u32 v7, s12, v3
	v_sub_u32_e32 v5, v5, v6
	v_add_u32_e32 v6, v3, v7
	v_lshrrev_b32_e32 v6, s13, v6
	v_mul_lo_u32 v7, v6, s11
	v_mul_hi_u32 v9, s15, v6
	v_sub_u32_e32 v3, v3, v7
	v_add_u32_e32 v7, v6, v9
	v_mul_lo_u32 v5, v5, s20
	v_mul_lo_u32 v3, v3, s21
	v_lshrrev_b32_e32 v7, s16, v7
	v_add3_u32 v2, v5, v2, v3
	v_mul_hi_u32 v5, s18, v7
	v_add_u32_e32 v5, v7, v5
	v_mul_lo_u32 v3, v7, s14
	v_lshrrev_b32_e32 v5, s19, v5
	s_add_i32 s26, s26, 4
	v_sub_u32_e32 v3, v6, v3
	v_mul_lo_u32 v6, v5, s17
	s_add_u32 s2, s2, 16
	v_sub_u32_e32 v6, v7, v6
	s_addc_u32 s3, s3, 0
	v_mul_lo_u32 v3, v3, s22
	v_mul_lo_u32 v6, v6, s23
	s_cmp_lg_u32 s24, s26
	v_add3_u32 v2, v3, v2, v6
	s_cbranch_scc1 .LBB85_33
; %bb.34:
	s_and_b32 s8, s25, 3
	s_cmp_eq_u32 s8, 0
	s_cbranch_scc0 .LBB85_37
	s_branch .LBB85_39
.LBB85_35:
                                        ; implicit-def: $vgpr2
	s_branch .LBB85_40
.LBB85_36:
	v_mov_b32_e32 v5, v1
	s_and_b32 s8, s25, 3
	s_cmp_eq_u32 s8, 0
	s_cbranch_scc1 .LBB85_39
.LBB85_37:
	s_lshl_b32 s2, s24, 2
	s_add_u32 s2, s2, s4
	s_addc_u32 s3, 0, s5
	s_add_u32 s2, s2, 0xc4
	s_addc_u32 s3, s3, 0
	s_mul_i32 s6, s24, 12
	s_add_u32 s6, s4, s6
	s_addc_u32 s7, 0, s5
.LBB85_38:                              ; =>This Inner Loop Header: Depth=1
	s_load_dwordx2 s[10:11], s[6:7], 0x4
	s_load_dword s9, s[6:7], 0xc
	s_load_dword s12, s[2:3], 0x0
	s_add_u32 s6, s6, 12
	s_addc_u32 s7, s7, 0
	s_waitcnt lgkmcnt(0)
	v_mul_hi_u32 v3, s11, v5
	v_add_u32_e32 v3, v5, v3
	v_lshrrev_b32_e32 v3, s9, v3
	s_add_u32 s2, s2, 4
	v_mul_lo_u32 v6, v3, s10
	s_addc_u32 s3, s3, 0
	s_add_i32 s8, s8, -1
	v_sub_u32_e32 v6, v5, v6
	s_cmp_lg_u32 s8, 0
	v_mov_b32_e32 v5, v3
	v_mad_u64_u32 v[2:3], s[10:11], v6, s12, v[2:3]
	s_cbranch_scc1 .LBB85_38
.LBB85_39:
	s_cbranch_execnz .LBB85_42
.LBB85_40:
	s_load_dwordx4 s[8:11], s[4:5], 0x4
	s_load_dword s2, s[4:5], 0xc4
	s_cmp_lt_u32 s33, 2
	s_waitcnt lgkmcnt(0)
	v_mul_hi_u32 v2, s9, v1
	v_add_u32_e32 v2, v1, v2
	v_lshrrev_b32_e32 v3, s10, v2
	v_mul_lo_u32 v2, v3, s8
	v_sub_u32_e32 v1, v1, v2
	v_mul_lo_u32 v2, v1, s2
	s_cbranch_scc1 .LBB85_42
; %bb.41:
	s_load_dwordx4 s[8:11], s[4:5], 0x10
	s_load_dword s2, s[4:5], 0xc8
	s_waitcnt lgkmcnt(0)
	v_mul_hi_u32 v1, s9, v3
	v_add_u32_e32 v1, v3, v1
	v_lshrrev_b32_e32 v1, s10, v1
	v_mul_lo_u32 v1, v1, s8
	v_sub_u32_e32 v1, v3, v1
	v_mad_u64_u32 v[2:3], s[2:3], v1, s2, v[2:3]
.LBB85_42:
	s_and_b64 vcc, exec, s[0:1]
	v_add_u32_e32 v1, 0x100, v4
	s_cbranch_vccnz .LBB85_48
; %bb.43:
	s_mov_b32 s24, 0
	s_cmp_eq_u32 s33, 0
	v_mov_b32_e32 v4, 0
	s_cbranch_scc1 .LBB85_52
; %bb.44:
	s_min_u32 s25, s46, 15
	s_add_i32 s25, s25, 1
	s_cmp_eq_u32 s46, 2
	v_mov_b32_e32 v4, 0
	s_cbranch_scc1 .LBB85_49
; %bb.45:
	s_add_u32 s2, s4, 0xc4
	s_addc_u32 s3, s5, 0
	s_and_b32 s24, s25, 28
	s_mov_b32 s26, 0
	v_mov_b32_e32 v4, 0
	s_mov_b64 s[6:7], s[4:5]
	v_mov_b32_e32 v3, v1
.LBB85_46:                              ; =>This Inner Loop Header: Depth=1
	s_load_dwordx8 s[8:15], s[6:7], 0x4
	s_load_dwordx4 s[16:19], s[6:7], 0x24
	s_load_dwordx4 s[20:23], s[2:3], 0x0
	s_add_u32 s6, s6, 48
	s_addc_u32 s7, s7, 0
	s_waitcnt lgkmcnt(0)
	v_mul_hi_u32 v5, s9, v3
	v_add_u32_e32 v5, v3, v5
	v_lshrrev_b32_e32 v5, s10, v5
	v_mul_lo_u32 v6, v5, s8
	v_mul_hi_u32 v7, s12, v5
	v_sub_u32_e32 v3, v3, v6
	v_add_u32_e32 v6, v5, v7
	v_lshrrev_b32_e32 v6, s13, v6
	v_mul_lo_u32 v7, v6, s11
	v_mul_hi_u32 v9, s15, v6
	v_sub_u32_e32 v5, v5, v7
	v_add_u32_e32 v7, v6, v9
	v_mul_lo_u32 v3, v3, s20
	v_mul_lo_u32 v5, v5, s21
	v_lshrrev_b32_e32 v7, s16, v7
	v_add3_u32 v4, v3, v4, v5
	v_mul_lo_u32 v3, v7, s14
	v_mul_hi_u32 v5, s18, v7
	v_sub_u32_e32 v3, v6, v3
	v_add_u32_e32 v5, v7, v5
	v_mul_lo_u32 v6, v3, s22
	v_lshrrev_b32_e32 v3, s19, v5
	s_add_i32 s26, s26, 4
	v_mul_lo_u32 v5, v3, s17
	s_add_u32 s2, s2, 16
	v_sub_u32_e32 v5, v7, v5
	s_addc_u32 s3, s3, 0
	v_mul_lo_u32 v5, v5, s23
	s_cmp_lg_u32 s24, s26
	v_add3_u32 v4, v6, v4, v5
	s_cbranch_scc1 .LBB85_46
; %bb.47:
	s_and_b32 s8, s25, 3
	s_cmp_eq_u32 s8, 0
	s_cbranch_scc0 .LBB85_50
	s_branch .LBB85_52
.LBB85_48:
                                        ; implicit-def: $vgpr4
	s_branch .LBB85_53
.LBB85_49:
	v_mov_b32_e32 v3, v1
	s_and_b32 s8, s25, 3
	s_cmp_eq_u32 s8, 0
	s_cbranch_scc1 .LBB85_52
.LBB85_50:
	s_lshl_b32 s2, s24, 2
	s_add_u32 s2, s2, s4
	s_addc_u32 s3, 0, s5
	s_add_u32 s2, s2, 0xc4
	s_addc_u32 s3, s3, 0
	s_mul_i32 s6, s24, 12
	s_add_u32 s6, s4, s6
	s_addc_u32 s7, 0, s5
.LBB85_51:                              ; =>This Inner Loop Header: Depth=1
	s_load_dwordx2 s[10:11], s[6:7], 0x4
	s_load_dword s9, s[6:7], 0xc
	s_load_dword s12, s[2:3], 0x0
	s_add_u32 s6, s6, 12
	s_addc_u32 s7, s7, 0
	s_waitcnt lgkmcnt(0)
	v_mul_hi_u32 v5, s11, v3
	v_add_u32_e32 v5, v3, v5
	v_lshrrev_b32_e32 v5, s9, v5
	s_add_u32 s2, s2, 4
	v_mul_lo_u32 v6, v5, s10
	s_addc_u32 s3, s3, 0
	s_add_i32 s8, s8, -1
	v_sub_u32_e32 v6, v3, v6
	s_cmp_lg_u32 s8, 0
	v_mov_b32_e32 v3, v5
	v_mad_u64_u32 v[4:5], s[10:11], v6, s12, v[4:5]
	s_cbranch_scc1 .LBB85_51
.LBB85_52:
	s_cbranch_execnz .LBB85_55
.LBB85_53:
	s_load_dwordx4 s[8:11], s[4:5], 0x4
	s_load_dword s2, s[4:5], 0xc4
	s_cmp_lt_u32 s33, 2
	s_waitcnt lgkmcnt(0)
	v_mul_hi_u32 v3, s9, v1
	v_add_u32_e32 v3, v1, v3
	v_lshrrev_b32_e32 v3, s10, v3
	v_mul_lo_u32 v4, v3, s8
	v_sub_u32_e32 v1, v1, v4
	v_mul_lo_u32 v4, v1, s2
	s_cbranch_scc1 .LBB85_55
; %bb.54:
	s_load_dwordx4 s[8:11], s[4:5], 0x10
	s_load_dword s2, s[4:5], 0xc8
	s_waitcnt lgkmcnt(0)
	v_mul_hi_u32 v1, s9, v3
	v_add_u32_e32 v1, v3, v1
	v_lshrrev_b32_e32 v1, s10, v1
	v_mul_lo_u32 v1, v1, s8
	v_sub_u32_e32 v1, v3, v1
	v_mad_u64_u32 v[4:5], s[2:3], v1, s2, v[4:5]
.LBB85_55:
	s_and_b64 vcc, exec, s[0:1]
	s_cbranch_vccnz .LBB85_61
; %bb.56:
	s_mov_b32 s22, 0
	s_cmp_eq_u32 s33, 0
	v_mov_b32_e32 v6, 0
	s_cbranch_scc1 .LBB85_65
; %bb.57:
	s_min_u32 s23, s46, 15
	s_add_i32 s23, s23, 1
	s_cmp_eq_u32 s46, 2
	v_mov_b32_e32 v6, 0
	s_cbranch_scc1 .LBB85_62
; %bb.58:
	s_add_u32 s6, s4, 0xc4
	s_addc_u32 s7, s5, 0
	s_and_b32 s22, s23, 28
	s_mov_b32 s24, 0
	v_mov_b32_e32 v6, 0
	s_mov_b64 s[20:21], s[4:5]
	v_mov_b32_e32 v1, v8
.LBB85_59:                              ; =>This Inner Loop Header: Depth=1
	s_load_dwordx8 s[8:15], s[20:21], 0x4
	s_load_dwordx4 s[0:3], s[20:21], 0x24
	s_load_dwordx4 s[16:19], s[6:7], 0x0
	s_add_u32 s20, s20, 48
	s_addc_u32 s21, s21, 0
	s_waitcnt lgkmcnt(0)
	v_mul_hi_u32 v3, s9, v1
	v_add_u32_e32 v3, v1, v3
	v_lshrrev_b32_e32 v3, s10, v3
	v_mul_lo_u32 v5, v3, s8
	v_mul_hi_u32 v7, s12, v3
	v_sub_u32_e32 v1, v1, v5
	v_add_u32_e32 v5, v3, v7
	v_lshrrev_b32_e32 v5, s13, v5
	v_mul_lo_u32 v7, v5, s11
	v_mul_hi_u32 v9, s15, v5
	v_sub_u32_e32 v3, v3, v7
	v_add_u32_e32 v7, v5, v9
	v_mul_lo_u32 v1, v1, s16
	v_mul_lo_u32 v3, v3, s17
	v_lshrrev_b32_e32 v7, s0, v7
	v_add3_u32 v3, v1, v6, v3
	v_mul_lo_u32 v1, v7, s14
	v_mul_hi_u32 v6, s2, v7
	v_sub_u32_e32 v1, v5, v1
	v_add_u32_e32 v5, v7, v6
	v_mul_lo_u32 v6, v1, s18
	v_lshrrev_b32_e32 v1, s3, v5
	s_add_i32 s24, s24, 4
	v_mul_lo_u32 v5, v1, s1
	s_add_u32 s6, s6, 16
	v_sub_u32_e32 v5, v7, v5
	s_addc_u32 s7, s7, 0
	v_mul_lo_u32 v5, v5, s19
	s_cmp_lg_u32 s22, s24
	v_add3_u32 v6, v6, v3, v5
	s_cbranch_scc1 .LBB85_59
; %bb.60:
	s_and_b32 s6, s23, 3
	s_cmp_eq_u32 s6, 0
	s_cbranch_scc0 .LBB85_63
	s_branch .LBB85_65
.LBB85_61:
                                        ; implicit-def: $vgpr6
	s_branch .LBB85_66
.LBB85_62:
	v_mov_b32_e32 v1, v8
	s_and_b32 s6, s23, 3
	s_cmp_eq_u32 s6, 0
	s_cbranch_scc1 .LBB85_65
.LBB85_63:
	s_lshl_b32 s0, s22, 2
	s_add_u32 s0, s0, s4
	s_addc_u32 s1, 0, s5
	s_add_u32 s0, s0, 0xc4
	s_addc_u32 s1, s1, 0
	s_mul_i32 s2, s22, 12
	s_add_u32 s2, s4, s2
	s_addc_u32 s3, 0, s5
.LBB85_64:                              ; =>This Inner Loop Header: Depth=1
	s_load_dwordx2 s[8:9], s[2:3], 0x4
	s_load_dword s7, s[2:3], 0xc
	s_load_dword s10, s[0:1], 0x0
	s_add_u32 s2, s2, 12
	s_addc_u32 s3, s3, 0
	s_waitcnt lgkmcnt(0)
	v_mul_hi_u32 v3, s9, v1
	v_add_u32_e32 v3, v1, v3
	v_lshrrev_b32_e32 v3, s7, v3
	s_add_u32 s0, s0, 4
	v_mul_lo_u32 v5, v3, s8
	s_addc_u32 s1, s1, 0
	s_add_i32 s6, s6, -1
	v_sub_u32_e32 v5, v1, v5
	s_cmp_lg_u32 s6, 0
	v_mov_b32_e32 v1, v3
	v_mad_u64_u32 v[6:7], s[8:9], v5, s10, v[6:7]
	s_cbranch_scc1 .LBB85_64
.LBB85_65:
	s_cbranch_execnz .LBB85_68
.LBB85_66:
	s_load_dwordx4 s[0:3], s[4:5], 0x4
	s_waitcnt lgkmcnt(0)
	s_load_dword s3, s[4:5], 0xc4
	s_cmp_lt_u32 s33, 2
	v_mul_hi_u32 v1, s1, v8
	v_add_u32_e32 v1, v8, v1
	v_lshrrev_b32_e32 v1, s2, v1
	v_mul_lo_u32 v3, v1, s0
	v_sub_u32_e32 v3, v8, v3
	s_waitcnt lgkmcnt(0)
	v_mul_lo_u32 v6, v3, s3
	s_cbranch_scc1 .LBB85_68
; %bb.67:
	s_load_dwordx4 s[0:3], s[4:5], 0x10
	s_waitcnt lgkmcnt(0)
	s_load_dword s3, s[4:5], 0xc8
	v_mul_hi_u32 v3, s1, v1
	v_add_u32_e32 v3, v1, v3
	v_lshrrev_b32_e32 v3, s2, v3
	v_mul_lo_u32 v3, v3, s0
	v_sub_u32_e32 v1, v1, v3
	s_waitcnt lgkmcnt(0)
	v_mad_u64_u32 v[6:7], s[0:1], v1, s3, v[6:7]
.LBB85_68:
	s_load_dword s2, s[4:5], 0x110
	s_load_dwordx2 s[0:1], s[4:5], 0x108
	s_waitcnt lgkmcnt(0)
	v_mov_b32_e32 v1, s2
	s_nop 0
	global_store_dword v0, v1, s[0:1]
	global_store_dword v2, v1, s[0:1]
	;; [unrolled: 1-line block ×4, first 2 shown]
	s_endpgm
.LBB85_69:
	v_mov_b32_e32 v0, 0
	s_branch .LBB85_75
.LBB85_70:
	v_mov_b32_e32 v0, 0
	s_branch .LBB85_91
.LBB85_71:
	v_mov_b32_e32 v2, v4
.LBB85_72:
	s_and_b32 s12, s51, 3
	s_cmp_eq_u32 s12, 0
	s_cbranch_scc1 .LBB85_75
; %bb.73:
	s_lshl_b32 s8, s50, 2
	s_add_u32 s8, s8, s4
	s_addc_u32 s9, s5, 0
	s_add_u32 s8, s8, 0xc4
	s_addc_u32 s9, s9, 0
	s_mul_i32 s10, s50, 12
	s_add_u32 s10, s4, s10
	s_addc_u32 s11, s5, 0
.LBB85_74:                              ; =>This Inner Loop Header: Depth=1
	s_load_dwordx2 s[14:15], s[10:11], 0x4
	s_load_dword s13, s[10:11], 0xc
	s_load_dword s16, s[8:9], 0x0
	s_add_u32 s10, s10, 12
	s_addc_u32 s11, s11, 0
	s_waitcnt lgkmcnt(0)
	v_mul_hi_u32 v1, s15, v2
	v_add_u32_e32 v1, v2, v1
	v_lshrrev_b32_e32 v1, s13, v1
	s_add_u32 s8, s8, 4
	v_mul_lo_u32 v3, v1, s14
	s_addc_u32 s9, s9, 0
	s_add_i32 s12, s12, -1
	v_sub_u32_e32 v3, v2, v3
	s_cmp_lg_u32 s12, 0
	v_mov_b32_e32 v2, v1
	v_mad_u64_u32 v[0:1], s[14:15], v3, s16, v[0:1]
	s_cbranch_scc1 .LBB85_74
.LBB85_75:
	s_cbranch_execnz .LBB85_78
.LBB85_76:
	s_waitcnt lgkmcnt(0)
	v_mul_hi_u32 v0, s1, v4
	v_add_u32_e32 v0, v4, v0
	v_lshrrev_b32_e32 v1, s2, v0
	v_mul_lo_u32 v0, v1, s0
	v_sub_u32_e32 v0, v4, v0
	s_andn2_b64 vcc, exec, s[34:35]
	v_mul_lo_u32 v0, v0, s28
	s_cbranch_vccnz .LBB85_78
; %bb.77:
	v_mul_hi_u32 v2, s30, v1
	v_add_u32_e32 v2, v1, v2
	v_lshrrev_b32_e32 v2, s31, v2
	v_mul_lo_u32 v2, v2, s3
	v_sub_u32_e32 v1, v1, v2
	v_mad_u64_u32 v[0:1], s[8:9], v1, s29, v[0:1]
.LBB85_78:
	s_waitcnt lgkmcnt(0)
	v_mov_b32_e32 v1, s47
	v_add_u32_e32 v4, 0x80, v4
	global_store_dword v0, v1, s[26:27]
	s_or_b64 exec, exec, s[40:41]
	v_cmp_gt_i32_e32 vcc, s48, v4
	s_and_saveexec_b64 s[40:41], vcc
	s_cbranch_execnz .LBB85_15
.LBB85_79:
	s_or_b64 exec, exec, s[40:41]
	v_cmp_gt_i32_e32 vcc, s48, v4
	s_and_saveexec_b64 s[40:41], vcc
	s_cbranch_execz .LBB85_95
.LBB85_80:
	s_andn2_b64 vcc, exec, s[6:7]
	s_cbranch_vccnz .LBB85_85
; %bb.81:
	s_andn2_b64 vcc, exec, s[38:39]
	s_cbranch_vccnz .LBB85_86
; %bb.82:
	s_add_i32 s51, s49, 1
	s_mov_b32 s50, 0
	s_cmp_eq_u32 s46, 2
	v_mov_b32_e32 v0, 0
	s_cbranch_scc1 .LBB85_98
; %bb.83:
	s_and_b32 s50, s51, 28
	s_mov_b32 s52, 0
	v_mov_b32_e32 v0, 0
	s_mov_b64 s[42:43], s[4:5]
	s_mov_b64 s[44:45], s[36:37]
	v_mov_b32_e32 v2, v4
.LBB85_84:                              ; =>This Inner Loop Header: Depth=1
	s_load_dwordx8 s[8:15], s[42:43], 0x4
	s_load_dwordx4 s[16:19], s[42:43], 0x24
	s_load_dwordx4 s[20:23], s[44:45], 0x0
	s_add_u32 s42, s42, 48
	s_addc_u32 s43, s43, 0
	s_waitcnt lgkmcnt(0)
	v_mul_hi_u32 v1, s9, v2
	v_add_u32_e32 v1, v2, v1
	v_lshrrev_b32_e32 v1, s10, v1
	v_mul_lo_u32 v3, v1, s8
	v_mul_hi_u32 v5, s12, v1
	v_sub_u32_e32 v2, v2, v3
	v_add_u32_e32 v3, v1, v5
	v_lshrrev_b32_e32 v3, s13, v3
	v_mul_lo_u32 v5, v3, s11
	v_mul_hi_u32 v6, s15, v3
	v_sub_u32_e32 v1, v1, v5
	v_add_u32_e32 v5, v3, v6
	v_mul_lo_u32 v2, v2, s20
	v_mul_lo_u32 v1, v1, s21
	v_lshrrev_b32_e32 v5, s16, v5
	v_add3_u32 v0, v2, v0, v1
	v_mul_hi_u32 v2, s18, v5
	v_add_u32_e32 v2, v5, v2
	v_mul_lo_u32 v1, v5, s14
	v_lshrrev_b32_e32 v2, s19, v2
	s_add_i32 s52, s52, 4
	v_sub_u32_e32 v1, v3, v1
	v_mul_lo_u32 v3, v2, s17
	s_add_u32 s44, s44, 16
	v_sub_u32_e32 v3, v5, v3
	s_addc_u32 s45, s45, 0
	v_mul_lo_u32 v1, v1, s22
	v_mul_lo_u32 v3, v3, s23
	s_cmp_eq_u32 s50, s52
	v_add3_u32 v0, v1, v0, v3
	s_cbranch_scc0 .LBB85_84
	s_branch .LBB85_99
.LBB85_85:
                                        ; implicit-def: $vgpr0
	s_branch .LBB85_103
.LBB85_86:
	v_mov_b32_e32 v0, 0
	s_branch .LBB85_102
.LBB85_87:
	v_mov_b32_e32 v2, v4
.LBB85_88:
	s_and_b32 s12, s51, 3
	s_cmp_eq_u32 s12, 0
	s_cbranch_scc1 .LBB85_91
; %bb.89:
	s_lshl_b32 s8, s50, 2
	s_add_u32 s8, s8, s4
	s_addc_u32 s9, s5, 0
	s_add_u32 s8, s8, 0xc4
	s_addc_u32 s9, s9, 0
	s_mul_i32 s10, s50, 12
	s_add_u32 s10, s4, s10
	s_addc_u32 s11, s5, 0
.LBB85_90:                              ; =>This Inner Loop Header: Depth=1
	s_load_dwordx2 s[14:15], s[10:11], 0x4
	s_load_dword s13, s[10:11], 0xc
	s_load_dword s16, s[8:9], 0x0
	s_add_u32 s10, s10, 12
	s_addc_u32 s11, s11, 0
	s_waitcnt lgkmcnt(0)
	v_mul_hi_u32 v1, s15, v2
	v_add_u32_e32 v1, v2, v1
	v_lshrrev_b32_e32 v1, s13, v1
	s_add_u32 s8, s8, 4
	v_mul_lo_u32 v3, v1, s14
	s_addc_u32 s9, s9, 0
	s_add_i32 s12, s12, -1
	v_sub_u32_e32 v3, v2, v3
	s_cmp_lg_u32 s12, 0
	v_mov_b32_e32 v2, v1
	v_mad_u64_u32 v[0:1], s[14:15], v3, s16, v[0:1]
	s_cbranch_scc1 .LBB85_90
.LBB85_91:
	s_cbranch_execnz .LBB85_94
.LBB85_92:
	s_waitcnt lgkmcnt(0)
	v_mul_hi_u32 v0, s1, v4
	v_add_u32_e32 v0, v4, v0
	v_lshrrev_b32_e32 v1, s2, v0
	v_mul_lo_u32 v0, v1, s0
	v_sub_u32_e32 v0, v4, v0
	s_andn2_b64 vcc, exec, s[34:35]
	v_mul_lo_u32 v0, v0, s28
	s_cbranch_vccnz .LBB85_94
; %bb.93:
	v_mul_hi_u32 v2, s30, v1
	v_add_u32_e32 v2, v1, v2
	v_lshrrev_b32_e32 v2, s31, v2
	v_mul_lo_u32 v2, v2, s3
	v_sub_u32_e32 v1, v1, v2
	v_mad_u64_u32 v[0:1], s[8:9], v1, s29, v[0:1]
.LBB85_94:
	s_waitcnt lgkmcnt(0)
	v_mov_b32_e32 v1, s47
	v_add_u32_e32 v4, 0x80, v4
	global_store_dword v0, v1, s[26:27]
	s_or_b64 exec, exec, s[40:41]
	v_cmp_gt_i32_e32 vcc, s48, v4
	s_and_saveexec_b64 s[40:41], vcc
	s_cbranch_execnz .LBB85_80
.LBB85_95:
	s_or_b64 exec, exec, s[40:41]
	v_cmp_gt_i32_e32 vcc, s48, v4
	s_and_saveexec_b64 s[40:41], vcc
	s_cbranch_execnz .LBB85_106
.LBB85_96:
	s_or_b64 exec, exec, s[40:41]
                                        ; implicit-def: $vgpr8
                                        ; implicit-def: $vgpr4
	s_waitcnt lgkmcnt(0)
	s_andn2_saveexec_b64 s[0:1], s[24:25]
	s_cbranch_execnz .LBB85_8
.LBB85_97:
	s_endpgm
.LBB85_98:
	v_mov_b32_e32 v2, v4
.LBB85_99:
	s_and_b32 s12, s51, 3
	s_cmp_eq_u32 s12, 0
	s_cbranch_scc1 .LBB85_102
; %bb.100:
	s_lshl_b32 s8, s50, 2
	s_add_u32 s8, s8, s4
	s_addc_u32 s9, s5, 0
	s_add_u32 s8, s8, 0xc4
	s_addc_u32 s9, s9, 0
	s_mul_i32 s10, s50, 12
	s_add_u32 s10, s4, s10
	s_addc_u32 s11, s5, 0
.LBB85_101:                             ; =>This Inner Loop Header: Depth=1
	s_load_dwordx2 s[14:15], s[10:11], 0x4
	s_load_dword s13, s[10:11], 0xc
	s_load_dword s16, s[8:9], 0x0
	s_add_u32 s10, s10, 12
	s_addc_u32 s11, s11, 0
	s_waitcnt lgkmcnt(0)
	v_mul_hi_u32 v1, s15, v2
	v_add_u32_e32 v1, v2, v1
	v_lshrrev_b32_e32 v1, s13, v1
	s_add_u32 s8, s8, 4
	v_mul_lo_u32 v3, v1, s14
	s_addc_u32 s9, s9, 0
	s_add_i32 s12, s12, -1
	v_sub_u32_e32 v3, v2, v3
	s_cmp_lg_u32 s12, 0
	v_mov_b32_e32 v2, v1
	v_mad_u64_u32 v[0:1], s[14:15], v3, s16, v[0:1]
	s_cbranch_scc1 .LBB85_101
.LBB85_102:
	s_cbranch_execnz .LBB85_105
.LBB85_103:
	s_waitcnt lgkmcnt(0)
	v_mul_hi_u32 v0, s1, v4
	v_add_u32_e32 v0, v4, v0
	v_lshrrev_b32_e32 v1, s2, v0
	v_mul_lo_u32 v0, v1, s0
	v_sub_u32_e32 v0, v4, v0
	s_andn2_b64 vcc, exec, s[34:35]
	v_mul_lo_u32 v0, v0, s28
	s_cbranch_vccnz .LBB85_105
; %bb.104:
	v_mul_hi_u32 v2, s30, v1
	v_add_u32_e32 v2, v1, v2
	v_lshrrev_b32_e32 v2, s31, v2
	v_mul_lo_u32 v2, v2, s3
	v_sub_u32_e32 v1, v1, v2
	v_mad_u64_u32 v[0:1], s[8:9], v1, s29, v[0:1]
.LBB85_105:
	s_waitcnt lgkmcnt(0)
	v_mov_b32_e32 v1, s47
	v_add_u32_e32 v4, 0x80, v4
	global_store_dword v0, v1, s[26:27]
	s_or_b64 exec, exec, s[40:41]
	v_cmp_gt_i32_e32 vcc, s48, v4
	s_and_saveexec_b64 s[40:41], vcc
	s_cbranch_execz .LBB85_96
.LBB85_106:
	s_andn2_b64 vcc, exec, s[6:7]
	s_cbranch_vccnz .LBB85_111
; %bb.107:
	s_andn2_b64 vcc, exec, s[38:39]
	s_cbranch_vccnz .LBB85_112
; %bb.108:
	s_add_i32 s49, s49, 1
	s_mov_b32 s42, 0
	s_cmp_eq_u32 s46, 2
	v_mov_b32_e32 v0, 0
	s_cbranch_scc1 .LBB85_113
; %bb.109:
	s_and_b32 s42, s49, 28
	s_mov_b32 s43, 0
	v_mov_b32_e32 v0, 0
	s_mov_b64 s[38:39], s[4:5]
	v_mov_b32_e32 v2, v4
.LBB85_110:                             ; =>This Inner Loop Header: Depth=1
	s_load_dwordx8 s[8:15], s[38:39], 0x4
	s_load_dwordx4 s[16:19], s[38:39], 0x24
	s_load_dwordx4 s[20:23], s[36:37], 0x0
	s_add_u32 s38, s38, 48
	s_addc_u32 s39, s39, 0
	s_waitcnt lgkmcnt(0)
	v_mul_hi_u32 v1, s9, v2
	v_add_u32_e32 v1, v2, v1
	v_lshrrev_b32_e32 v1, s10, v1
	v_mul_lo_u32 v3, v1, s8
	v_mul_hi_u32 v5, s12, v1
	v_sub_u32_e32 v2, v2, v3
	v_add_u32_e32 v3, v1, v5
	v_lshrrev_b32_e32 v3, s13, v3
	v_mul_lo_u32 v5, v3, s11
	v_mul_hi_u32 v6, s15, v3
	v_sub_u32_e32 v1, v1, v5
	v_add_u32_e32 v5, v3, v6
	v_mul_lo_u32 v2, v2, s20
	v_mul_lo_u32 v1, v1, s21
	v_lshrrev_b32_e32 v5, s16, v5
	v_add3_u32 v0, v2, v0, v1
	v_mul_hi_u32 v2, s18, v5
	v_add_u32_e32 v2, v5, v2
	v_mul_lo_u32 v1, v5, s14
	v_lshrrev_b32_e32 v2, s19, v2
	s_add_i32 s43, s43, 4
	v_sub_u32_e32 v1, v3, v1
	v_mul_lo_u32 v3, v2, s17
	s_add_u32 s36, s36, 16
	v_sub_u32_e32 v3, v5, v3
	s_addc_u32 s37, s37, 0
	v_mul_lo_u32 v1, v1, s22
	v_mul_lo_u32 v3, v3, s23
	s_cmp_eq_u32 s42, s43
	v_add3_u32 v0, v1, v0, v3
	s_cbranch_scc0 .LBB85_110
	s_branch .LBB85_114
.LBB85_111:
                                        ; implicit-def: $vgpr0
	s_branch .LBB85_118
.LBB85_112:
	v_mov_b32_e32 v0, 0
	s_branch .LBB85_117
.LBB85_113:
	v_mov_b32_e32 v2, v4
.LBB85_114:
	s_and_b32 s12, s49, 3
	s_cmp_eq_u32 s12, 0
	s_cbranch_scc1 .LBB85_117
; %bb.115:
	s_lshl_b32 s8, s42, 2
	s_add_u32 s8, s8, s4
	s_addc_u32 s9, s5, 0
	s_add_u32 s8, s8, 0xc4
	s_addc_u32 s9, s9, 0
	s_mul_i32 s10, s42, 12
	s_add_u32 s10, s4, s10
	s_addc_u32 s11, s5, 0
.LBB85_116:                             ; =>This Inner Loop Header: Depth=1
	s_load_dwordx2 s[14:15], s[10:11], 0x4
	s_load_dword s13, s[10:11], 0xc
	s_load_dword s16, s[8:9], 0x0
	s_add_u32 s10, s10, 12
	s_addc_u32 s11, s11, 0
	s_waitcnt lgkmcnt(0)
	v_mul_hi_u32 v1, s15, v2
	v_add_u32_e32 v1, v2, v1
	v_lshrrev_b32_e32 v1, s13, v1
	s_add_u32 s8, s8, 4
	v_mul_lo_u32 v3, v1, s14
	s_addc_u32 s9, s9, 0
	s_add_i32 s12, s12, -1
	v_sub_u32_e32 v3, v2, v3
	s_cmp_lg_u32 s12, 0
	v_mov_b32_e32 v2, v1
	v_mad_u64_u32 v[0:1], s[14:15], v3, s16, v[0:1]
	s_cbranch_scc1 .LBB85_116
.LBB85_117:
	s_cbranch_execnz .LBB85_120
.LBB85_118:
	s_waitcnt lgkmcnt(0)
	v_mul_hi_u32 v0, s1, v4
	v_add_u32_e32 v0, v4, v0
	v_lshrrev_b32_e32 v1, s2, v0
	v_mul_lo_u32 v0, v1, s0
	v_sub_u32_e32 v0, v4, v0
	s_andn2_b64 vcc, exec, s[34:35]
	v_mul_lo_u32 v0, v0, s28
	s_cbranch_vccnz .LBB85_120
; %bb.119:
	v_mul_hi_u32 v2, s30, v1
	v_add_u32_e32 v2, v1, v2
	v_lshrrev_b32_e32 v2, s31, v2
	v_mul_lo_u32 v2, v2, s3
	v_sub_u32_e32 v1, v1, v2
	v_mad_u64_u32 v[0:1], s[0:1], v1, s29, v[0:1]
.LBB85_120:
	s_waitcnt lgkmcnt(0)
	v_mov_b32_e32 v1, s47
	global_store_dword v0, v1, s[26:27]
	s_or_b64 exec, exec, s[40:41]
                                        ; implicit-def: $vgpr8
                                        ; implicit-def: $vgpr4
	s_andn2_saveexec_b64 s[0:1], s[24:25]
	s_cbranch_execz .LBB85_97
	s_branch .LBB85_8
	.section	.rodata,"a",@progbits
	.p2align	6, 0x0
	.amdhsa_kernel _ZN2at6native32elementwise_kernel_manual_unrollILi128ELi4EZNS0_22gpu_kernel_impl_nocastINS0_11FillFunctorIN3c107complexINS4_8BFloat16EEEEEEEvRNS_18TensorIteratorBaseERKT_EUlibE_EEviT1_
		.amdhsa_group_segment_fixed_size 0
		.amdhsa_private_segment_fixed_size 0
		.amdhsa_kernarg_size 288
		.amdhsa_user_sgpr_count 6
		.amdhsa_user_sgpr_private_segment_buffer 1
		.amdhsa_user_sgpr_dispatch_ptr 0
		.amdhsa_user_sgpr_queue_ptr 0
		.amdhsa_user_sgpr_kernarg_segment_ptr 1
		.amdhsa_user_sgpr_dispatch_id 0
		.amdhsa_user_sgpr_flat_scratch_init 0
		.amdhsa_user_sgpr_kernarg_preload_length 0
		.amdhsa_user_sgpr_kernarg_preload_offset 0
		.amdhsa_user_sgpr_private_segment_size 0
		.amdhsa_uses_dynamic_stack 0
		.amdhsa_system_sgpr_private_segment_wavefront_offset 0
		.amdhsa_system_sgpr_workgroup_id_x 1
		.amdhsa_system_sgpr_workgroup_id_y 0
		.amdhsa_system_sgpr_workgroup_id_z 0
		.amdhsa_system_sgpr_workgroup_info 0
		.amdhsa_system_vgpr_workitem_id 0
		.amdhsa_next_free_vgpr 10
		.amdhsa_next_free_sgpr 53
		.amdhsa_accum_offset 12
		.amdhsa_reserve_vcc 1
		.amdhsa_reserve_flat_scratch 0
		.amdhsa_float_round_mode_32 0
		.amdhsa_float_round_mode_16_64 0
		.amdhsa_float_denorm_mode_32 3
		.amdhsa_float_denorm_mode_16_64 3
		.amdhsa_dx10_clamp 1
		.amdhsa_ieee_mode 1
		.amdhsa_fp16_overflow 0
		.amdhsa_tg_split 0
		.amdhsa_exception_fp_ieee_invalid_op 0
		.amdhsa_exception_fp_denorm_src 0
		.amdhsa_exception_fp_ieee_div_zero 0
		.amdhsa_exception_fp_ieee_overflow 0
		.amdhsa_exception_fp_ieee_underflow 0
		.amdhsa_exception_fp_ieee_inexact 0
		.amdhsa_exception_int_div_zero 0
	.end_amdhsa_kernel
	.section	.text._ZN2at6native32elementwise_kernel_manual_unrollILi128ELi4EZNS0_22gpu_kernel_impl_nocastINS0_11FillFunctorIN3c107complexINS4_8BFloat16EEEEEEEvRNS_18TensorIteratorBaseERKT_EUlibE_EEviT1_,"axG",@progbits,_ZN2at6native32elementwise_kernel_manual_unrollILi128ELi4EZNS0_22gpu_kernel_impl_nocastINS0_11FillFunctorIN3c107complexINS4_8BFloat16EEEEEEEvRNS_18TensorIteratorBaseERKT_EUlibE_EEviT1_,comdat
.Lfunc_end85:
	.size	_ZN2at6native32elementwise_kernel_manual_unrollILi128ELi4EZNS0_22gpu_kernel_impl_nocastINS0_11FillFunctorIN3c107complexINS4_8BFloat16EEEEEEEvRNS_18TensorIteratorBaseERKT_EUlibE_EEviT1_, .Lfunc_end85-_ZN2at6native32elementwise_kernel_manual_unrollILi128ELi4EZNS0_22gpu_kernel_impl_nocastINS0_11FillFunctorIN3c107complexINS4_8BFloat16EEEEEEEvRNS_18TensorIteratorBaseERKT_EUlibE_EEviT1_
                                        ; -- End function
	.section	.AMDGPU.csdata,"",@progbits
; Kernel info:
; codeLenInByte = 4928
; NumSgprs: 57
; NumVgprs: 10
; NumAgprs: 0
; TotalNumVgprs: 10
; ScratchSize: 0
; MemoryBound: 0
; FloatMode: 240
; IeeeMode: 1
; LDSByteSize: 0 bytes/workgroup (compile time only)
; SGPRBlocks: 7
; VGPRBlocks: 1
; NumSGPRsForWavesPerEU: 57
; NumVGPRsForWavesPerEU: 10
; AccumOffset: 12
; Occupancy: 8
; WaveLimiterHint : 1
; COMPUTE_PGM_RSRC2:SCRATCH_EN: 0
; COMPUTE_PGM_RSRC2:USER_SGPR: 6
; COMPUTE_PGM_RSRC2:TRAP_HANDLER: 0
; COMPUTE_PGM_RSRC2:TGID_X_EN: 1
; COMPUTE_PGM_RSRC2:TGID_Y_EN: 0
; COMPUTE_PGM_RSRC2:TGID_Z_EN: 0
; COMPUTE_PGM_RSRC2:TIDIG_COMP_CNT: 0
; COMPUTE_PGM_RSRC3_GFX90A:ACCUM_OFFSET: 2
; COMPUTE_PGM_RSRC3_GFX90A:TG_SPLIT: 0
	.section	.text._ZN2at6native32elementwise_kernel_manual_unrollILi128ELi4EZNS0_15gpu_kernel_implINS0_11FillFunctorIN3c107complexINS4_8BFloat16EEEEEEEvRNS_18TensorIteratorBaseERKT_EUlibE_EEviT1_,"axG",@progbits,_ZN2at6native32elementwise_kernel_manual_unrollILi128ELi4EZNS0_15gpu_kernel_implINS0_11FillFunctorIN3c107complexINS4_8BFloat16EEEEEEEvRNS_18TensorIteratorBaseERKT_EUlibE_EEviT1_,comdat
	.protected	_ZN2at6native32elementwise_kernel_manual_unrollILi128ELi4EZNS0_15gpu_kernel_implINS0_11FillFunctorIN3c107complexINS4_8BFloat16EEEEEEEvRNS_18TensorIteratorBaseERKT_EUlibE_EEviT1_ ; -- Begin function _ZN2at6native32elementwise_kernel_manual_unrollILi128ELi4EZNS0_15gpu_kernel_implINS0_11FillFunctorIN3c107complexINS4_8BFloat16EEEEEEEvRNS_18TensorIteratorBaseERKT_EUlibE_EEviT1_
	.globl	_ZN2at6native32elementwise_kernel_manual_unrollILi128ELi4EZNS0_15gpu_kernel_implINS0_11FillFunctorIN3c107complexINS4_8BFloat16EEEEEEEvRNS_18TensorIteratorBaseERKT_EUlibE_EEviT1_
	.p2align	8
	.type	_ZN2at6native32elementwise_kernel_manual_unrollILi128ELi4EZNS0_15gpu_kernel_implINS0_11FillFunctorIN3c107complexINS4_8BFloat16EEEEEEEvRNS_18TensorIteratorBaseERKT_EUlibE_EEviT1_,@function
_ZN2at6native32elementwise_kernel_manual_unrollILi128ELi4EZNS0_15gpu_kernel_implINS0_11FillFunctorIN3c107complexINS4_8BFloat16EEEEEEEvRNS_18TensorIteratorBaseERKT_EUlibE_EEviT1_: ; @_ZN2at6native32elementwise_kernel_manual_unrollILi128ELi4EZNS0_15gpu_kernel_implINS0_11FillFunctorIN3c107complexINS4_8BFloat16EEEEEEEvRNS_18TensorIteratorBaseERKT_EUlibE_EEviT1_
; %bb.0:
	s_load_dword s48, s[4:5], 0x0
	s_load_dwordx4 s[8:11], s[4:5], 0x8
	s_load_dword s33, s[4:5], 0x18
	v_lshl_or_b32 v16, s6, 9, v0
	v_or_b32_e32 v0, 0x180, v16
	s_waitcnt lgkmcnt(0)
	v_cmp_le_i32_e32 vcc, s48, v0
	s_mov_b64 s[4:5], 0
	s_mov_b64 s[0:1], 0
	s_and_saveexec_b64 s[2:3], vcc
	s_xor_b64 s[2:3], exec, s[2:3]
	s_cbranch_execz .LBB86_404
; %bb.1:
	s_lshl_b32 s52, s11, 16
	s_bfe_u32 s14, s11, 0x90007
	s_or_b32 s12, s14, s52
	s_bfe_u32 s0, s52, 0x80017
	s_cmpk_eq_i32 s0, 0xff
	s_cselect_b64 s[0:1], -1, 0
	s_bitcmp1_b32 s11, 6
	s_cselect_b64 s[6:7], -1, 0
	s_and_b32 s12, s12, 0x3f00ff
	s_cmp_lg_u32 s12, 0
	v_trunc_f32_e32 v4, s52
	s_cselect_b64 s[12:13], -1, 0
	v_mul_f32_e32 v0, 0x2f800000, v4
	s_and_b64 s[6:7], s[6:7], s[12:13]
	s_and_b32 s30, s52, 0x7fffffff
	v_floor_f32_e32 v0, v0
	v_mov_b32_e32 v1, v4
	s_cmp_lt_u32 s30, 0x43800000
	v_fmac_f32_e32 v1, 0xcf800000, v0
	v_cvt_u32_f32_e32 v7, v0
	v_cndmask_b32_e64 v0, 0, 1, s[6:7]
	s_cselect_b64 s[26:27], -1, 0
	s_cmp_gt_u32 s30, 0x3bffffff
	v_add_u32_e32 v15, s14, v0
	s_cselect_b64 s[24:25], -1, 0
	s_bfe_u32 s6, s11, 0x10004
	v_mov_b32_e32 v0, 0x46000000
	s_or_b32 s12, s52, s6
	v_add_f32_e64 v0, |s52|, v0
	s_add_i32 s6, s12, 0x487ffff
	v_readfirstlane_b32 s64, v0
	s_lshr_b32 s63, s6, 20
	s_and_b32 s6, s64, 0xff
	s_cmp_lg_u32 s6, 0
	s_cselect_b64 s[28:29], -1, 0
	s_lshr_b32 s6, s11, 8
	s_and_b32 s54, s6, 0x80
	s_cmp_gt_u32 s30, 0x477fffff
	s_cselect_b64 s[6:7], -1, 0
	s_cmp_lt_u32 s30, 0x47800000
	s_cselect_b64 s[20:21], -1, 0
	s_cmp_gt_u32 s30, 0x37ffffff
	s_cselect_b64 s[18:19], -1, 0
	s_bfe_u32 s13, s11, 0x10005
	v_mov_b32_e32 v0, 0x42800000
	s_or_b32 s31, s52, s13
	v_add_f32_e64 v0, |s52|, v0
	s_add_i32 s13, s31, 0x88fffff
	v_readfirstlane_b32 s62, v0
	s_lshr_b32 s60, s13, 21
	s_and_b32 s13, s62, 0xff
	s_cmp_lg_u32 s13, 0
	s_cselect_b64 s[22:23], -1, 0
	s_cmp_gt_u32 s30, 0x43efffff
	s_cselect_b64 s[14:15], -1, 0
	s_cmp_lt_u32 s30, 0x3c800000
	s_cselect_b64 s[16:17], -1, 0
	s_add_i32 s12, s12, 0x407ffff
	s_lshr_b32 s13, s12, 20
	s_and_b32 s12, s12, 0xff00000
	s_cmp_lg_u32 s12, 0x7f00000
	s_cselect_b32 s58, s13, 0x7e
	s_cmp_lt_u32 s30, 0x38800000
	s_cselect_b64 s[12:13], -1, 0
	s_add_i32 s31, s31, 0x80fffff
	s_lshr_b32 s55, s31, 21
	s_cmp_gt_u32 s30, 0x7f800000
	s_movk_i32 s30, 0x7f
	s_cselect_b32 s61, s30, 0x7e
	s_movk_i32 s30, 0x7c
	s_mov_b32 s34, 0x2f800000
	s_cselect_b32 s57, 0x7f, s30
	s_and_b32 s30, s11, 0x7fff7fff
	s_cmp_lg_u32 s30, 0
	v_mul_f32_e64 v8, |v4|, s34
	s_mov_b32 s35, 0xcf800000
	s_cselect_b64 s[30:31], -1, 0
	s_and_b32 s53, s11, 0xffff0000
	v_floor_f32_e32 v8, v8
	v_cvt_f16_f32_e32 v11, s52
	v_cvt_f16_f32_sdwa v5, s53 dst_sel:WORD_1 dst_unused:UNUSED_PAD src0_sel:DWORD
	v_fma_f32 v9, v8, s35, |v4|
	v_cvt_u32_f32_e32 v9, v9
	v_cvt_u32_f32_e32 v8, v8
	v_mov_b32_e32 v0, 0x46800000
	v_or_b32_e32 v12, v5, v11
	v_ashrrev_i32_e32 v5, 31, v4
	v_cvt_u32_f32_e32 v6, v1
	v_cvt_u32_f32_e32 v14, s52
	v_add_f32_e64 v0, |s52|, v0
	v_xor_b32_e32 v4, v9, v5
	v_cvt_i32_f32_e32 v10, s52
	v_readfirstlane_b32 s59, v0
	v_mov_b32_e32 v0, 0x43000000
	v_xor_b32_e32 v8, v8, v5
	v_sub_co_u32_e32 v4, vcc, v4, v5
	v_add_f32_e64 v0, |s52|, v0
	v_subb_co_u32_e32 v5, vcc, v8, v5, vcc
	v_readfirstlane_b32 s56, v0
	v_cndmask_b32_e64 v13, 0, 1, s[30:31]
	v_cvt_f64_f32_e32 v[0:1], s52
	v_cvt_f64_f32_e32 v[2:3], s53
	v_cmp_gt_i32_e32 vcc, s48, v16
	s_mov_b64 s[36:37], -1
	s_mov_b64 s[38:39], 0
	s_mov_b64 s[30:31], 0
	s_and_saveexec_b64 s[34:35], vcc
	s_cbranch_execz .LBB86_100
; %bb.2:
	v_mul_lo_u32 v8, v16, s10
	v_ashrrev_i32_e32 v9, 31, v8
	v_mov_b32_e32 v17, s9
	v_add_co_u32_e32 v8, vcc, s8, v8
	v_addc_co_u32_e32 v9, vcc, v17, v9, vcc
	v_mov_b32_e32 v17, 11
	v_cmp_lt_i16_sdwa s[30:31], s33, v17 src0_sel:BYTE_0 src1_sel:DWORD
	s_and_b64 vcc, exec, s[30:31]
	s_cbranch_vccnz .LBB86_9
; %bb.3:
	v_mov_b32_e32 v17, 25
	v_cmp_gt_i16_sdwa s[30:31], s33, v17 src0_sel:BYTE_0 src1_sel:DWORD
	s_and_b64 vcc, exec, s[30:31]
	s_cbranch_vccz .LBB86_12
; %bb.4:
	v_mov_b32_e32 v17, 28
	v_cmp_gt_i16_sdwa s[30:31], s33, v17 src0_sel:BYTE_0 src1_sel:DWORD
	s_and_b64 vcc, exec, s[30:31]
	s_cbranch_vccz .LBB86_13
	;; [unrolled: 5-line block ×4, first 2 shown]
; %bb.7:
	v_mov_b32_e32 v17, 46
	v_cmp_eq_u16_sdwa s[36:37], s33, v17 src0_sel:BYTE_0 src1_sel:DWORD
	s_mov_b64 s[40:41], 0
	s_mov_b64 s[30:31], -1
	s_and_b64 vcc, exec, s[36:37]
	s_mov_b64 s[36:37], 0
	s_cbranch_vccz .LBB86_16
; %bb.8:
	v_mov_b32_e32 v17, s11
	global_store_dword v[8:9], v17, off
	s_mov_b64 s[36:37], -1
	s_mov_b64 s[30:31], 0
	s_branch .LBB86_16
.LBB86_9:
	s_mov_b64 s[30:31], 0
	s_mov_b64 s[36:37], 0
	s_cbranch_execnz .LBB86_60
.LBB86_10:
	s_andn2_b64 vcc, exec, s[36:37]
	s_cbranch_vccnz .LBB86_98
.LBB86_11:
	v_add_u32_e32 v16, 0x80, v16
	s_mov_b64 s[36:37], -1
	s_branch .LBB86_99
.LBB86_12:
	s_mov_b64 s[30:31], 0
	s_mov_b64 s[36:37], 0
	s_cbranch_execnz .LBB86_38
	s_branch .LBB86_59
.LBB86_13:
	s_mov_b64 s[40:41], -1
	s_mov_b64 s[30:31], 0
	s_mov_b64 s[36:37], 0
	s_branch .LBB86_24
.LBB86_14:
	s_mov_b64 s[40:41], -1
	s_mov_b64 s[30:31], 0
	s_mov_b64 s[36:37], 0
	s_branch .LBB86_20
.LBB86_15:
	s_mov_b64 s[40:41], -1
	s_mov_b64 s[30:31], 0
	s_mov_b64 s[36:37], 0
.LBB86_16:
	s_and_b64 vcc, exec, s[40:41]
	s_cbranch_vccz .LBB86_19
; %bb.17:
	v_mov_b32_e32 v17, 44
	v_cmp_eq_u16_sdwa s[40:41], s33, v17 src0_sel:BYTE_0 src1_sel:DWORD
	s_mov_b64 s[30:31], -1
	s_and_b64 vcc, exec, s[40:41]
	s_cbranch_vccz .LBB86_19
; %bb.18:
	v_mov_b32_e32 v17, 0xff
	v_cndmask_b32_e64 v17, v15, v17, s[0:1]
	global_store_byte v[8:9], v17, off
	s_mov_b64 s[36:37], -1
	s_mov_b64 s[30:31], 0
.LBB86_19:
	s_mov_b64 s[40:41], 0
.LBB86_20:
	s_and_b64 vcc, exec, s[40:41]
	s_cbranch_vccz .LBB86_23
; %bb.21:
	v_mov_b32_e32 v17, 29
	v_cmp_eq_u16_sdwa s[40:41], s33, v17 src0_sel:BYTE_0 src1_sel:DWORD
	s_mov_b64 s[30:31], -1
	s_and_b64 vcc, exec, s[40:41]
	s_cbranch_vccz .LBB86_23
; %bb.22:
	global_store_dwordx2 v[8:9], v[6:7], off
	s_mov_b64 s[36:37], -1
	s_mov_b64 s[30:31], 0
.LBB86_23:
	s_mov_b64 s[40:41], 0
.LBB86_24:
	s_and_b64 vcc, exec, s[40:41]
	s_cbranch_vccz .LBB86_37
; %bb.25:
	v_mov_b32_e32 v17, 27
	v_cmp_lt_i16_sdwa s[40:41], s33, v17 src0_sel:BYTE_0 src1_sel:DWORD
	s_mov_b64 s[36:37], -1
	s_and_b64 vcc, exec, s[40:41]
	s_cbranch_vccnz .LBB86_31
; %bb.26:
	v_cmp_gt_i16_sdwa s[40:41], s33, v17 src0_sel:BYTE_0 src1_sel:DWORD
	s_and_b64 vcc, exec, s[40:41]
	s_cbranch_vccz .LBB86_28
; %bb.27:
	s_mov_b64 s[36:37], 0
	global_store_dword v[8:9], v14, off
.LBB86_28:
	s_andn2_b64 vcc, exec, s[36:37]
	s_cbranch_vccnz .LBB86_30
; %bb.29:
	global_store_short v[8:9], v14, off
.LBB86_30:
	s_mov_b64 s[36:37], 0
.LBB86_31:
	s_andn2_b64 vcc, exec, s[36:37]
	s_cbranch_vccnz .LBB86_36
; %bb.32:
	s_andn2_b64 vcc, exec, s[26:27]
	s_movk_i32 s36, 0x80
	s_cbranch_vccnz .LBB86_35
; %bb.33:
	s_or_b64 s[36:37], s[24:25], s[28:29]
	s_andn2_b64 vcc, exec, s[36:37]
	s_mov_b32 s36, 0
	s_cbranch_vccnz .LBB86_35
; %bb.34:
	s_and_b64 s[36:37], s[24:25], exec
	s_cselect_b32 s36, s63, s64
	s_or_b32 s36, s36, s54
.LBB86_35:
	v_mov_b32_e32 v17, s36
	global_store_byte v[8:9], v17, off
.LBB86_36:
	s_mov_b64 s[36:37], -1
.LBB86_37:
	s_branch .LBB86_59
.LBB86_38:
	v_mov_b32_e32 v17, 22
	v_cmp_gt_i16_sdwa s[42:43], s33, v17 src0_sel:BYTE_0 src1_sel:DWORD
	s_mov_b64 s[40:41], -1
	s_and_b64 vcc, exec, s[42:43]
	s_cbranch_vccz .LBB86_51
; %bb.39:
	v_mov_b32_e32 v17, 24
	v_cmp_lt_i16_sdwa s[40:41], s33, v17 src0_sel:BYTE_0 src1_sel:DWORD
	s_mov_b64 s[36:37], -1
	s_and_b64 vcc, exec, s[40:41]
	s_cbranch_vccnz .LBB86_48
; %bb.40:
	v_cmp_gt_i16_sdwa s[40:41], s33, v17 src0_sel:BYTE_0 src1_sel:DWORD
	s_and_b64 vcc, exec, s[40:41]
	s_cbranch_vccz .LBB86_45
; %bb.41:
	s_andn2_b64 vcc, exec, s[20:21]
	s_movk_i32 s36, 0x80
	s_cbranch_vccnz .LBB86_44
; %bb.42:
	s_or_b64 s[36:37], s[18:19], s[22:23]
	s_andn2_b64 vcc, exec, s[36:37]
	s_mov_b32 s36, 0
	s_cbranch_vccnz .LBB86_44
; %bb.43:
	s_and_b64 s[36:37], s[18:19], exec
	s_cselect_b32 s36, s60, s62
	s_or_b32 s36, s36, s54
.LBB86_44:
	v_mov_b32_e32 v17, s36
	s_mov_b64 s[36:37], 0
	global_store_byte v[8:9], v17, off
.LBB86_45:
	s_and_b64 vcc, exec, s[36:37]
	s_cbranch_vccz .LBB86_47
; %bb.46:
	s_and_b64 s[36:37], s[16:17], exec
	s_cselect_b32 s40, s59, s58
	s_and_b64 s[36:37], s[14:15], exec
	s_cselect_b32 s36, s61, s40
	s_or_b32 s36, s36, s54
	v_mov_b32_e32 v17, s36
	global_store_byte v[8:9], v17, off
.LBB86_47:
	s_mov_b64 s[36:37], 0
.LBB86_48:
	s_andn2_b64 vcc, exec, s[36:37]
	s_cbranch_vccnz .LBB86_50
; %bb.49:
	s_and_b64 s[36:37], s[12:13], exec
	s_cselect_b32 s40, s56, s55
	s_and_b64 s[36:37], s[6:7], exec
	s_cselect_b32 s36, s57, s40
	s_or_b32 s36, s36, s54
	v_mov_b32_e32 v17, s36
	global_store_byte v[8:9], v17, off
.LBB86_50:
	s_mov_b64 s[40:41], 0
	s_mov_b64 s[36:37], -1
.LBB86_51:
	s_andn2_b64 vcc, exec, s[40:41]
	s_cbranch_vccnz .LBB86_59
; %bb.52:
	v_mov_b32_e32 v17, 14
	v_cmp_gt_i16_sdwa s[42:43], s33, v17 src0_sel:BYTE_0 src1_sel:DWORD
	s_mov_b64 s[40:41], -1
	s_and_b64 vcc, exec, s[42:43]
	s_cbranch_vccz .LBB86_56
; %bb.53:
	v_mov_b32_e32 v17, 15
	v_cmp_eq_u16_sdwa s[40:41], s33, v17 src0_sel:BYTE_0 src1_sel:DWORD
	s_mov_b64 s[30:31], -1
	s_and_b64 vcc, exec, s[40:41]
	s_cbranch_vccz .LBB86_55
; %bb.54:
	v_mov_b32_e32 v17, s11
	global_store_short v[8:9], v17, off
	s_mov_b64 s[36:37], -1
	s_mov_b64 s[30:31], 0
.LBB86_55:
	s_mov_b64 s[40:41], 0
.LBB86_56:
	s_and_b64 vcc, exec, s[40:41]
	s_cbranch_vccz .LBB86_59
; %bb.57:
	v_mov_b32_e32 v17, 11
	v_cmp_eq_u16_sdwa s[40:41], s33, v17 src0_sel:BYTE_0 src1_sel:DWORD
	s_mov_b64 s[30:31], -1
	s_and_b64 vcc, exec, s[40:41]
	s_cbranch_vccz .LBB86_59
; %bb.58:
	s_mov_b64 s[36:37], -1
	s_mov_b64 s[30:31], 0
	global_store_byte v[8:9], v13, off
.LBB86_59:
	s_branch .LBB86_10
.LBB86_60:
	v_mov_b32_e32 v17, 5
	v_cmp_lt_i16_sdwa s[40:41], s33, v17 src0_sel:BYTE_0 src1_sel:DWORD
	s_mov_b64 s[36:37], -1
	s_and_b64 vcc, exec, s[40:41]
	s_cbranch_vccnz .LBB86_81
; %bb.61:
	v_mov_b32_e32 v17, 8
	v_cmp_lt_i16_sdwa s[40:41], s33, v17 src0_sel:BYTE_0 src1_sel:DWORD
	s_and_b64 vcc, exec, s[40:41]
	s_cbranch_vccnz .LBB86_71
; %bb.62:
	v_mov_b32_e32 v17, 9
	v_cmp_lt_i16_sdwa s[40:41], s33, v17 src0_sel:BYTE_0 src1_sel:DWORD
	s_and_b64 vcc, exec, s[40:41]
	s_cbranch_vccnz .LBB86_68
; %bb.63:
	v_cmp_gt_i16_sdwa s[40:41], s33, v17 src0_sel:BYTE_0 src1_sel:DWORD
	s_and_b64 vcc, exec, s[40:41]
	s_cbranch_vccz .LBB86_65
; %bb.64:
	global_store_dwordx4 v[8:9], v[0:3], off
	s_mov_b64 s[36:37], 0
.LBB86_65:
	s_andn2_b64 vcc, exec, s[36:37]
	s_cbranch_vccnz .LBB86_67
; %bb.66:
	v_mov_b32_e32 v18, s52
	v_mov_b32_e32 v19, s53
	global_store_dwordx2 v[8:9], v[18:19], off
.LBB86_67:
	s_mov_b64 s[36:37], 0
.LBB86_68:
	s_andn2_b64 vcc, exec, s[36:37]
	s_cbranch_vccnz .LBB86_70
; %bb.69:
	global_store_dword v[8:9], v12, off
.LBB86_70:
	s_mov_b64 s[36:37], 0
.LBB86_71:
	s_andn2_b64 vcc, exec, s[36:37]
	s_cbranch_vccnz .LBB86_80
; %bb.72:
	v_mov_b32_e32 v17, 6
	v_cmp_lt_i16_sdwa s[40:41], s33, v17 src0_sel:BYTE_0 src1_sel:DWORD
	s_mov_b64 s[36:37], -1
	s_and_b64 vcc, exec, s[40:41]
	s_cbranch_vccnz .LBB86_78
; %bb.73:
	v_cmp_gt_i16_sdwa s[40:41], s33, v17 src0_sel:BYTE_0 src1_sel:DWORD
	s_and_b64 vcc, exec, s[40:41]
	s_cbranch_vccz .LBB86_75
; %bb.74:
	global_store_dwordx2 v[8:9], v[0:1], off
	s_mov_b64 s[36:37], 0
.LBB86_75:
	s_andn2_b64 vcc, exec, s[36:37]
	s_cbranch_vccnz .LBB86_77
; %bb.76:
	v_mov_b32_e32 v17, s52
	global_store_dword v[8:9], v17, off
.LBB86_77:
	s_mov_b64 s[36:37], 0
.LBB86_78:
	s_andn2_b64 vcc, exec, s[36:37]
	s_cbranch_vccnz .LBB86_80
; %bb.79:
	global_store_short v[8:9], v11, off
.LBB86_80:
	s_mov_b64 s[36:37], 0
.LBB86_81:
	s_andn2_b64 vcc, exec, s[36:37]
	s_cbranch_vccnz .LBB86_97
; %bb.82:
	v_mov_b32_e32 v17, 2
	v_cmp_lt_i16_sdwa s[40:41], s33, v17 src0_sel:BYTE_0 src1_sel:DWORD
	s_mov_b64 s[36:37], -1
	s_and_b64 vcc, exec, s[40:41]
	s_cbranch_vccnz .LBB86_92
; %bb.83:
	v_mov_b32_e32 v17, 3
	v_cmp_lt_i16_sdwa s[40:41], s33, v17 src0_sel:BYTE_0 src1_sel:DWORD
	s_and_b64 vcc, exec, s[40:41]
	s_cbranch_vccnz .LBB86_89
; %bb.84:
	v_cmp_gt_i16_sdwa s[40:41], s33, v17 src0_sel:BYTE_0 src1_sel:DWORD
	s_and_b64 vcc, exec, s[40:41]
	s_cbranch_vccz .LBB86_86
; %bb.85:
	global_store_dwordx2 v[8:9], v[4:5], off
	s_mov_b64 s[36:37], 0
.LBB86_86:
	s_andn2_b64 vcc, exec, s[36:37]
	s_cbranch_vccnz .LBB86_88
; %bb.87:
	global_store_dword v[8:9], v10, off
.LBB86_88:
	s_mov_b64 s[36:37], 0
.LBB86_89:
	s_andn2_b64 vcc, exec, s[36:37]
	s_cbranch_vccnz .LBB86_91
; %bb.90:
	global_store_short v[8:9], v10, off
.LBB86_91:
	s_mov_b64 s[36:37], 0
.LBB86_92:
	s_andn2_b64 vcc, exec, s[36:37]
	s_cbranch_vccnz .LBB86_97
; %bb.93:
	v_mov_b32_e32 v17, 0
	v_cmp_gt_i16_sdwa s[40:41], s33, v17 src0_sel:BYTE_0 src1_sel:DWORD
	s_mov_b64 s[36:37], -1
	s_and_b64 vcc, exec, s[40:41]
	s_cbranch_vccz .LBB86_95
; %bb.94:
	global_store_byte v[8:9], v10, off
	s_mov_b64 s[36:37], 0
.LBB86_95:
	s_andn2_b64 vcc, exec, s[36:37]
	s_cbranch_vccnz .LBB86_97
; %bb.96:
	global_store_byte v[8:9], v4, off
.LBB86_97:
	s_branch .LBB86_11
.LBB86_98:
	s_mov_b64 s[36:37], 0
                                        ; implicit-def: $vgpr16
.LBB86_99:
	s_and_b64 s[30:31], s[30:31], exec
	s_orn2_b64 s[36:37], s[36:37], exec
.LBB86_100:
	s_or_b64 exec, exec, s[34:35]
	s_mov_b64 s[40:41], 0
                                        ; implicit-def: $vgpr17
                                        ; implicit-def: $vgpr8_vgpr9
	s_and_saveexec_b64 s[34:35], s[36:37]
	s_cbranch_execz .LBB86_109
; %bb.101:
	v_cmp_gt_i32_e32 vcc, s48, v16
	s_mov_b64 s[42:43], -1
	s_mov_b64 s[36:37], s[30:31]
	s_and_saveexec_b64 s[38:39], vcc
	s_cbranch_execz .LBB86_204
; %bb.102:
	v_mul_lo_u32 v8, v16, s10
	v_ashrrev_i32_e32 v9, 31, v8
	v_mov_b32_e32 v17, s9
	v_add_co_u32_e32 v8, vcc, s8, v8
	v_addc_co_u32_e32 v9, vcc, v17, v9, vcc
	v_mov_b32_e32 v17, 11
	v_cmp_lt_i16_sdwa s[36:37], s33, v17 src0_sel:BYTE_0 src1_sel:DWORD
	s_and_b64 vcc, exec, s[36:37]
	s_cbranch_vccnz .LBB86_112
; %bb.103:
	v_mov_b32_e32 v17, 25
	v_cmp_gt_i16_sdwa s[36:37], s33, v17 src0_sel:BYTE_0 src1_sel:DWORD
	s_and_b64 vcc, exec, s[36:37]
	s_cbranch_vccz .LBB86_115
; %bb.104:
	v_mov_b32_e32 v17, 28
	v_cmp_gt_i16_sdwa s[36:37], s33, v17 src0_sel:BYTE_0 src1_sel:DWORD
	s_and_b64 vcc, exec, s[36:37]
	s_cbranch_vccz .LBB86_116
	;; [unrolled: 5-line block ×4, first 2 shown]
; %bb.107:
	v_mov_b32_e32 v17, 46
	v_cmp_eq_u16_sdwa s[40:41], s33, v17 src0_sel:BYTE_0 src1_sel:DWORD
	s_mov_b64 s[42:43], 0
	s_mov_b64 s[36:37], -1
	s_and_b64 vcc, exec, s[40:41]
	s_mov_b64 s[40:41], 0
	s_cbranch_vccz .LBB86_119
; %bb.108:
	v_mov_b32_e32 v17, s11
	global_store_dword v[8:9], v17, off
	s_mov_b64 s[40:41], -1
	s_mov_b64 s[36:37], 0
	s_branch .LBB86_119
.LBB86_109:
	s_or_b64 exec, exec, s[34:35]
	s_mov_b64 s[0:1], 0
	s_and_saveexec_b64 s[6:7], s[30:31]
	s_cbranch_execnz .LBB86_364
.LBB86_110:
	s_or_b64 exec, exec, s[6:7]
	s_and_saveexec_b64 s[6:7], s[38:39]
	s_xor_b64 s[6:7], exec, s[6:7]
	s_cbranch_execz .LBB86_365
.LBB86_111:
	global_store_byte v[8:9], v13, off
	s_or_b64 exec, exec, s[6:7]
	s_and_saveexec_b64 s[6:7], s[40:41]
	s_xor_b64 s[6:7], exec, s[6:7]
	s_cbranch_execz .LBB86_403
	s_branch .LBB86_366
.LBB86_112:
	s_mov_b64 s[36:37], s[30:31]
	s_and_b64 vcc, exec, s[42:43]
	s_cbranch_vccnz .LBB86_164
.LBB86_113:
	s_andn2_b64 vcc, exec, s[40:41]
	s_cbranch_vccnz .LBB86_202
.LBB86_114:
	v_add_u32_e32 v16, 0x80, v16
	s_mov_b64 s[40:41], -1
	s_branch .LBB86_203
.LBB86_115:
	s_mov_b64 s[36:37], s[30:31]
	s_branch .LBB86_141
.LBB86_116:
	s_mov_b64 s[36:37], s[30:31]
	s_branch .LBB86_127
.LBB86_117:
	s_mov_b64 s[36:37], s[30:31]
	s_branch .LBB86_123
.LBB86_118:
	s_mov_b64 s[36:37], s[30:31]
.LBB86_119:
	s_and_b64 vcc, exec, s[42:43]
	s_cbranch_vccz .LBB86_122
; %bb.120:
	v_mov_b32_e32 v17, 44
	v_cmp_eq_u16_sdwa s[42:43], s33, v17 src0_sel:BYTE_0 src1_sel:DWORD
	s_mov_b64 s[36:37], -1
	s_and_b64 vcc, exec, s[42:43]
	s_cbranch_vccz .LBB86_122
; %bb.121:
	v_mov_b32_e32 v17, 0xff
	v_cndmask_b32_e64 v17, v15, v17, s[0:1]
	s_mov_b64 s[40:41], -1
	s_mov_b64 s[36:37], 0
	global_store_byte v[8:9], v17, off
.LBB86_122:
	s_mov_b64 s[42:43], 0
.LBB86_123:
	s_and_b64 vcc, exec, s[42:43]
	s_cbranch_vccz .LBB86_126
; %bb.124:
	v_mov_b32_e32 v17, 29
	v_cmp_eq_u16_sdwa s[42:43], s33, v17 src0_sel:BYTE_0 src1_sel:DWORD
	s_mov_b64 s[36:37], -1
	s_and_b64 vcc, exec, s[42:43]
	s_cbranch_vccz .LBB86_126
; %bb.125:
	global_store_dwordx2 v[8:9], v[6:7], off
	s_mov_b64 s[40:41], -1
	s_mov_b64 s[36:37], 0
.LBB86_126:
	s_mov_b64 s[42:43], 0
.LBB86_127:
	s_and_b64 vcc, exec, s[42:43]
	s_cbranch_vccz .LBB86_140
; %bb.128:
	v_mov_b32_e32 v17, 27
	v_cmp_lt_i16_sdwa s[42:43], s33, v17 src0_sel:BYTE_0 src1_sel:DWORD
	s_mov_b64 s[40:41], -1
	s_and_b64 vcc, exec, s[42:43]
	s_cbranch_vccnz .LBB86_134
; %bb.129:
	v_cmp_gt_i16_sdwa s[42:43], s33, v17 src0_sel:BYTE_0 src1_sel:DWORD
	s_and_b64 vcc, exec, s[42:43]
	s_cbranch_vccz .LBB86_131
; %bb.130:
	s_mov_b64 s[40:41], 0
	global_store_dword v[8:9], v14, off
.LBB86_131:
	s_andn2_b64 vcc, exec, s[40:41]
	s_cbranch_vccnz .LBB86_133
; %bb.132:
	global_store_short v[8:9], v14, off
.LBB86_133:
	s_mov_b64 s[40:41], 0
.LBB86_134:
	s_andn2_b64 vcc, exec, s[40:41]
	s_cbranch_vccnz .LBB86_139
; %bb.135:
	s_andn2_b64 vcc, exec, s[26:27]
	s_movk_i32 s40, 0x80
	s_cbranch_vccnz .LBB86_138
; %bb.136:
	s_or_b64 s[40:41], s[24:25], s[28:29]
	s_andn2_b64 vcc, exec, s[40:41]
	s_mov_b32 s40, 0
	s_cbranch_vccnz .LBB86_138
; %bb.137:
	s_and_b64 s[40:41], s[24:25], exec
	s_cselect_b32 s40, s63, s64
	s_or_b32 s40, s40, s54
.LBB86_138:
	v_mov_b32_e32 v17, s40
	global_store_byte v[8:9], v17, off
.LBB86_139:
	s_mov_b64 s[40:41], -1
.LBB86_140:
	s_mov_b64 s[42:43], 0
.LBB86_141:
	s_and_b64 vcc, exec, s[42:43]
	s_cbranch_vccz .LBB86_163
; %bb.142:
	v_mov_b32_e32 v17, 22
	v_cmp_gt_i16_sdwa s[44:45], s33, v17 src0_sel:BYTE_0 src1_sel:DWORD
	s_mov_b64 s[42:43], -1
	s_and_b64 vcc, exec, s[44:45]
	s_cbranch_vccz .LBB86_155
; %bb.143:
	v_mov_b32_e32 v17, 24
	v_cmp_lt_i16_sdwa s[42:43], s33, v17 src0_sel:BYTE_0 src1_sel:DWORD
	s_mov_b64 s[40:41], -1
	s_and_b64 vcc, exec, s[42:43]
	s_cbranch_vccnz .LBB86_152
; %bb.144:
	v_cmp_gt_i16_sdwa s[42:43], s33, v17 src0_sel:BYTE_0 src1_sel:DWORD
	s_and_b64 vcc, exec, s[42:43]
	s_cbranch_vccz .LBB86_149
; %bb.145:
	s_andn2_b64 vcc, exec, s[20:21]
	s_movk_i32 s40, 0x80
	s_cbranch_vccnz .LBB86_148
; %bb.146:
	s_or_b64 s[40:41], s[18:19], s[22:23]
	s_andn2_b64 vcc, exec, s[40:41]
	s_mov_b32 s40, 0
	s_cbranch_vccnz .LBB86_148
; %bb.147:
	s_and_b64 s[40:41], s[18:19], exec
	s_cselect_b32 s40, s60, s62
	s_or_b32 s40, s40, s54
.LBB86_148:
	v_mov_b32_e32 v17, s40
	s_mov_b64 s[40:41], 0
	global_store_byte v[8:9], v17, off
.LBB86_149:
	s_and_b64 vcc, exec, s[40:41]
	s_cbranch_vccz .LBB86_151
; %bb.150:
	s_and_b64 s[40:41], s[16:17], exec
	s_cselect_b32 s42, s59, s58
	s_and_b64 s[40:41], s[14:15], exec
	s_cselect_b32 s40, s61, s42
	s_or_b32 s40, s40, s54
	v_mov_b32_e32 v17, s40
	global_store_byte v[8:9], v17, off
.LBB86_151:
	s_mov_b64 s[40:41], 0
.LBB86_152:
	s_andn2_b64 vcc, exec, s[40:41]
	s_cbranch_vccnz .LBB86_154
; %bb.153:
	s_and_b64 s[40:41], s[12:13], exec
	s_cselect_b32 s42, s56, s55
	s_and_b64 s[40:41], s[6:7], exec
	s_cselect_b32 s40, s57, s42
	s_or_b32 s40, s40, s54
	v_mov_b32_e32 v17, s40
	global_store_byte v[8:9], v17, off
.LBB86_154:
	s_mov_b64 s[42:43], 0
	s_mov_b64 s[40:41], -1
.LBB86_155:
	s_andn2_b64 vcc, exec, s[42:43]
	s_cbranch_vccnz .LBB86_163
; %bb.156:
	v_mov_b32_e32 v17, 14
	v_cmp_gt_i16_sdwa s[44:45], s33, v17 src0_sel:BYTE_0 src1_sel:DWORD
	s_mov_b64 s[42:43], -1
	s_and_b64 vcc, exec, s[44:45]
	s_cbranch_vccz .LBB86_160
; %bb.157:
	v_mov_b32_e32 v17, 15
	v_cmp_eq_u16_sdwa s[42:43], s33, v17 src0_sel:BYTE_0 src1_sel:DWORD
	s_mov_b64 s[36:37], -1
	s_and_b64 vcc, exec, s[42:43]
	s_cbranch_vccz .LBB86_159
; %bb.158:
	v_mov_b32_e32 v17, s11
	global_store_short v[8:9], v17, off
	s_mov_b64 s[40:41], -1
	s_mov_b64 s[36:37], 0
.LBB86_159:
	s_mov_b64 s[42:43], 0
.LBB86_160:
	s_and_b64 vcc, exec, s[42:43]
	s_cbranch_vccz .LBB86_163
; %bb.161:
	v_mov_b32_e32 v17, 11
	v_cmp_eq_u16_sdwa s[42:43], s33, v17 src0_sel:BYTE_0 src1_sel:DWORD
	s_mov_b64 s[36:37], -1
	s_and_b64 vcc, exec, s[42:43]
	s_cbranch_vccz .LBB86_163
; %bb.162:
	s_mov_b64 s[40:41], -1
	s_mov_b64 s[36:37], 0
	global_store_byte v[8:9], v13, off
.LBB86_163:
	s_branch .LBB86_113
.LBB86_164:
	v_mov_b32_e32 v17, 5
	v_cmp_lt_i16_sdwa s[42:43], s33, v17 src0_sel:BYTE_0 src1_sel:DWORD
	s_mov_b64 s[40:41], -1
	s_and_b64 vcc, exec, s[42:43]
	s_cbranch_vccnz .LBB86_185
; %bb.165:
	v_mov_b32_e32 v17, 8
	v_cmp_lt_i16_sdwa s[42:43], s33, v17 src0_sel:BYTE_0 src1_sel:DWORD
	s_and_b64 vcc, exec, s[42:43]
	s_cbranch_vccnz .LBB86_175
; %bb.166:
	v_mov_b32_e32 v17, 9
	v_cmp_lt_i16_sdwa s[42:43], s33, v17 src0_sel:BYTE_0 src1_sel:DWORD
	s_and_b64 vcc, exec, s[42:43]
	s_cbranch_vccnz .LBB86_172
; %bb.167:
	v_cmp_gt_i16_sdwa s[42:43], s33, v17 src0_sel:BYTE_0 src1_sel:DWORD
	s_and_b64 vcc, exec, s[42:43]
	s_cbranch_vccz .LBB86_169
; %bb.168:
	s_mov_b64 s[40:41], 0
	global_store_dwordx4 v[8:9], v[0:3], off
.LBB86_169:
	s_andn2_b64 vcc, exec, s[40:41]
	s_cbranch_vccnz .LBB86_171
; %bb.170:
	v_mov_b32_e32 v18, s52
	v_mov_b32_e32 v19, s53
	global_store_dwordx2 v[8:9], v[18:19], off
.LBB86_171:
	s_mov_b64 s[40:41], 0
.LBB86_172:
	s_andn2_b64 vcc, exec, s[40:41]
	s_cbranch_vccnz .LBB86_174
; %bb.173:
	global_store_dword v[8:9], v12, off
.LBB86_174:
	s_mov_b64 s[40:41], 0
.LBB86_175:
	s_andn2_b64 vcc, exec, s[40:41]
	s_cbranch_vccnz .LBB86_184
; %bb.176:
	v_mov_b32_e32 v17, 6
	v_cmp_lt_i16_sdwa s[42:43], s33, v17 src0_sel:BYTE_0 src1_sel:DWORD
	s_mov_b64 s[40:41], -1
	s_and_b64 vcc, exec, s[42:43]
	s_cbranch_vccnz .LBB86_182
; %bb.177:
	v_cmp_gt_i16_sdwa s[42:43], s33, v17 src0_sel:BYTE_0 src1_sel:DWORD
	s_and_b64 vcc, exec, s[42:43]
	s_cbranch_vccz .LBB86_179
; %bb.178:
	s_mov_b64 s[40:41], 0
	global_store_dwordx2 v[8:9], v[0:1], off
.LBB86_179:
	s_andn2_b64 vcc, exec, s[40:41]
	s_cbranch_vccnz .LBB86_181
; %bb.180:
	v_mov_b32_e32 v17, s52
	global_store_dword v[8:9], v17, off
.LBB86_181:
	s_mov_b64 s[40:41], 0
.LBB86_182:
	s_andn2_b64 vcc, exec, s[40:41]
	s_cbranch_vccnz .LBB86_184
; %bb.183:
	global_store_short v[8:9], v11, off
.LBB86_184:
	s_mov_b64 s[40:41], 0
.LBB86_185:
	s_andn2_b64 vcc, exec, s[40:41]
	s_cbranch_vccnz .LBB86_201
; %bb.186:
	v_mov_b32_e32 v17, 2
	v_cmp_lt_i16_sdwa s[42:43], s33, v17 src0_sel:BYTE_0 src1_sel:DWORD
	s_mov_b64 s[40:41], -1
	s_and_b64 vcc, exec, s[42:43]
	s_cbranch_vccnz .LBB86_196
; %bb.187:
	v_mov_b32_e32 v17, 3
	v_cmp_lt_i16_sdwa s[42:43], s33, v17 src0_sel:BYTE_0 src1_sel:DWORD
	s_and_b64 vcc, exec, s[42:43]
	s_cbranch_vccnz .LBB86_193
; %bb.188:
	v_cmp_gt_i16_sdwa s[42:43], s33, v17 src0_sel:BYTE_0 src1_sel:DWORD
	s_and_b64 vcc, exec, s[42:43]
	s_cbranch_vccz .LBB86_190
; %bb.189:
	s_mov_b64 s[40:41], 0
	global_store_dwordx2 v[8:9], v[4:5], off
.LBB86_190:
	s_andn2_b64 vcc, exec, s[40:41]
	s_cbranch_vccnz .LBB86_192
; %bb.191:
	global_store_dword v[8:9], v10, off
.LBB86_192:
	s_mov_b64 s[40:41], 0
.LBB86_193:
	s_andn2_b64 vcc, exec, s[40:41]
	s_cbranch_vccnz .LBB86_195
; %bb.194:
	global_store_short v[8:9], v10, off
.LBB86_195:
	s_mov_b64 s[40:41], 0
.LBB86_196:
	s_andn2_b64 vcc, exec, s[40:41]
	s_cbranch_vccnz .LBB86_201
; %bb.197:
	v_mov_b32_e32 v17, 0
	v_cmp_gt_i16_sdwa s[42:43], s33, v17 src0_sel:BYTE_0 src1_sel:DWORD
	s_mov_b64 s[40:41], -1
	s_and_b64 vcc, exec, s[42:43]
	s_cbranch_vccz .LBB86_199
; %bb.198:
	s_mov_b64 s[40:41], 0
	global_store_byte v[8:9], v10, off
.LBB86_199:
	s_andn2_b64 vcc, exec, s[40:41]
	s_cbranch_vccnz .LBB86_201
; %bb.200:
	global_store_byte v[8:9], v4, off
.LBB86_201:
	s_branch .LBB86_114
.LBB86_202:
	s_mov_b64 s[40:41], 0
                                        ; implicit-def: $vgpr16
.LBB86_203:
	s_andn2_b64 s[42:43], s[30:31], exec
	s_and_b64 s[36:37], s[36:37], exec
	s_or_b64 s[36:37], s[42:43], s[36:37]
	s_orn2_b64 s[42:43], s[40:41], exec
.LBB86_204:
	s_or_b64 exec, exec, s[38:39]
	s_mov_b64 s[44:45], 0
	s_mov_b64 s[40:41], 0
                                        ; implicit-def: $vgpr17
                                        ; implicit-def: $vgpr8_vgpr9
	s_and_saveexec_b64 s[38:39], s[42:43]
	s_cbranch_execz .LBB86_363
; %bb.205:
	v_cmp_gt_i32_e32 vcc, s48, v16
	s_mov_b64 s[46:47], -1
	s_mov_b64 s[42:43], s[36:37]
	s_and_saveexec_b64 s[40:41], vcc
	s_cbranch_execz .LBB86_306
; %bb.206:
	v_mul_lo_u32 v8, v16, s10
	v_ashrrev_i32_e32 v9, 31, v8
	v_mov_b32_e32 v17, s9
	v_add_co_u32_e32 v8, vcc, s8, v8
	v_addc_co_u32_e32 v9, vcc, v17, v9, vcc
	v_mov_b32_e32 v17, 11
	v_cmp_lt_i16_sdwa s[42:43], s33, v17 src0_sel:BYTE_0 src1_sel:DWORD
	s_and_b64 vcc, exec, s[42:43]
	s_cbranch_vccnz .LBB86_213
; %bb.207:
	v_mov_b32_e32 v17, 25
	v_cmp_gt_i16_sdwa s[42:43], s33, v17 src0_sel:BYTE_0 src1_sel:DWORD
	s_and_b64 vcc, exec, s[42:43]
	s_cbranch_vccz .LBB86_214
; %bb.208:
	v_mov_b32_e32 v17, 28
	v_cmp_gt_i16_sdwa s[42:43], s33, v17 src0_sel:BYTE_0 src1_sel:DWORD
	s_and_b64 vcc, exec, s[42:43]
	s_cbranch_vccz .LBB86_215
	;; [unrolled: 5-line block ×4, first 2 shown]
; %bb.211:
	v_mov_b32_e32 v17, 46
	v_cmp_eq_u16_sdwa s[44:45], s33, v17 src0_sel:BYTE_0 src1_sel:DWORD
	s_mov_b64 s[46:47], 0
	s_mov_b64 s[42:43], -1
	s_and_b64 vcc, exec, s[44:45]
	s_mov_b64 s[44:45], 0
	s_cbranch_vccz .LBB86_218
; %bb.212:
	v_mov_b32_e32 v17, s11
	global_store_dword v[8:9], v17, off
	s_mov_b64 s[44:45], -1
	s_mov_b64 s[42:43], 0
	s_branch .LBB86_218
.LBB86_213:
	s_mov_b64 s[42:43], s[36:37]
	s_branch .LBB86_263
.LBB86_214:
	s_mov_b64 s[42:43], s[36:37]
	s_branch .LBB86_240
.LBB86_215:
	s_mov_b64 s[42:43], s[36:37]
	s_branch .LBB86_226
.LBB86_216:
	s_mov_b64 s[42:43], s[36:37]
	s_branch .LBB86_222
.LBB86_217:
	s_mov_b64 s[42:43], s[36:37]
.LBB86_218:
	s_and_b64 vcc, exec, s[46:47]
	s_cbranch_vccz .LBB86_221
; %bb.219:
	v_mov_b32_e32 v17, 44
	v_cmp_eq_u16_sdwa s[46:47], s33, v17 src0_sel:BYTE_0 src1_sel:DWORD
	s_mov_b64 s[42:43], -1
	s_and_b64 vcc, exec, s[46:47]
	s_cbranch_vccz .LBB86_221
; %bb.220:
	v_mov_b32_e32 v17, 0xff
	v_cndmask_b32_e64 v17, v15, v17, s[0:1]
	s_mov_b64 s[44:45], -1
	s_mov_b64 s[42:43], 0
	global_store_byte v[8:9], v17, off
.LBB86_221:
	s_mov_b64 s[46:47], 0
.LBB86_222:
	s_and_b64 vcc, exec, s[46:47]
	s_cbranch_vccz .LBB86_225
; %bb.223:
	v_mov_b32_e32 v17, 29
	v_cmp_eq_u16_sdwa s[46:47], s33, v17 src0_sel:BYTE_0 src1_sel:DWORD
	s_mov_b64 s[42:43], -1
	s_and_b64 vcc, exec, s[46:47]
	s_cbranch_vccz .LBB86_225
; %bb.224:
	global_store_dwordx2 v[8:9], v[6:7], off
	s_mov_b64 s[44:45], -1
	s_mov_b64 s[42:43], 0
.LBB86_225:
	s_mov_b64 s[46:47], 0
.LBB86_226:
	s_and_b64 vcc, exec, s[46:47]
	s_cbranch_vccz .LBB86_239
; %bb.227:
	v_mov_b32_e32 v17, 27
	v_cmp_lt_i16_sdwa s[46:47], s33, v17 src0_sel:BYTE_0 src1_sel:DWORD
	s_mov_b64 s[44:45], -1
	s_and_b64 vcc, exec, s[46:47]
	s_cbranch_vccnz .LBB86_233
; %bb.228:
	v_cmp_gt_i16_sdwa s[46:47], s33, v17 src0_sel:BYTE_0 src1_sel:DWORD
	s_and_b64 vcc, exec, s[46:47]
	s_cbranch_vccz .LBB86_230
; %bb.229:
	s_mov_b64 s[44:45], 0
	global_store_dword v[8:9], v14, off
.LBB86_230:
	s_andn2_b64 vcc, exec, s[44:45]
	s_cbranch_vccnz .LBB86_232
; %bb.231:
	global_store_short v[8:9], v14, off
.LBB86_232:
	s_mov_b64 s[44:45], 0
.LBB86_233:
	s_andn2_b64 vcc, exec, s[44:45]
	s_cbranch_vccnz .LBB86_238
; %bb.234:
	s_andn2_b64 vcc, exec, s[26:27]
	s_movk_i32 s44, 0x80
	s_cbranch_vccnz .LBB86_237
; %bb.235:
	s_or_b64 s[44:45], s[24:25], s[28:29]
	s_andn2_b64 vcc, exec, s[44:45]
	s_mov_b32 s44, 0
	s_cbranch_vccnz .LBB86_237
; %bb.236:
	s_and_b64 s[44:45], s[24:25], exec
	s_cselect_b32 s44, s63, s64
	s_or_b32 s44, s44, s54
.LBB86_237:
	v_mov_b32_e32 v17, s44
	global_store_byte v[8:9], v17, off
.LBB86_238:
	s_mov_b64 s[44:45], -1
.LBB86_239:
	s_mov_b64 s[46:47], 0
.LBB86_240:
	s_and_b64 vcc, exec, s[46:47]
	s_cbranch_vccz .LBB86_262
; %bb.241:
	v_mov_b32_e32 v17, 22
	v_cmp_gt_i16_sdwa s[50:51], s33, v17 src0_sel:BYTE_0 src1_sel:DWORD
	s_mov_b64 s[46:47], -1
	s_and_b64 vcc, exec, s[50:51]
	s_cbranch_vccz .LBB86_254
; %bb.242:
	v_mov_b32_e32 v17, 24
	v_cmp_lt_i16_sdwa s[46:47], s33, v17 src0_sel:BYTE_0 src1_sel:DWORD
	s_mov_b64 s[44:45], -1
	s_and_b64 vcc, exec, s[46:47]
	s_cbranch_vccnz .LBB86_251
; %bb.243:
	v_cmp_gt_i16_sdwa s[46:47], s33, v17 src0_sel:BYTE_0 src1_sel:DWORD
	s_and_b64 vcc, exec, s[46:47]
	s_cbranch_vccz .LBB86_248
; %bb.244:
	s_andn2_b64 vcc, exec, s[20:21]
	s_movk_i32 s44, 0x80
	s_cbranch_vccnz .LBB86_247
; %bb.245:
	s_or_b64 s[44:45], s[18:19], s[22:23]
	s_andn2_b64 vcc, exec, s[44:45]
	s_mov_b32 s44, 0
	s_cbranch_vccnz .LBB86_247
; %bb.246:
	s_and_b64 s[44:45], s[18:19], exec
	s_cselect_b32 s44, s60, s62
	s_or_b32 s44, s44, s54
.LBB86_247:
	v_mov_b32_e32 v17, s44
	s_mov_b64 s[44:45], 0
	global_store_byte v[8:9], v17, off
.LBB86_248:
	s_and_b64 vcc, exec, s[44:45]
	s_cbranch_vccz .LBB86_250
; %bb.249:
	s_and_b64 s[44:45], s[16:17], exec
	s_cselect_b32 s46, s59, s58
	s_and_b64 s[44:45], s[14:15], exec
	s_cselect_b32 s44, s61, s46
	s_or_b32 s44, s44, s54
	v_mov_b32_e32 v17, s44
	global_store_byte v[8:9], v17, off
.LBB86_250:
	s_mov_b64 s[44:45], 0
.LBB86_251:
	s_andn2_b64 vcc, exec, s[44:45]
	s_cbranch_vccnz .LBB86_253
; %bb.252:
	s_and_b64 s[44:45], s[12:13], exec
	s_cselect_b32 s46, s56, s55
	s_and_b64 s[44:45], s[6:7], exec
	s_cselect_b32 s44, s57, s46
	s_or_b32 s44, s44, s54
	v_mov_b32_e32 v17, s44
	global_store_byte v[8:9], v17, off
.LBB86_253:
	s_mov_b64 s[46:47], 0
	s_mov_b64 s[44:45], -1
.LBB86_254:
	s_andn2_b64 vcc, exec, s[46:47]
	s_cbranch_vccnz .LBB86_262
; %bb.255:
	v_mov_b32_e32 v17, 14
	v_cmp_gt_i16_sdwa s[50:51], s33, v17 src0_sel:BYTE_0 src1_sel:DWORD
	s_mov_b64 s[46:47], -1
	s_and_b64 vcc, exec, s[50:51]
	s_cbranch_vccz .LBB86_259
; %bb.256:
	v_mov_b32_e32 v17, 15
	v_cmp_eq_u16_sdwa s[46:47], s33, v17 src0_sel:BYTE_0 src1_sel:DWORD
	s_mov_b64 s[42:43], -1
	s_and_b64 vcc, exec, s[46:47]
	s_cbranch_vccz .LBB86_258
; %bb.257:
	v_mov_b32_e32 v17, s11
	global_store_short v[8:9], v17, off
	s_mov_b64 s[44:45], -1
	s_mov_b64 s[42:43], 0
.LBB86_258:
	s_mov_b64 s[46:47], 0
.LBB86_259:
	s_and_b64 vcc, exec, s[46:47]
	s_cbranch_vccz .LBB86_262
; %bb.260:
	v_mov_b32_e32 v17, 11
	v_cmp_eq_u16_sdwa s[46:47], s33, v17 src0_sel:BYTE_0 src1_sel:DWORD
	s_mov_b64 s[42:43], -1
	s_and_b64 vcc, exec, s[46:47]
	s_cbranch_vccz .LBB86_262
; %bb.261:
	s_mov_b64 s[44:45], -1
	s_mov_b64 s[42:43], 0
	global_store_byte v[8:9], v13, off
.LBB86_262:
	s_mov_b64 s[46:47], 0
.LBB86_263:
	s_and_b64 vcc, exec, s[46:47]
	s_cbranch_vccz .LBB86_302
; %bb.264:
	v_mov_b32_e32 v17, 5
	v_cmp_lt_i16_sdwa s[46:47], s33, v17 src0_sel:BYTE_0 src1_sel:DWORD
	s_mov_b64 s[44:45], -1
	s_and_b64 vcc, exec, s[46:47]
	s_cbranch_vccnz .LBB86_285
; %bb.265:
	v_mov_b32_e32 v17, 8
	v_cmp_lt_i16_sdwa s[46:47], s33, v17 src0_sel:BYTE_0 src1_sel:DWORD
	s_and_b64 vcc, exec, s[46:47]
	s_cbranch_vccnz .LBB86_275
; %bb.266:
	v_mov_b32_e32 v17, 9
	v_cmp_lt_i16_sdwa s[46:47], s33, v17 src0_sel:BYTE_0 src1_sel:DWORD
	s_and_b64 vcc, exec, s[46:47]
	s_cbranch_vccnz .LBB86_272
; %bb.267:
	v_cmp_gt_i16_sdwa s[46:47], s33, v17 src0_sel:BYTE_0 src1_sel:DWORD
	s_and_b64 vcc, exec, s[46:47]
	s_cbranch_vccz .LBB86_269
; %bb.268:
	s_mov_b64 s[44:45], 0
	global_store_dwordx4 v[8:9], v[0:3], off
.LBB86_269:
	s_andn2_b64 vcc, exec, s[44:45]
	s_cbranch_vccnz .LBB86_271
; %bb.270:
	v_mov_b32_e32 v18, s52
	v_mov_b32_e32 v19, s53
	global_store_dwordx2 v[8:9], v[18:19], off
.LBB86_271:
	s_mov_b64 s[44:45], 0
.LBB86_272:
	s_andn2_b64 vcc, exec, s[44:45]
	s_cbranch_vccnz .LBB86_274
; %bb.273:
	global_store_dword v[8:9], v12, off
.LBB86_274:
	s_mov_b64 s[44:45], 0
.LBB86_275:
	s_andn2_b64 vcc, exec, s[44:45]
	s_cbranch_vccnz .LBB86_284
; %bb.276:
	v_mov_b32_e32 v17, 6
	v_cmp_lt_i16_sdwa s[46:47], s33, v17 src0_sel:BYTE_0 src1_sel:DWORD
	s_mov_b64 s[44:45], -1
	s_and_b64 vcc, exec, s[46:47]
	s_cbranch_vccnz .LBB86_282
; %bb.277:
	v_cmp_gt_i16_sdwa s[46:47], s33, v17 src0_sel:BYTE_0 src1_sel:DWORD
	s_and_b64 vcc, exec, s[46:47]
	s_cbranch_vccz .LBB86_279
; %bb.278:
	s_mov_b64 s[44:45], 0
	global_store_dwordx2 v[8:9], v[0:1], off
.LBB86_279:
	s_andn2_b64 vcc, exec, s[44:45]
	s_cbranch_vccnz .LBB86_281
; %bb.280:
	v_mov_b32_e32 v17, s52
	global_store_dword v[8:9], v17, off
.LBB86_281:
	s_mov_b64 s[44:45], 0
.LBB86_282:
	s_andn2_b64 vcc, exec, s[44:45]
	s_cbranch_vccnz .LBB86_284
; %bb.283:
	global_store_short v[8:9], v11, off
.LBB86_284:
	s_mov_b64 s[44:45], 0
.LBB86_285:
	s_andn2_b64 vcc, exec, s[44:45]
	s_cbranch_vccnz .LBB86_301
; %bb.286:
	v_mov_b32_e32 v17, 2
	v_cmp_lt_i16_sdwa s[46:47], s33, v17 src0_sel:BYTE_0 src1_sel:DWORD
	s_mov_b64 s[44:45], -1
	s_and_b64 vcc, exec, s[46:47]
	s_cbranch_vccnz .LBB86_296
; %bb.287:
	v_mov_b32_e32 v17, 3
	v_cmp_lt_i16_sdwa s[46:47], s33, v17 src0_sel:BYTE_0 src1_sel:DWORD
	s_and_b64 vcc, exec, s[46:47]
	s_cbranch_vccnz .LBB86_293
; %bb.288:
	v_cmp_gt_i16_sdwa s[46:47], s33, v17 src0_sel:BYTE_0 src1_sel:DWORD
	s_and_b64 vcc, exec, s[46:47]
	s_cbranch_vccz .LBB86_290
; %bb.289:
	s_mov_b64 s[44:45], 0
	global_store_dwordx2 v[8:9], v[4:5], off
.LBB86_290:
	s_andn2_b64 vcc, exec, s[44:45]
	s_cbranch_vccnz .LBB86_292
; %bb.291:
	global_store_dword v[8:9], v10, off
.LBB86_292:
	s_mov_b64 s[44:45], 0
.LBB86_293:
	s_andn2_b64 vcc, exec, s[44:45]
	s_cbranch_vccnz .LBB86_295
; %bb.294:
	global_store_short v[8:9], v10, off
.LBB86_295:
	s_mov_b64 s[44:45], 0
.LBB86_296:
	s_andn2_b64 vcc, exec, s[44:45]
	s_cbranch_vccnz .LBB86_301
; %bb.297:
	v_mov_b32_e32 v17, 0
	v_cmp_gt_i16_sdwa s[46:47], s33, v17 src0_sel:BYTE_0 src1_sel:DWORD
	s_mov_b64 s[44:45], -1
	s_and_b64 vcc, exec, s[46:47]
	s_cbranch_vccz .LBB86_299
; %bb.298:
	s_mov_b64 s[44:45], 0
	global_store_byte v[8:9], v10, off
.LBB86_299:
	s_andn2_b64 vcc, exec, s[44:45]
	s_cbranch_vccnz .LBB86_301
; %bb.300:
	global_store_byte v[8:9], v4, off
.LBB86_301:
	s_mov_b64 s[44:45], -1
.LBB86_302:
	s_andn2_b64 vcc, exec, s[44:45]
	s_cbranch_vccnz .LBB86_304
; %bb.303:
	v_add_u32_e32 v16, 0x80, v16
	s_mov_b64 s[44:45], -1
	s_branch .LBB86_305
.LBB86_304:
	s_mov_b64 s[44:45], 0
                                        ; implicit-def: $vgpr16
.LBB86_305:
	s_andn2_b64 s[46:47], s[36:37], exec
	s_and_b64 s[42:43], s[42:43], exec
	s_or_b64 s[42:43], s[46:47], s[42:43]
	s_orn2_b64 s[46:47], s[44:45], exec
.LBB86_306:
	s_or_b64 exec, exec, s[40:41]
	s_mov_b64 s[44:45], 0
	s_mov_b64 s[50:51], 0
                                        ; implicit-def: $vgpr17
                                        ; implicit-def: $vgpr8_vgpr9
	s_and_saveexec_b64 s[40:41], s[46:47]
	s_cbranch_execz .LBB86_362
; %bb.307:
	v_cmp_gt_i32_e32 vcc, s48, v16
	s_mov_b64 s[48:49], 0
	s_mov_b64 s[46:47], s[42:43]
                                        ; implicit-def: $vgpr17
                                        ; implicit-def: $vgpr8_vgpr9
	s_and_saveexec_b64 s[44:45], vcc
	s_cbranch_execz .LBB86_361
; %bb.308:
	v_mul_lo_u32 v8, v16, s10
	v_ashrrev_i32_e32 v9, 31, v8
	v_mov_b32_e32 v16, s9
	v_add_co_u32_e32 v8, vcc, s8, v8
	v_addc_co_u32_e32 v9, vcc, v16, v9, vcc
	v_mov_b32_e32 v16, 0xff
	v_and_b32_e32 v17, s33, v16
	v_cmp_gt_i16_e32 vcc, 11, v17
	s_cbranch_vccnz .LBB86_358
; %bb.309:
	v_cmp_lt_i16_e32 vcc, 25, v17
	s_mov_b64 s[48:49], -1
	s_mov_b64 s[46:47], s[42:43]
	s_cbranch_vccz .LBB86_337
; %bb.310:
	v_cmp_lt_i16_e32 vcc, 28, v17
	s_mov_b64 s[46:47], s[42:43]
	s_cbranch_vccz .LBB86_324
; %bb.311:
	v_cmp_lt_i16_e32 vcc, 43, v17
	;; [unrolled: 4-line block ×3, first 2 shown]
	s_mov_b64 s[46:47], s[42:43]
	s_cbranch_vccz .LBB86_316
; %bb.313:
	v_cmp_eq_u16_e32 vcc, 46, v17
	s_mov_b64 s[46:47], -1
	s_cbranch_vccz .LBB86_315
; %bb.314:
	v_mov_b32_e32 v16, s11
	global_store_dword v[8:9], v16, off
	s_mov_b64 s[46:47], 0
.LBB86_315:
	s_mov_b64 s[48:49], 0
.LBB86_316:
	s_and_b64 vcc, exec, s[48:49]
	s_cbranch_vccz .LBB86_319
; %bb.317:
	v_cmp_eq_u16_e32 vcc, 44, v17
	s_mov_b64 s[46:47], -1
	s_cbranch_vccz .LBB86_319
; %bb.318:
	v_mov_b32_e32 v16, 0xff
	v_cndmask_b32_e64 v15, v15, v16, s[0:1]
	global_store_byte v[8:9], v15, off
	s_mov_b64 s[46:47], 0
.LBB86_319:
	s_mov_b64 s[48:49], 0
.LBB86_320:
	s_and_b64 vcc, exec, s[48:49]
	s_cbranch_vccz .LBB86_323
; %bb.321:
	v_cmp_eq_u16_e32 vcc, 29, v17
	s_mov_b64 s[46:47], -1
	s_cbranch_vccz .LBB86_323
; %bb.322:
	global_store_dwordx2 v[8:9], v[6:7], off
	s_mov_b64 s[46:47], 0
.LBB86_323:
	s_mov_b64 s[48:49], 0
.LBB86_324:
	s_and_b64 vcc, exec, s[48:49]
	s_cbranch_vccz .LBB86_336
; %bb.325:
	v_cmp_gt_i16_e32 vcc, 27, v17
	s_mov_b64 s[0:1], -1
	s_cbranch_vccnz .LBB86_331
; %bb.326:
	v_cmp_lt_i16_e32 vcc, 27, v17
	s_cbranch_vccz .LBB86_328
; %bb.327:
	s_mov_b64 s[0:1], 0
	global_store_dword v[8:9], v14, off
.LBB86_328:
	s_andn2_b64 vcc, exec, s[0:1]
	s_cbranch_vccnz .LBB86_330
; %bb.329:
	global_store_short v[8:9], v14, off
.LBB86_330:
	s_mov_b64 s[0:1], 0
.LBB86_331:
	s_andn2_b64 vcc, exec, s[0:1]
	s_cbranch_vccnz .LBB86_336
; %bb.332:
	s_andn2_b64 vcc, exec, s[26:27]
	s_movk_i32 s0, 0x80
	s_cbranch_vccnz .LBB86_335
; %bb.333:
	s_or_b64 s[0:1], s[24:25], s[28:29]
	s_andn2_b64 vcc, exec, s[0:1]
	s_mov_b32 s0, 0
	s_cbranch_vccnz .LBB86_335
; %bb.334:
	s_and_b64 s[0:1], s[24:25], exec
	s_cselect_b32 s0, s63, s64
	s_or_b32 s0, s0, s54
.LBB86_335:
	v_mov_b32_e32 v6, s0
	global_store_byte v[8:9], v6, off
.LBB86_336:
	s_mov_b64 s[48:49], 0
.LBB86_337:
	s_mov_b64 s[0:1], 0
	s_and_b64 vcc, exec, s[48:49]
	s_cbranch_vccz .LBB86_359
; %bb.338:
	v_cmp_lt_i16_e32 vcc, 22, v17
	s_mov_b64 s[24:25], -1
	s_cbranch_vccz .LBB86_351
; %bb.339:
	v_cmp_gt_i16_e32 vcc, 24, v17
	s_cbranch_vccnz .LBB86_348
; %bb.340:
	v_cmp_lt_i16_e32 vcc, 24, v17
	s_cbranch_vccz .LBB86_345
; %bb.341:
	s_andn2_b64 vcc, exec, s[20:21]
	s_movk_i32 s20, 0x80
	s_cbranch_vccnz .LBB86_344
; %bb.342:
	s_or_b64 s[20:21], s[18:19], s[22:23]
	s_andn2_b64 vcc, exec, s[20:21]
	s_mov_b32 s20, 0
	s_cbranch_vccnz .LBB86_344
; %bb.343:
	s_and_b64 s[18:19], s[18:19], exec
	s_cselect_b32 s18, s60, s62
	s_or_b32 s20, s18, s54
.LBB86_344:
	v_mov_b32_e32 v6, s20
	s_mov_b64 s[24:25], 0
	global_store_byte v[8:9], v6, off
.LBB86_345:
	s_and_b64 vcc, exec, s[24:25]
	s_cbranch_vccz .LBB86_347
; %bb.346:
	s_and_b64 s[16:17], s[16:17], exec
	s_cselect_b32 s16, s59, s58
	s_and_b64 s[14:15], s[14:15], exec
	s_cselect_b32 s14, s61, s16
	s_or_b32 s14, s14, s54
	v_mov_b32_e32 v6, s14
	global_store_byte v[8:9], v6, off
.LBB86_347:
	s_mov_b64 s[24:25], 0
.LBB86_348:
	s_andn2_b64 vcc, exec, s[24:25]
	s_cbranch_vccnz .LBB86_350
; %bb.349:
	s_and_b64 s[12:13], s[12:13], exec
	s_cselect_b32 s12, s56, s55
	s_and_b64 s[6:7], s[6:7], exec
	s_cselect_b32 s6, s57, s12
	s_or_b32 s6, s6, s54
	v_mov_b32_e32 v6, s6
	global_store_byte v[8:9], v6, off
.LBB86_350:
	s_mov_b64 s[24:25], 0
.LBB86_351:
	s_andn2_b64 vcc, exec, s[24:25]
	s_mov_b64 s[6:7], 0
	s_cbranch_vccnz .LBB86_360
; %bb.352:
	v_cmp_lt_i16_e32 vcc, 14, v17
	s_mov_b64 s[12:13], -1
	s_cbranch_vccz .LBB86_356
; %bb.353:
	v_cmp_eq_u16_e32 vcc, 15, v17
	s_mov_b64 s[46:47], -1
	s_cbranch_vccz .LBB86_355
; %bb.354:
	v_mov_b32_e32 v6, s11
	global_store_short v[8:9], v6, off
	s_mov_b64 s[46:47], 0
.LBB86_355:
	s_mov_b64 s[12:13], 0
.LBB86_356:
	s_and_b64 vcc, exec, s[12:13]
	s_cbranch_vccz .LBB86_360
; %bb.357:
	v_cmp_ne_u16_e32 vcc, 11, v17
	s_andn2_b64 s[12:13], s[46:47], exec
	s_and_b64 s[14:15], vcc, exec
	s_mov_b64 s[6:7], -1
	s_or_b64 s[46:47], s[12:13], s[14:15]
	s_branch .LBB86_360
.LBB86_358:
	s_mov_b64 s[6:7], 0
	s_mov_b64 s[0:1], -1
	s_mov_b64 s[46:47], s[42:43]
	s_branch .LBB86_360
.LBB86_359:
	s_mov_b64 s[6:7], 0
.LBB86_360:
	s_and_b64 s[50:51], s[0:1], exec
	s_and_b64 s[48:49], s[6:7], exec
	s_andn2_b64 s[0:1], s[42:43], exec
	s_and_b64 s[6:7], s[46:47], exec
	s_or_b64 s[46:47], s[0:1], s[6:7]
.LBB86_361:
	s_or_b64 exec, exec, s[44:45]
	s_andn2_b64 s[0:1], s[42:43], exec
	s_and_b64 s[6:7], s[46:47], exec
	s_and_b64 s[50:51], s[50:51], exec
	;; [unrolled: 1-line block ×3, first 2 shown]
	s_or_b64 s[42:43], s[0:1], s[6:7]
.LBB86_362:
	s_or_b64 exec, exec, s[40:41]
	s_andn2_b64 s[0:1], s[36:37], exec
	s_and_b64 s[6:7], s[42:43], exec
	s_and_b64 s[40:41], s[50:51], exec
	;; [unrolled: 1-line block ×3, first 2 shown]
	s_or_b64 s[36:37], s[0:1], s[6:7]
.LBB86_363:
	s_or_b64 exec, exec, s[38:39]
	s_andn2_b64 s[0:1], s[30:31], exec
	s_and_b64 s[6:7], s[36:37], exec
	s_and_b64 s[40:41], s[40:41], exec
	;; [unrolled: 1-line block ×3, first 2 shown]
	s_or_b64 s[30:31], s[0:1], s[6:7]
	s_or_b64 exec, exec, s[34:35]
	s_mov_b64 s[0:1], 0
	s_and_saveexec_b64 s[6:7], s[30:31]
	s_cbranch_execz .LBB86_110
.LBB86_364:
	s_mov_b64 s[0:1], exec
	s_andn2_b64 s[38:39], s[38:39], exec
	s_trap 2
	s_or_b64 exec, exec, s[6:7]
	s_and_saveexec_b64 s[6:7], s[38:39]
	s_xor_b64 s[6:7], exec, s[6:7]
	s_cbranch_execnz .LBB86_111
.LBB86_365:
	s_or_b64 exec, exec, s[6:7]
	s_and_saveexec_b64 s[6:7], s[40:41]
	s_xor_b64 s[6:7], exec, s[6:7]
	s_cbranch_execz .LBB86_403
.LBB86_366:
	v_cmp_gt_i16_e32 vcc, 5, v17
	s_mov_b64 s[12:13], -1
	s_cbranch_vccnz .LBB86_387
; %bb.367:
	v_cmp_gt_i16_e32 vcc, 8, v17
	s_cbranch_vccnz .LBB86_377
; %bb.368:
	v_cmp_gt_i16_e32 vcc, 9, v17
	s_cbranch_vccnz .LBB86_374
; %bb.369:
	v_cmp_lt_i16_e32 vcc, 9, v17
	s_cbranch_vccz .LBB86_371
; %bb.370:
	s_mov_b64 s[12:13], 0
	global_store_dwordx4 v[8:9], v[0:3], off
.LBB86_371:
	s_andn2_b64 vcc, exec, s[12:13]
	s_cbranch_vccnz .LBB86_373
; %bb.372:
	v_mov_b32_e32 v2, s52
	v_mov_b32_e32 v3, s53
	global_store_dwordx2 v[8:9], v[2:3], off
.LBB86_373:
	s_mov_b64 s[12:13], 0
.LBB86_374:
	s_andn2_b64 vcc, exec, s[12:13]
	s_cbranch_vccnz .LBB86_376
; %bb.375:
	global_store_dword v[8:9], v12, off
.LBB86_376:
	s_mov_b64 s[12:13], 0
.LBB86_377:
	s_andn2_b64 vcc, exec, s[12:13]
	s_cbranch_vccnz .LBB86_386
; %bb.378:
	v_cmp_gt_i16_e32 vcc, 6, v17
	s_mov_b64 s[12:13], -1
	s_cbranch_vccnz .LBB86_384
; %bb.379:
	v_cmp_lt_i16_e32 vcc, 6, v17
	s_cbranch_vccz .LBB86_381
; %bb.380:
	s_mov_b64 s[12:13], 0
	global_store_dwordx2 v[8:9], v[0:1], off
.LBB86_381:
	s_andn2_b64 vcc, exec, s[12:13]
	s_cbranch_vccnz .LBB86_383
; %bb.382:
	v_mov_b32_e32 v0, s52
	global_store_dword v[8:9], v0, off
.LBB86_383:
	s_mov_b64 s[12:13], 0
.LBB86_384:
	s_andn2_b64 vcc, exec, s[12:13]
	s_cbranch_vccnz .LBB86_386
; %bb.385:
	global_store_short v[8:9], v11, off
.LBB86_386:
	s_mov_b64 s[12:13], 0
.LBB86_387:
	s_andn2_b64 vcc, exec, s[12:13]
	s_cbranch_vccnz .LBB86_403
; %bb.388:
	v_cmp_gt_i16_e32 vcc, 2, v17
	s_mov_b64 s[12:13], -1
	s_cbranch_vccnz .LBB86_398
; %bb.389:
	v_cmp_gt_i16_e32 vcc, 3, v17
	s_cbranch_vccnz .LBB86_395
; %bb.390:
	v_cmp_lt_i16_e32 vcc, 3, v17
	s_cbranch_vccz .LBB86_392
; %bb.391:
	s_mov_b64 s[12:13], 0
	global_store_dwordx2 v[8:9], v[4:5], off
.LBB86_392:
	s_andn2_b64 vcc, exec, s[12:13]
	s_cbranch_vccnz .LBB86_394
; %bb.393:
	global_store_dword v[8:9], v10, off
.LBB86_394:
	s_mov_b64 s[12:13], 0
.LBB86_395:
	s_andn2_b64 vcc, exec, s[12:13]
	s_cbranch_vccnz .LBB86_397
; %bb.396:
	global_store_short v[8:9], v10, off
.LBB86_397:
	s_mov_b64 s[12:13], 0
.LBB86_398:
	s_andn2_b64 vcc, exec, s[12:13]
	s_cbranch_vccnz .LBB86_403
; %bb.399:
	v_cmp_lt_i16_e32 vcc, 0, v17
	s_mov_b64 s[12:13], -1
	s_cbranch_vccz .LBB86_401
; %bb.400:
	s_mov_b64 s[12:13], 0
	global_store_byte v[8:9], v10, off
.LBB86_401:
	s_andn2_b64 vcc, exec, s[12:13]
	s_cbranch_vccnz .LBB86_403
; %bb.402:
	global_store_byte v[8:9], v4, off
.LBB86_403:
	s_or_b64 exec, exec, s[6:7]
	s_and_b64 s[0:1], s[0:1], exec
                                        ; implicit-def: $vgpr16
.LBB86_404:
	s_or_saveexec_b64 s[2:3], s[2:3]
	s_mov_b64 s[12:13], 0
                                        ; implicit-def: $vgpr2
                                        ; implicit-def: $vgpr0_vgpr1
	s_xor_b64 exec, exec, s[2:3]
	s_cbranch_execz .LBB86_412
; %bb.405:
	v_mul_lo_u32 v2, s10, v16
	v_ashrrev_i32_e32 v1, 31, v2
	v_mov_b32_e32 v3, s9
	v_add_co_u32_e32 v0, vcc, s8, v2
	v_addc_co_u32_e32 v1, vcc, v3, v1, vcc
	v_mov_b32_e32 v3, 11
	v_cmp_lt_i16_sdwa s[4:5], s33, v3 src0_sel:BYTE_0 src1_sel:DWORD
	s_and_b64 vcc, exec, s[4:5]
	s_cbranch_vccnz .LBB86_415
; %bb.406:
	v_mov_b32_e32 v3, 25
	v_cmp_gt_i16_sdwa s[4:5], s33, v3 src0_sel:BYTE_0 src1_sel:DWORD
	s_mov_b64 s[6:7], -1
	s_and_b64 vcc, exec, s[4:5]
	s_mov_b64 s[14:15], 0
	s_mov_b64 s[4:5], 0
	s_cbranch_vccz .LBB86_448
; %bb.407:
	v_mov_b32_e32 v3, 28
	v_cmp_gt_i16_sdwa s[4:5], s33, v3 src0_sel:BYTE_0 src1_sel:DWORD
	s_and_b64 vcc, exec, s[4:5]
	s_cbranch_vccz .LBB86_417
; %bb.408:
	v_mov_b32_e32 v3, 43
	v_cmp_gt_i16_sdwa s[4:5], s33, v3 src0_sel:BYTE_0 src1_sel:DWORD
	s_and_b64 vcc, exec, s[4:5]
	;; [unrolled: 5-line block ×3, first 2 shown]
	s_cbranch_vccz .LBB86_419
; %bb.410:
	v_mov_b32_e32 v3, 46
	v_cmp_eq_u16_sdwa s[14:15], s33, v3 src0_sel:BYTE_0 src1_sel:DWORD
	s_mov_b64 s[4:5], -1
	s_mov_b64 s[6:7], 0
	s_and_b64 vcc, exec, s[14:15]
	s_mov_b64 s[14:15], 0
	s_cbranch_vccz .LBB86_420
; %bb.411:
	v_mov_b32_e32 v3, s11
	global_store_dword v[0:1], v3, off
	s_mov_b64 s[4:5], 0
	s_mov_b64 s[14:15], -1
	s_branch .LBB86_420
.LBB86_412:
	s_or_b64 exec, exec, s[2:3]
	s_and_saveexec_b64 s[2:3], s[0:1]
	s_cbranch_execz .LBB86_842
.LBB86_413:
	; divergent unreachable
	s_or_b64 exec, exec, s[2:3]
	s_and_saveexec_b64 s[0:1], s[4:5]
	s_xor_b64 s[0:1], exec, s[0:1]
	s_cbranch_execnz .LBB86_843
.LBB86_414:
	s_or_b64 exec, exec, s[0:1]
	s_and_saveexec_b64 s[0:1], s[12:13]
	s_cbranch_execnz .LBB86_844
	s_branch .LBB86_881
.LBB86_415:
	s_mov_b64 s[14:15], 0
	s_mov_b64 s[6:7], s[0:1]
	s_cbranch_execnz .LBB86_498
.LBB86_416:
	s_andn2_b64 vcc, exec, s[14:15]
	s_cbranch_vccz .LBB86_536
	s_branch .LBB86_840
.LBB86_417:
	s_mov_b64 s[4:5], 0
	s_branch .LBB86_429
.LBB86_418:
	s_mov_b64 s[4:5], 0
	s_and_b64 vcc, exec, s[6:7]
	s_cbranch_vccnz .LBB86_426
	s_branch .LBB86_428
.LBB86_419:
	s_mov_b64 s[4:5], 0
.LBB86_420:
	s_and_b64 vcc, exec, s[6:7]
	s_cbranch_vccz .LBB86_425
; %bb.421:
	v_mov_b32_e32 v3, 44
	v_cmp_eq_u16_sdwa s[6:7], s33, v3 src0_sel:BYTE_0 src1_sel:DWORD
	s_mov_b64 s[4:5], -1
	s_and_b64 vcc, exec, s[6:7]
	s_cbranch_vccz .LBB86_425
; %bb.422:
	s_lshl_b32 s4, s11, 16
	s_bfe_u32 s5, s4, 0x80017
	s_cmpk_eq_i32 s5, 0xff
	v_mov_b32_e32 v3, 0xff
	s_cbranch_scc1 .LBB86_424
; %bb.423:
	s_bfe_u32 s14, s11, 0x90007
	s_bitcmp1_b32 s11, 6
	s_cselect_b64 s[6:7], -1, 0
	s_and_b32 s4, s4, 0x3f0000
	s_or_b32 s4, s5, s4
	s_cmp_lg_u32 s4, 0
	s_cselect_b64 s[4:5], -1, 0
	s_and_b64 s[4:5], s[6:7], s[4:5]
	v_cndmask_b32_e64 v3, 0, 1, s[4:5]
	v_add_u32_e32 v3, s14, v3
.LBB86_424:
	s_mov_b64 s[4:5], 0
	s_mov_b64 s[14:15], -1
	global_store_byte v[0:1], v3, off
.LBB86_425:
	s_branch .LBB86_428
.LBB86_426:
	v_mov_b32_e32 v3, 29
	v_cmp_eq_u16_sdwa s[6:7], s33, v3 src0_sel:BYTE_0 src1_sel:DWORD
	s_mov_b64 s[4:5], -1
	s_and_b64 vcc, exec, s[6:7]
	s_cbranch_vccz .LBB86_428
; %bb.427:
	s_lshl_b32 s4, s11, 16
	v_trunc_f32_e32 v3, s4
	v_mul_f32_e32 v4, 0x2f800000, v3
	v_floor_f32_e32 v4, v4
	v_fmac_f32_e32 v3, 0xcf800000, v4
	v_cvt_u32_f32_e32 v5, v4
	v_cvt_u32_f32_e32 v4, v3
	s_mov_b64 s[4:5], 0
	s_mov_b64 s[14:15], -1
	s_mov_b64 s[6:7], 0
	global_store_dwordx2 v[0:1], v[4:5], off
	s_branch .LBB86_429
.LBB86_428:
	s_mov_b64 s[6:7], 0
.LBB86_429:
	s_and_b64 vcc, exec, s[6:7]
	s_cbranch_vccz .LBB86_447
; %bb.430:
	v_mov_b32_e32 v3, 27
	v_cmp_lt_i16_sdwa s[14:15], s33, v3 src0_sel:BYTE_0 src1_sel:DWORD
	s_mov_b64 s[6:7], -1
	s_and_b64 vcc, exec, s[14:15]
	s_cbranch_vccnz .LBB86_436
; %bb.431:
	v_cmp_gt_i16_sdwa s[14:15], s33, v3 src0_sel:BYTE_0 src1_sel:DWORD
	s_and_b64 vcc, exec, s[14:15]
	s_cbranch_vccz .LBB86_433
; %bb.432:
	s_lshl_b32 s6, s11, 16
	v_cvt_u32_f32_e32 v3, s6
	s_mov_b64 s[6:7], 0
	global_store_dword v[0:1], v3, off
.LBB86_433:
	s_andn2_b64 vcc, exec, s[6:7]
	s_cbranch_vccnz .LBB86_435
; %bb.434:
	s_lshl_b32 s6, s11, 16
	v_cvt_u32_f32_e32 v3, s6
	global_store_short v[0:1], v3, off
.LBB86_435:
	s_mov_b64 s[6:7], 0
.LBB86_436:
	s_andn2_b64 vcc, exec, s[6:7]
	s_cbranch_vccnz .LBB86_446
; %bb.437:
	s_lshl_b32 s16, s11, 16
	s_and_b32 s6, s16, 0x7fffffff
	s_cmp_gt_u32 s6, 0x437fffff
	v_mov_b32_e32 v4, 0x80
	s_cbranch_scc1 .LBB86_445
; %bb.438:
	s_cmp_gt_u32 s6, 0x3bffffff
	s_cbranch_scc0 .LBB86_440
; %bb.439:
	s_bfe_u32 s6, s16, 0x10014
	s_add_i32 s6, s16, s6
	s_add_i32 s6, s6, 0x487ffff
	s_lshr_b32 s17, s6, 20
	s_mov_b64 s[14:15], 0
	s_mov_b64 s[6:7], -1
	s_branch .LBB86_441
.LBB86_440:
	s_mov_b64 s[14:15], -1
	s_mov_b64 s[6:7], 0
                                        ; implicit-def: $sgpr17
.LBB86_441:
	s_andn2_b64 vcc, exec, s[14:15]
	v_mov_b32_e32 v3, s17
                                        ; implicit-def: $sgpr14
	s_cbranch_vccnz .LBB86_443
; %bb.442:
	v_mov_b32_e32 v3, 0x46000000
	v_add_f32_e64 v3, |s16|, v3
	v_and_b32_e32 v3, 0xff, v3
	s_mov_b32 s14, 0
	v_cmp_ne_u32_e64 s[6:7], 0, v3
.LBB86_443:
	s_andn2_b64 vcc, exec, s[6:7]
	v_mov_b32_e32 v4, s14
	s_cbranch_vccnz .LBB86_445
; %bb.444:
	s_lshr_b32 s6, s16, 24
	s_and_b32 s6, s6, 0x80
	v_or_b32_e32 v4, s6, v3
.LBB86_445:
	global_store_byte v[0:1], v4, off
.LBB86_446:
	s_mov_b64 s[14:15], -1
.LBB86_447:
	s_mov_b64 s[6:7], 0
.LBB86_448:
	s_and_b64 vcc, exec, s[6:7]
	s_cbranch_vccz .LBB86_494
; %bb.449:
	v_mov_b32_e32 v3, 22
	v_cmp_gt_i16_sdwa s[12:13], s33, v3 src0_sel:BYTE_0 src1_sel:DWORD
	s_mov_b64 s[6:7], -1
	s_and_b64 vcc, exec, s[12:13]
	s_cbranch_vccz .LBB86_487
; %bb.450:
	v_mov_b32_e32 v3, 24
	v_cmp_lt_i16_sdwa s[12:13], s33, v3 src0_sel:BYTE_0 src1_sel:DWORD
	s_and_b64 vcc, exec, s[12:13]
	s_cbranch_vccnz .LBB86_474
; %bb.451:
	v_cmp_gt_i16_sdwa s[12:13], s33, v3 src0_sel:BYTE_0 src1_sel:DWORD
	s_and_b64 vcc, exec, s[12:13]
	s_cbranch_vccz .LBB86_461
; %bb.452:
	s_lshl_b32 s14, s11, 16
	s_and_b32 s6, s14, 0x7fffffff
	s_cmp_gt_u32 s6, 0x477fffff
	v_mov_b32_e32 v4, 0x80
	s_cbranch_scc1 .LBB86_460
; %bb.453:
	s_cmp_gt_u32 s6, 0x37ffffff
	s_cbranch_scc0 .LBB86_455
; %bb.454:
	s_bfe_u32 s6, s14, 0x10015
	s_add_i32 s6, s14, s6
	s_add_i32 s6, s6, 0x88fffff
	s_lshr_b32 s15, s6, 21
	s_mov_b64 s[12:13], 0
	s_mov_b64 s[6:7], -1
	s_branch .LBB86_456
.LBB86_455:
	s_mov_b64 s[12:13], -1
	s_mov_b64 s[6:7], 0
                                        ; implicit-def: $sgpr15
.LBB86_456:
	s_andn2_b64 vcc, exec, s[12:13]
	v_mov_b32_e32 v3, s15
                                        ; implicit-def: $sgpr12
	s_cbranch_vccnz .LBB86_458
; %bb.457:
	v_mov_b32_e32 v3, 0x42800000
	v_add_f32_e64 v3, |s14|, v3
	v_and_b32_e32 v3, 0xff, v3
	s_mov_b32 s12, 0
	v_cmp_ne_u32_e64 s[6:7], 0, v3
.LBB86_458:
	s_andn2_b64 vcc, exec, s[6:7]
	v_mov_b32_e32 v4, s12
	s_cbranch_vccnz .LBB86_460
; %bb.459:
	s_lshr_b32 s6, s14, 24
	s_and_b32 s6, s6, 0x80
	v_or_b32_e32 v4, s6, v3
.LBB86_460:
	s_mov_b64 s[6:7], 0
	global_store_byte v[0:1], v4, off
.LBB86_461:
	s_and_b64 vcc, exec, s[6:7]
	s_cbranch_vccz .LBB86_473
; %bb.462:
	s_lshl_b32 s12, s11, 16
	s_and_b32 s13, s12, 0x7fffffff
	s_cmp_lt_u32 s13, 0x43f00000
	s_cbranch_scc0 .LBB86_465
; %bb.463:
	s_cmp_gt_u32 s13, 0x3c7fffff
	s_cbranch_scc0 .LBB86_466
; %bb.464:
	s_bfe_u32 s6, s12, 0x10014
	s_add_i32 s6, s12, s6
	s_add_i32 s6, s6, 0x407ffff
	s_lshr_b32 s7, s6, 20
	s_and_b32 s6, s6, 0xff00000
	s_cmp_lg_u32 s6, 0x7f00000
	s_cselect_b32 s14, s7, 0x7e
	s_mov_b64 s[6:7], 0
	s_branch .LBB86_467
.LBB86_465:
	s_mov_b64 s[6:7], -1
                                        ; implicit-def: $vgpr3
	s_branch .LBB86_470
.LBB86_466:
	s_mov_b64 s[6:7], -1
                                        ; implicit-def: $sgpr14
.LBB86_467:
	s_andn2_b64 vcc, exec, s[6:7]
	v_mov_b32_e32 v3, s14
	s_cbranch_vccnz .LBB86_469
; %bb.468:
	v_mov_b32_e32 v3, 0x46800000
	v_add_f32_e64 v3, |s12|, v3
.LBB86_469:
	s_mov_b64 s[6:7], 0
.LBB86_470:
	s_andn2_b64 vcc, exec, s[6:7]
	s_cbranch_vccnz .LBB86_472
; %bb.471:
	s_cmp_gt_u32 s13, 0x7f800000
	s_movk_i32 s6, 0x7f
	s_cselect_b32 s6, s6, 0x7e
	v_mov_b32_e32 v3, s6
.LBB86_472:
	s_lshr_b32 s6, s12, 24
	s_and_b32 s6, s6, 0x80
	v_or_b32_e32 v3, s6, v3
	global_store_byte v[0:1], v3, off
.LBB86_473:
	s_mov_b64 s[6:7], 0
.LBB86_474:
	s_andn2_b64 vcc, exec, s[6:7]
	s_cbranch_vccnz .LBB86_486
; %bb.475:
	s_lshl_b32 s12, s11, 16
	s_and_b32 s13, s12, 0x7fffffff
	s_cmp_lt_u32 s13, 0x47800000
	s_cbranch_scc0 .LBB86_478
; %bb.476:
	s_cmp_gt_u32 s13, 0x387fffff
	s_cbranch_scc0 .LBB86_479
; %bb.477:
	s_bfe_u32 s6, s12, 0x10015
	s_add_i32 s6, s12, s6
	s_add_i32 s6, s6, 0x80fffff
	s_lshr_b32 s14, s6, 21
	s_mov_b64 s[6:7], 0
	s_branch .LBB86_480
.LBB86_478:
	s_mov_b64 s[6:7], -1
                                        ; implicit-def: $vgpr3
	s_branch .LBB86_483
.LBB86_479:
	s_mov_b64 s[6:7], -1
                                        ; implicit-def: $sgpr14
.LBB86_480:
	s_andn2_b64 vcc, exec, s[6:7]
	v_mov_b32_e32 v3, s14
	s_cbranch_vccnz .LBB86_482
; %bb.481:
	v_mov_b32_e32 v3, 0x43000000
	v_add_f32_e64 v3, |s12|, v3
.LBB86_482:
	s_mov_b64 s[6:7], 0
.LBB86_483:
	s_andn2_b64 vcc, exec, s[6:7]
	s_cbranch_vccnz .LBB86_485
; %bb.484:
	s_cmp_gt_u32 s13, 0x7f800000
	s_movk_i32 s6, 0x7f
	s_cselect_b32 s6, s6, 0x7c
	v_mov_b32_e32 v3, s6
.LBB86_485:
	s_lshr_b32 s6, s12, 24
	s_and_b32 s6, s6, 0x80
	v_or_b32_e32 v3, s6, v3
	global_store_byte v[0:1], v3, off
.LBB86_486:
	s_mov_b64 s[6:7], 0
	s_mov_b64 s[14:15], -1
.LBB86_487:
	s_andn2_b64 vcc, exec, s[6:7]
	s_mov_b64 s[12:13], 0
	s_cbranch_vccnz .LBB86_494
; %bb.488:
	v_mov_b32_e32 v3, 14
	v_cmp_gt_i16_sdwa s[12:13], s33, v3 src0_sel:BYTE_0 src1_sel:DWORD
	s_mov_b64 s[6:7], -1
	s_and_b64 vcc, exec, s[12:13]
	s_cbranch_vccz .LBB86_492
; %bb.489:
	v_mov_b32_e32 v3, 15
	v_cmp_eq_u16_sdwa s[6:7], s33, v3 src0_sel:BYTE_0 src1_sel:DWORD
	s_mov_b64 s[4:5], -1
	s_and_b64 vcc, exec, s[6:7]
	s_cbranch_vccz .LBB86_491
; %bb.490:
	v_mov_b32_e32 v3, s11
	global_store_short v[0:1], v3, off
	s_mov_b64 s[4:5], 0
	s_mov_b64 s[14:15], -1
.LBB86_491:
	s_mov_b64 s[6:7], 0
.LBB86_492:
	s_mov_b64 s[12:13], 0
	s_and_b64 vcc, exec, s[6:7]
	s_cbranch_vccz .LBB86_494
; %bb.493:
	v_mov_b32_e32 v3, 11
	v_cmp_ne_u16_sdwa s[4:5], s33, v3 src0_sel:BYTE_0 src1_sel:DWORD
	s_mov_b64 s[12:13], -1
.LBB86_494:
	s_and_b64 vcc, exec, s[4:5]
	s_mov_b64 s[6:7], s[0:1]
	s_cbranch_vccnz .LBB86_547
; %bb.495:
	s_andn2_b64 vcc, exec, s[12:13]
	s_cbranch_vccnz .LBB86_497
.LBB86_496:
	s_and_b32 s4, s11, 0x7fff7fff
	s_cmp_lg_u32 s4, 0
	s_cselect_b64 s[4:5], -1, 0
	v_cndmask_b32_e64 v3, 0, 1, s[4:5]
	s_mov_b64 s[14:15], -1
	global_store_byte v[0:1], v3, off
.LBB86_497:
	s_branch .LBB86_416
.LBB86_498:
	v_mov_b32_e32 v3, 5
	v_cmp_lt_i16_sdwa s[12:13], s33, v3 src0_sel:BYTE_0 src1_sel:DWORD
	s_mov_b64 s[4:5], -1
	s_and_b64 vcc, exec, s[12:13]
	s_cbranch_vccnz .LBB86_519
; %bb.499:
	v_mov_b32_e32 v3, 8
	v_cmp_lt_i16_sdwa s[12:13], s33, v3 src0_sel:BYTE_0 src1_sel:DWORD
	s_and_b64 vcc, exec, s[12:13]
	s_cbranch_vccnz .LBB86_509
; %bb.500:
	v_mov_b32_e32 v3, 9
	v_cmp_lt_i16_sdwa s[12:13], s33, v3 src0_sel:BYTE_0 src1_sel:DWORD
	s_and_b64 vcc, exec, s[12:13]
	s_cbranch_vccnz .LBB86_506
; %bb.501:
	v_cmp_gt_i16_sdwa s[12:13], s33, v3 src0_sel:BYTE_0 src1_sel:DWORD
	s_and_b64 vcc, exec, s[12:13]
	s_cbranch_vccz .LBB86_503
; %bb.502:
	s_and_b32 s4, s11, 0xffff0000
	s_lshl_b32 s5, s11, 16
	v_cvt_f64_f32_e32 v[4:5], s5
	v_cvt_f64_f32_e32 v[6:7], s4
	global_store_dwordx4 v[0:1], v[4:7], off
	s_mov_b64 s[4:5], 0
.LBB86_503:
	s_andn2_b64 vcc, exec, s[4:5]
	s_cbranch_vccnz .LBB86_505
; %bb.504:
	s_and_b32 s4, s11, 0xffff0000
	s_lshl_b32 s5, s11, 16
	v_mov_b32_e32 v4, s5
	v_mov_b32_e32 v5, s4
	global_store_dwordx2 v[0:1], v[4:5], off
.LBB86_505:
	s_mov_b64 s[4:5], 0
.LBB86_506:
	s_andn2_b64 vcc, exec, s[4:5]
	s_cbranch_vccnz .LBB86_508
; %bb.507:
	s_and_b32 s4, s11, 0xffff0000
	s_lshl_b32 s5, s11, 16
	v_cvt_f16_f32_e32 v3, s5
	v_cvt_f16_f32_sdwa v4, s4 dst_sel:WORD_1 dst_unused:UNUSED_PAD src0_sel:DWORD
	v_or_b32_e32 v3, v4, v3
	global_store_dword v[0:1], v3, off
.LBB86_508:
	s_mov_b64 s[4:5], 0
.LBB86_509:
	s_andn2_b64 vcc, exec, s[4:5]
	s_cbranch_vccnz .LBB86_518
; %bb.510:
	v_mov_b32_e32 v3, 6
	v_cmp_lt_i16_sdwa s[12:13], s33, v3 src0_sel:BYTE_0 src1_sel:DWORD
	s_mov_b64 s[4:5], -1
	s_and_b64 vcc, exec, s[12:13]
	s_cbranch_vccnz .LBB86_516
; %bb.511:
	v_cmp_gt_i16_sdwa s[12:13], s33, v3 src0_sel:BYTE_0 src1_sel:DWORD
	s_and_b64 vcc, exec, s[12:13]
	s_cbranch_vccz .LBB86_513
; %bb.512:
	s_lshl_b32 s4, s11, 16
	v_cvt_f64_f32_e32 v[4:5], s4
	global_store_dwordx2 v[0:1], v[4:5], off
	s_mov_b64 s[4:5], 0
.LBB86_513:
	s_andn2_b64 vcc, exec, s[4:5]
	s_cbranch_vccnz .LBB86_515
; %bb.514:
	s_lshl_b32 s4, s11, 16
	v_mov_b32_e32 v3, s4
	global_store_dword v[0:1], v3, off
.LBB86_515:
	s_mov_b64 s[4:5], 0
.LBB86_516:
	s_andn2_b64 vcc, exec, s[4:5]
	s_cbranch_vccnz .LBB86_518
; %bb.517:
	s_lshl_b32 s4, s11, 16
	v_cvt_f16_f32_e32 v3, s4
	global_store_short v[0:1], v3, off
.LBB86_518:
	s_mov_b64 s[4:5], 0
.LBB86_519:
	s_andn2_b64 vcc, exec, s[4:5]
	s_cbranch_vccnz .LBB86_535
; %bb.520:
	v_mov_b32_e32 v3, 2
	v_cmp_lt_i16_sdwa s[12:13], s33, v3 src0_sel:BYTE_0 src1_sel:DWORD
	s_mov_b64 s[4:5], -1
	s_and_b64 vcc, exec, s[12:13]
	s_cbranch_vccnz .LBB86_530
; %bb.521:
	v_mov_b32_e32 v3, 3
	v_cmp_lt_i16_sdwa s[12:13], s33, v3 src0_sel:BYTE_0 src1_sel:DWORD
	s_and_b64 vcc, exec, s[12:13]
	s_cbranch_vccnz .LBB86_527
; %bb.522:
	v_cmp_gt_i16_sdwa s[12:13], s33, v3 src0_sel:BYTE_0 src1_sel:DWORD
	s_and_b64 vcc, exec, s[12:13]
	s_cbranch_vccz .LBB86_524
; %bb.523:
	s_lshl_b32 s4, s11, 16
	v_trunc_f32_e32 v3, s4
	s_mov_b32 s4, 0x2f800000
	v_mul_f32_e64 v4, |v3|, s4
	v_floor_f32_e32 v4, v4
	s_mov_b32 s4, 0xcf800000
	v_fma_f32 v5, v4, s4, |v3|
	v_cvt_u32_f32_e32 v5, v5
	v_cvt_u32_f32_e32 v4, v4
	v_ashrrev_i32_e32 v3, 31, v3
	s_mov_b64 s[4:5], 0
	v_xor_b32_e32 v5, v5, v3
	v_xor_b32_e32 v6, v4, v3
	v_sub_co_u32_e32 v4, vcc, v5, v3
	v_subb_co_u32_e32 v5, vcc, v6, v3, vcc
	global_store_dwordx2 v[0:1], v[4:5], off
.LBB86_524:
	s_andn2_b64 vcc, exec, s[4:5]
	s_cbranch_vccnz .LBB86_526
; %bb.525:
	s_lshl_b32 s4, s11, 16
	v_cvt_i32_f32_e32 v3, s4
	global_store_dword v[0:1], v3, off
.LBB86_526:
	s_mov_b64 s[4:5], 0
.LBB86_527:
	s_andn2_b64 vcc, exec, s[4:5]
	s_cbranch_vccnz .LBB86_529
; %bb.528:
	s_lshl_b32 s4, s11, 16
	v_cvt_i32_f32_e32 v3, s4
	global_store_short v[0:1], v3, off
.LBB86_529:
	s_mov_b64 s[4:5], 0
.LBB86_530:
	s_andn2_b64 vcc, exec, s[4:5]
	s_cbranch_vccnz .LBB86_535
; %bb.531:
	v_mov_b32_e32 v3, 0
	v_cmp_gt_i16_sdwa s[12:13], s33, v3 src0_sel:BYTE_0 src1_sel:DWORD
	s_mov_b64 s[4:5], -1
	s_and_b64 vcc, exec, s[12:13]
	s_cbranch_vccz .LBB86_533
; %bb.532:
	s_lshl_b32 s4, s11, 16
	v_cvt_i32_f32_e32 v3, s4
	s_mov_b64 s[4:5], 0
	global_store_byte v[0:1], v3, off
.LBB86_533:
	s_andn2_b64 vcc, exec, s[4:5]
	s_cbranch_vccnz .LBB86_535
; %bb.534:
	s_lshl_b32 s4, s11, 16
	v_trunc_f32_e32 v3, s4
	s_mov_b32 s4, 0x2f800000
	v_mul_f32_e64 v4, |v3|, s4
	v_floor_f32_e32 v4, v4
	s_mov_b32 s4, 0xcf800000
	v_fma_f32 v4, v4, s4, |v3|
	v_cvt_u32_f32_e32 v4, v4
	v_ashrrev_i32_e32 v3, 31, v3
	v_xor_b32_e32 v4, v4, v3
	v_sub_u32_e32 v3, v4, v3
	global_store_byte v[0:1], v3, off
.LBB86_535:
.LBB86_536:
	s_lshl_b32 s10, s10, 7
	v_add_u32_e32 v2, s10, v2
	v_ashrrev_i32_e32 v1, 31, v2
	v_mov_b32_e32 v3, s9
	v_add_co_u32_e32 v0, vcc, s8, v2
	v_addc_co_u32_e32 v1, vcc, v3, v1, vcc
	v_mov_b32_e32 v3, 11
	v_cmp_lt_i16_sdwa s[4:5], s33, v3 src0_sel:BYTE_0 src1_sel:DWORD
	s_and_b64 vcc, exec, s[4:5]
	s_cbranch_vccnz .LBB86_543
; %bb.537:
	v_mov_b32_e32 v3, 25
	v_cmp_gt_i16_sdwa s[4:5], s33, v3 src0_sel:BYTE_0 src1_sel:DWORD
	s_mov_b64 s[16:17], -1
	s_mov_b64 s[12:13], 0
	s_and_b64 vcc, exec, s[4:5]
	s_mov_b64 s[14:15], 0
	s_mov_b64 s[4:5], 0
	s_cbranch_vccz .LBB86_578
; %bb.538:
	v_mov_b32_e32 v3, 28
	v_cmp_gt_i16_sdwa s[4:5], s33, v3 src0_sel:BYTE_0 src1_sel:DWORD
	s_and_b64 vcc, exec, s[4:5]
	s_cbranch_vccz .LBB86_545
; %bb.539:
	v_mov_b32_e32 v3, 43
	v_cmp_gt_i16_sdwa s[4:5], s33, v3 src0_sel:BYTE_0 src1_sel:DWORD
	s_and_b64 vcc, exec, s[4:5]
	;; [unrolled: 5-line block ×3, first 2 shown]
	s_cbranch_vccz .LBB86_548
; %bb.541:
	v_mov_b32_e32 v3, 46
	v_cmp_eq_u16_sdwa s[14:15], s33, v3 src0_sel:BYTE_0 src1_sel:DWORD
	s_mov_b64 s[4:5], -1
	s_mov_b64 s[16:17], 0
	s_and_b64 vcc, exec, s[14:15]
	s_mov_b64 s[14:15], 0
	s_cbranch_vccz .LBB86_549
; %bb.542:
	v_mov_b32_e32 v3, s11
	global_store_dword v[0:1], v3, off
	s_mov_b64 s[4:5], 0
	s_mov_b64 s[14:15], -1
	s_branch .LBB86_549
.LBB86_543:
	s_mov_b64 s[14:15], 0
	s_cbranch_execnz .LBB86_628
.LBB86_544:
	s_andn2_b64 vcc, exec, s[14:15]
	s_cbranch_vccz .LBB86_666
	s_branch .LBB86_840
.LBB86_545:
	s_mov_b64 s[4:5], 0
	s_branch .LBB86_559
.LBB86_546:
	s_mov_b64 s[4:5], 0
	s_branch .LBB86_555
.LBB86_547:
	s_or_b64 s[6:7], s[0:1], exec
	s_trap 2
	s_cbranch_execz .LBB86_496
	s_branch .LBB86_497
.LBB86_548:
	s_mov_b64 s[4:5], 0
.LBB86_549:
	s_and_b64 vcc, exec, s[16:17]
	s_cbranch_vccz .LBB86_554
; %bb.550:
	v_mov_b32_e32 v3, 44
	v_cmp_eq_u16_sdwa s[16:17], s33, v3 src0_sel:BYTE_0 src1_sel:DWORD
	s_mov_b64 s[4:5], -1
	s_and_b64 vcc, exec, s[16:17]
	s_cbranch_vccz .LBB86_554
; %bb.551:
	s_lshl_b32 s4, s11, 16
	s_bfe_u32 s5, s4, 0x80017
	s_cmpk_eq_i32 s5, 0xff
	v_mov_b32_e32 v3, 0xff
	s_cbranch_scc1 .LBB86_553
; %bb.552:
	s_bfe_u32 s16, s11, 0x90007
	s_bitcmp1_b32 s11, 6
	s_cselect_b64 s[14:15], -1, 0
	s_and_b32 s4, s4, 0x3f0000
	s_or_b32 s4, s5, s4
	s_cmp_lg_u32 s4, 0
	s_cselect_b64 s[4:5], -1, 0
	s_and_b64 s[4:5], s[14:15], s[4:5]
	v_cndmask_b32_e64 v3, 0, 1, s[4:5]
	v_add_u32_e32 v3, s16, v3
.LBB86_553:
	s_mov_b64 s[4:5], 0
	s_mov_b64 s[14:15], -1
	global_store_byte v[0:1], v3, off
.LBB86_554:
	s_mov_b64 s[16:17], 0
.LBB86_555:
	s_and_b64 vcc, exec, s[16:17]
	s_cbranch_vccz .LBB86_558
; %bb.556:
	v_mov_b32_e32 v3, 29
	v_cmp_eq_u16_sdwa s[16:17], s33, v3 src0_sel:BYTE_0 src1_sel:DWORD
	s_mov_b64 s[4:5], -1
	s_and_b64 vcc, exec, s[16:17]
	s_cbranch_vccz .LBB86_558
; %bb.557:
	s_lshl_b32 s4, s11, 16
	v_trunc_f32_e32 v3, s4
	v_mul_f32_e32 v4, 0x2f800000, v3
	v_floor_f32_e32 v4, v4
	v_fmac_f32_e32 v3, 0xcf800000, v4
	v_cvt_u32_f32_e32 v5, v4
	v_cvt_u32_f32_e32 v4, v3
	s_mov_b64 s[4:5], 0
	s_mov_b64 s[14:15], -1
	s_mov_b64 s[16:17], 0
	global_store_dwordx2 v[0:1], v[4:5], off
	s_branch .LBB86_559
.LBB86_558:
	s_mov_b64 s[16:17], 0
.LBB86_559:
	s_and_b64 vcc, exec, s[16:17]
	s_cbranch_vccz .LBB86_577
; %bb.560:
	v_mov_b32_e32 v3, 27
	v_cmp_lt_i16_sdwa s[16:17], s33, v3 src0_sel:BYTE_0 src1_sel:DWORD
	s_mov_b64 s[14:15], -1
	s_and_b64 vcc, exec, s[16:17]
	s_cbranch_vccnz .LBB86_566
; %bb.561:
	v_cmp_gt_i16_sdwa s[16:17], s33, v3 src0_sel:BYTE_0 src1_sel:DWORD
	s_and_b64 vcc, exec, s[16:17]
	s_cbranch_vccz .LBB86_563
; %bb.562:
	s_lshl_b32 s14, s11, 16
	v_cvt_u32_f32_e32 v3, s14
	s_mov_b64 s[14:15], 0
	global_store_dword v[0:1], v3, off
.LBB86_563:
	s_andn2_b64 vcc, exec, s[14:15]
	s_cbranch_vccnz .LBB86_565
; %bb.564:
	s_lshl_b32 s14, s11, 16
	v_cvt_u32_f32_e32 v3, s14
	global_store_short v[0:1], v3, off
.LBB86_565:
	s_mov_b64 s[14:15], 0
.LBB86_566:
	s_andn2_b64 vcc, exec, s[14:15]
	s_cbranch_vccnz .LBB86_576
; %bb.567:
	s_lshl_b32 s18, s11, 16
	s_and_b32 s14, s18, 0x7fffffff
	s_cmp_gt_u32 s14, 0x437fffff
	v_mov_b32_e32 v4, 0x80
	s_cbranch_scc1 .LBB86_575
; %bb.568:
	s_cmp_gt_u32 s14, 0x3bffffff
	s_cbranch_scc0 .LBB86_570
; %bb.569:
	s_bfe_u32 s14, s18, 0x10014
	s_add_i32 s14, s18, s14
	s_add_i32 s14, s14, 0x487ffff
	s_lshr_b32 s19, s14, 20
	s_mov_b64 s[16:17], 0
	s_mov_b64 s[14:15], -1
	s_branch .LBB86_571
.LBB86_570:
	s_mov_b64 s[16:17], -1
	s_mov_b64 s[14:15], 0
                                        ; implicit-def: $sgpr19
.LBB86_571:
	s_andn2_b64 vcc, exec, s[16:17]
	v_mov_b32_e32 v3, s19
                                        ; implicit-def: $sgpr16
	s_cbranch_vccnz .LBB86_573
; %bb.572:
	v_mov_b32_e32 v3, 0x46000000
	v_add_f32_e64 v3, |s18|, v3
	v_and_b32_e32 v3, 0xff, v3
	s_mov_b32 s16, 0
	v_cmp_ne_u32_e64 s[14:15], 0, v3
.LBB86_573:
	s_andn2_b64 vcc, exec, s[14:15]
	v_mov_b32_e32 v4, s16
	s_cbranch_vccnz .LBB86_575
; %bb.574:
	s_lshr_b32 s14, s18, 24
	s_and_b32 s14, s14, 0x80
	v_or_b32_e32 v4, s14, v3
.LBB86_575:
	global_store_byte v[0:1], v4, off
.LBB86_576:
	s_mov_b64 s[14:15], -1
.LBB86_577:
	s_mov_b64 s[16:17], 0
.LBB86_578:
	s_and_b64 vcc, exec, s[16:17]
	s_cbranch_vccz .LBB86_624
; %bb.579:
	v_mov_b32_e32 v3, 22
	v_cmp_gt_i16_sdwa s[16:17], s33, v3 src0_sel:BYTE_0 src1_sel:DWORD
	s_mov_b64 s[12:13], -1
	s_and_b64 vcc, exec, s[16:17]
	s_cbranch_vccz .LBB86_617
; %bb.580:
	v_mov_b32_e32 v3, 24
	v_cmp_lt_i16_sdwa s[14:15], s33, v3 src0_sel:BYTE_0 src1_sel:DWORD
	s_and_b64 vcc, exec, s[14:15]
	s_cbranch_vccnz .LBB86_604
; %bb.581:
	v_cmp_gt_i16_sdwa s[14:15], s33, v3 src0_sel:BYTE_0 src1_sel:DWORD
	s_and_b64 vcc, exec, s[14:15]
	s_cbranch_vccz .LBB86_591
; %bb.582:
	s_lshl_b32 s16, s11, 16
	s_and_b32 s12, s16, 0x7fffffff
	s_cmp_gt_u32 s12, 0x477fffff
	v_mov_b32_e32 v4, 0x80
	s_cbranch_scc1 .LBB86_590
; %bb.583:
	s_cmp_gt_u32 s12, 0x37ffffff
	s_cbranch_scc0 .LBB86_585
; %bb.584:
	s_bfe_u32 s12, s16, 0x10015
	s_add_i32 s12, s16, s12
	s_add_i32 s12, s12, 0x88fffff
	s_lshr_b32 s17, s12, 21
	s_mov_b64 s[14:15], 0
	s_mov_b64 s[12:13], -1
	s_branch .LBB86_586
.LBB86_585:
	s_mov_b64 s[14:15], -1
	s_mov_b64 s[12:13], 0
                                        ; implicit-def: $sgpr17
.LBB86_586:
	s_andn2_b64 vcc, exec, s[14:15]
	v_mov_b32_e32 v3, s17
                                        ; implicit-def: $sgpr14
	s_cbranch_vccnz .LBB86_588
; %bb.587:
	v_mov_b32_e32 v3, 0x42800000
	v_add_f32_e64 v3, |s16|, v3
	v_and_b32_e32 v3, 0xff, v3
	s_mov_b32 s14, 0
	v_cmp_ne_u32_e64 s[12:13], 0, v3
.LBB86_588:
	s_andn2_b64 vcc, exec, s[12:13]
	v_mov_b32_e32 v4, s14
	s_cbranch_vccnz .LBB86_590
; %bb.589:
	s_lshr_b32 s12, s16, 24
	s_and_b32 s12, s12, 0x80
	v_or_b32_e32 v4, s12, v3
.LBB86_590:
	s_mov_b64 s[12:13], 0
	global_store_byte v[0:1], v4, off
.LBB86_591:
	s_and_b64 vcc, exec, s[12:13]
	s_cbranch_vccz .LBB86_603
; %bb.592:
	s_lshl_b32 s14, s11, 16
	s_and_b32 s15, s14, 0x7fffffff
	s_cmp_lt_u32 s15, 0x43f00000
	s_cbranch_scc0 .LBB86_595
; %bb.593:
	s_cmp_gt_u32 s15, 0x3c7fffff
	s_cbranch_scc0 .LBB86_596
; %bb.594:
	s_bfe_u32 s12, s14, 0x10014
	s_add_i32 s12, s14, s12
	s_add_i32 s12, s12, 0x407ffff
	s_lshr_b32 s13, s12, 20
	s_and_b32 s12, s12, 0xff00000
	s_cmp_lg_u32 s12, 0x7f00000
	s_cselect_b32 s16, s13, 0x7e
	s_mov_b64 s[12:13], 0
	s_branch .LBB86_597
.LBB86_595:
	s_mov_b64 s[12:13], -1
                                        ; implicit-def: $vgpr3
	s_branch .LBB86_600
.LBB86_596:
	s_mov_b64 s[12:13], -1
                                        ; implicit-def: $sgpr16
.LBB86_597:
	s_andn2_b64 vcc, exec, s[12:13]
	v_mov_b32_e32 v3, s16
	s_cbranch_vccnz .LBB86_599
; %bb.598:
	v_mov_b32_e32 v3, 0x46800000
	v_add_f32_e64 v3, |s14|, v3
.LBB86_599:
	s_mov_b64 s[12:13], 0
.LBB86_600:
	s_andn2_b64 vcc, exec, s[12:13]
	s_cbranch_vccnz .LBB86_602
; %bb.601:
	s_cmp_gt_u32 s15, 0x7f800000
	s_movk_i32 s12, 0x7f
	s_cselect_b32 s12, s12, 0x7e
	v_mov_b32_e32 v3, s12
.LBB86_602:
	s_lshr_b32 s12, s14, 24
	s_and_b32 s12, s12, 0x80
	v_or_b32_e32 v3, s12, v3
	global_store_byte v[0:1], v3, off
.LBB86_603:
	s_mov_b64 s[12:13], 0
.LBB86_604:
	s_andn2_b64 vcc, exec, s[12:13]
	s_cbranch_vccnz .LBB86_616
; %bb.605:
	s_lshl_b32 s14, s11, 16
	s_and_b32 s15, s14, 0x7fffffff
	s_cmp_lt_u32 s15, 0x47800000
	s_cbranch_scc0 .LBB86_608
; %bb.606:
	s_cmp_gt_u32 s15, 0x387fffff
	s_cbranch_scc0 .LBB86_609
; %bb.607:
	s_bfe_u32 s12, s14, 0x10015
	s_add_i32 s12, s14, s12
	s_add_i32 s12, s12, 0x80fffff
	s_lshr_b32 s16, s12, 21
	s_mov_b64 s[12:13], 0
	s_branch .LBB86_610
.LBB86_608:
	s_mov_b64 s[12:13], -1
                                        ; implicit-def: $vgpr3
	s_branch .LBB86_613
.LBB86_609:
	s_mov_b64 s[12:13], -1
                                        ; implicit-def: $sgpr16
.LBB86_610:
	s_andn2_b64 vcc, exec, s[12:13]
	v_mov_b32_e32 v3, s16
	s_cbranch_vccnz .LBB86_612
; %bb.611:
	v_mov_b32_e32 v3, 0x43000000
	v_add_f32_e64 v3, |s14|, v3
.LBB86_612:
	s_mov_b64 s[12:13], 0
.LBB86_613:
	s_andn2_b64 vcc, exec, s[12:13]
	s_cbranch_vccnz .LBB86_615
; %bb.614:
	s_cmp_gt_u32 s15, 0x7f800000
	s_movk_i32 s12, 0x7f
	s_cselect_b32 s12, s12, 0x7c
	v_mov_b32_e32 v3, s12
.LBB86_615:
	s_lshr_b32 s12, s14, 24
	s_and_b32 s12, s12, 0x80
	v_or_b32_e32 v3, s12, v3
	global_store_byte v[0:1], v3, off
.LBB86_616:
	s_mov_b64 s[12:13], 0
	s_mov_b64 s[14:15], -1
.LBB86_617:
	s_andn2_b64 vcc, exec, s[12:13]
	s_mov_b64 s[12:13], 0
	s_cbranch_vccnz .LBB86_624
; %bb.618:
	v_mov_b32_e32 v3, 14
	v_cmp_gt_i16_sdwa s[12:13], s33, v3 src0_sel:BYTE_0 src1_sel:DWORD
	s_mov_b64 s[16:17], -1
	s_and_b64 vcc, exec, s[12:13]
	s_cbranch_vccz .LBB86_622
; %bb.619:
	v_mov_b32_e32 v3, 15
	v_cmp_eq_u16_sdwa s[12:13], s33, v3 src0_sel:BYTE_0 src1_sel:DWORD
	s_mov_b64 s[4:5], -1
	s_and_b64 vcc, exec, s[12:13]
	s_cbranch_vccz .LBB86_621
; %bb.620:
	v_mov_b32_e32 v3, s11
	global_store_short v[0:1], v3, off
	s_mov_b64 s[4:5], 0
	s_mov_b64 s[14:15], -1
.LBB86_621:
	s_mov_b64 s[16:17], 0
.LBB86_622:
	s_mov_b64 s[12:13], 0
	s_and_b64 vcc, exec, s[16:17]
	s_cbranch_vccz .LBB86_624
; %bb.623:
	v_mov_b32_e32 v3, 11
	v_cmp_ne_u16_sdwa s[4:5], s33, v3 src0_sel:BYTE_0 src1_sel:DWORD
	s_mov_b64 s[12:13], -1
.LBB86_624:
	s_and_b64 vcc, exec, s[4:5]
	s_cbranch_vccnz .LBB86_707
; %bb.625:
	s_andn2_b64 vcc, exec, s[12:13]
	s_cbranch_vccnz .LBB86_627
.LBB86_626:
	s_and_b32 s4, s11, 0x7fff7fff
	s_cmp_lg_u32 s4, 0
	s_cselect_b64 s[4:5], -1, 0
	v_cndmask_b32_e64 v3, 0, 1, s[4:5]
	s_mov_b64 s[14:15], -1
	global_store_byte v[0:1], v3, off
.LBB86_627:
	s_branch .LBB86_544
.LBB86_628:
	v_mov_b32_e32 v3, 5
	v_cmp_lt_i16_sdwa s[12:13], s33, v3 src0_sel:BYTE_0 src1_sel:DWORD
	s_mov_b64 s[4:5], -1
	s_and_b64 vcc, exec, s[12:13]
	s_cbranch_vccnz .LBB86_649
; %bb.629:
	v_mov_b32_e32 v3, 8
	v_cmp_lt_i16_sdwa s[12:13], s33, v3 src0_sel:BYTE_0 src1_sel:DWORD
	s_and_b64 vcc, exec, s[12:13]
	s_cbranch_vccnz .LBB86_639
; %bb.630:
	v_mov_b32_e32 v3, 9
	v_cmp_lt_i16_sdwa s[12:13], s33, v3 src0_sel:BYTE_0 src1_sel:DWORD
	s_and_b64 vcc, exec, s[12:13]
	s_cbranch_vccnz .LBB86_636
; %bb.631:
	v_cmp_gt_i16_sdwa s[12:13], s33, v3 src0_sel:BYTE_0 src1_sel:DWORD
	s_and_b64 vcc, exec, s[12:13]
	s_cbranch_vccz .LBB86_633
; %bb.632:
	s_and_b32 s4, s11, 0xffff0000
	s_lshl_b32 s5, s11, 16
	v_cvt_f64_f32_e32 v[4:5], s5
	v_cvt_f64_f32_e32 v[6:7], s4
	global_store_dwordx4 v[0:1], v[4:7], off
	s_mov_b64 s[4:5], 0
.LBB86_633:
	s_andn2_b64 vcc, exec, s[4:5]
	s_cbranch_vccnz .LBB86_635
; %bb.634:
	s_and_b32 s4, s11, 0xffff0000
	s_lshl_b32 s5, s11, 16
	v_mov_b32_e32 v4, s5
	v_mov_b32_e32 v5, s4
	global_store_dwordx2 v[0:1], v[4:5], off
.LBB86_635:
	s_mov_b64 s[4:5], 0
.LBB86_636:
	s_andn2_b64 vcc, exec, s[4:5]
	s_cbranch_vccnz .LBB86_638
; %bb.637:
	s_and_b32 s4, s11, 0xffff0000
	s_lshl_b32 s5, s11, 16
	v_cvt_f16_f32_e32 v3, s5
	v_cvt_f16_f32_sdwa v4, s4 dst_sel:WORD_1 dst_unused:UNUSED_PAD src0_sel:DWORD
	v_or_b32_e32 v3, v4, v3
	global_store_dword v[0:1], v3, off
.LBB86_638:
	s_mov_b64 s[4:5], 0
.LBB86_639:
	s_andn2_b64 vcc, exec, s[4:5]
	s_cbranch_vccnz .LBB86_648
; %bb.640:
	v_mov_b32_e32 v3, 6
	v_cmp_lt_i16_sdwa s[12:13], s33, v3 src0_sel:BYTE_0 src1_sel:DWORD
	s_mov_b64 s[4:5], -1
	s_and_b64 vcc, exec, s[12:13]
	s_cbranch_vccnz .LBB86_646
; %bb.641:
	v_cmp_gt_i16_sdwa s[12:13], s33, v3 src0_sel:BYTE_0 src1_sel:DWORD
	s_and_b64 vcc, exec, s[12:13]
	s_cbranch_vccz .LBB86_643
; %bb.642:
	s_lshl_b32 s4, s11, 16
	v_cvt_f64_f32_e32 v[4:5], s4
	global_store_dwordx2 v[0:1], v[4:5], off
	s_mov_b64 s[4:5], 0
.LBB86_643:
	s_andn2_b64 vcc, exec, s[4:5]
	s_cbranch_vccnz .LBB86_645
; %bb.644:
	s_lshl_b32 s4, s11, 16
	v_mov_b32_e32 v3, s4
	global_store_dword v[0:1], v3, off
.LBB86_645:
	s_mov_b64 s[4:5], 0
.LBB86_646:
	s_andn2_b64 vcc, exec, s[4:5]
	s_cbranch_vccnz .LBB86_648
; %bb.647:
	s_lshl_b32 s4, s11, 16
	v_cvt_f16_f32_e32 v3, s4
	global_store_short v[0:1], v3, off
.LBB86_648:
	s_mov_b64 s[4:5], 0
.LBB86_649:
	s_andn2_b64 vcc, exec, s[4:5]
	s_cbranch_vccnz .LBB86_665
; %bb.650:
	v_mov_b32_e32 v3, 2
	v_cmp_lt_i16_sdwa s[12:13], s33, v3 src0_sel:BYTE_0 src1_sel:DWORD
	s_mov_b64 s[4:5], -1
	s_and_b64 vcc, exec, s[12:13]
	s_cbranch_vccnz .LBB86_660
; %bb.651:
	v_mov_b32_e32 v3, 3
	v_cmp_lt_i16_sdwa s[12:13], s33, v3 src0_sel:BYTE_0 src1_sel:DWORD
	s_and_b64 vcc, exec, s[12:13]
	s_cbranch_vccnz .LBB86_657
; %bb.652:
	v_cmp_gt_i16_sdwa s[12:13], s33, v3 src0_sel:BYTE_0 src1_sel:DWORD
	s_and_b64 vcc, exec, s[12:13]
	s_cbranch_vccz .LBB86_654
; %bb.653:
	s_lshl_b32 s4, s11, 16
	v_trunc_f32_e32 v3, s4
	s_mov_b32 s4, 0x2f800000
	v_mul_f32_e64 v4, |v3|, s4
	v_floor_f32_e32 v4, v4
	s_mov_b32 s4, 0xcf800000
	v_fma_f32 v5, v4, s4, |v3|
	v_cvt_u32_f32_e32 v5, v5
	v_cvt_u32_f32_e32 v4, v4
	v_ashrrev_i32_e32 v3, 31, v3
	s_mov_b64 s[4:5], 0
	v_xor_b32_e32 v5, v5, v3
	v_xor_b32_e32 v6, v4, v3
	v_sub_co_u32_e32 v4, vcc, v5, v3
	v_subb_co_u32_e32 v5, vcc, v6, v3, vcc
	global_store_dwordx2 v[0:1], v[4:5], off
.LBB86_654:
	s_andn2_b64 vcc, exec, s[4:5]
	s_cbranch_vccnz .LBB86_656
; %bb.655:
	s_lshl_b32 s4, s11, 16
	v_cvt_i32_f32_e32 v3, s4
	global_store_dword v[0:1], v3, off
.LBB86_656:
	s_mov_b64 s[4:5], 0
.LBB86_657:
	s_andn2_b64 vcc, exec, s[4:5]
	s_cbranch_vccnz .LBB86_659
; %bb.658:
	s_lshl_b32 s4, s11, 16
	v_cvt_i32_f32_e32 v3, s4
	global_store_short v[0:1], v3, off
.LBB86_659:
	s_mov_b64 s[4:5], 0
.LBB86_660:
	s_andn2_b64 vcc, exec, s[4:5]
	s_cbranch_vccnz .LBB86_665
; %bb.661:
	v_mov_b32_e32 v3, 0
	v_cmp_gt_i16_sdwa s[12:13], s33, v3 src0_sel:BYTE_0 src1_sel:DWORD
	s_mov_b64 s[4:5], -1
	s_and_b64 vcc, exec, s[12:13]
	s_cbranch_vccz .LBB86_663
; %bb.662:
	s_lshl_b32 s4, s11, 16
	v_cvt_i32_f32_e32 v3, s4
	s_mov_b64 s[4:5], 0
	global_store_byte v[0:1], v3, off
.LBB86_663:
	s_andn2_b64 vcc, exec, s[4:5]
	s_cbranch_vccnz .LBB86_665
; %bb.664:
	s_lshl_b32 s4, s11, 16
	v_trunc_f32_e32 v3, s4
	s_mov_b32 s4, 0x2f800000
	v_mul_f32_e64 v4, |v3|, s4
	v_floor_f32_e32 v4, v4
	s_mov_b32 s4, 0xcf800000
	v_fma_f32 v4, v4, s4, |v3|
	v_cvt_u32_f32_e32 v4, v4
	v_ashrrev_i32_e32 v3, 31, v3
	v_xor_b32_e32 v4, v4, v3
	v_sub_u32_e32 v3, v4, v3
	global_store_byte v[0:1], v3, off
.LBB86_665:
.LBB86_666:
	v_add_u32_e32 v2, s10, v2
	v_ashrrev_i32_e32 v1, 31, v2
	v_mov_b32_e32 v3, s9
	v_add_co_u32_e32 v0, vcc, s8, v2
	v_addc_co_u32_e32 v1, vcc, v3, v1, vcc
	v_mov_b32_e32 v3, 11
	v_cmp_lt_i16_sdwa s[4:5], s33, v3 src0_sel:BYTE_0 src1_sel:DWORD
	s_and_b64 vcc, exec, s[4:5]
	s_cbranch_vccnz .LBB86_673
; %bb.667:
	v_mov_b32_e32 v3, 25
	v_cmp_gt_i16_sdwa s[4:5], s33, v3 src0_sel:BYTE_0 src1_sel:DWORD
	s_mov_b64 s[16:17], -1
	s_mov_b64 s[12:13], 0
	s_and_b64 vcc, exec, s[4:5]
	s_mov_b64 s[14:15], 0
	s_mov_b64 s[4:5], 0
	s_cbranch_vccz .LBB86_738
; %bb.668:
	v_mov_b32_e32 v3, 28
	v_cmp_gt_i16_sdwa s[4:5], s33, v3 src0_sel:BYTE_0 src1_sel:DWORD
	s_and_b64 vcc, exec, s[4:5]
	s_cbranch_vccz .LBB86_705
; %bb.669:
	v_mov_b32_e32 v3, 43
	v_cmp_gt_i16_sdwa s[4:5], s33, v3 src0_sel:BYTE_0 src1_sel:DWORD
	s_and_b64 vcc, exec, s[4:5]
	;; [unrolled: 5-line block ×3, first 2 shown]
	s_cbranch_vccz .LBB86_708
; %bb.671:
	v_mov_b32_e32 v3, 46
	v_cmp_eq_u16_sdwa s[14:15], s33, v3 src0_sel:BYTE_0 src1_sel:DWORD
	s_mov_b64 s[4:5], -1
	s_mov_b64 s[16:17], 0
	s_and_b64 vcc, exec, s[14:15]
	s_mov_b64 s[14:15], 0
	s_cbranch_vccz .LBB86_709
; %bb.672:
	v_mov_b32_e32 v3, s11
	global_store_dword v[0:1], v3, off
	s_mov_b64 s[4:5], 0
	s_mov_b64 s[14:15], -1
	s_branch .LBB86_709
.LBB86_673:
	s_mov_b64 s[14:15], 0
	s_cbranch_execnz .LBB86_802
.LBB86_674:
	s_andn2_b64 vcc, exec, s[14:15]
	s_cbranch_vccnz .LBB86_840
.LBB86_675:
	v_add_u32_e32 v0, s10, v2
	v_ashrrev_i32_e32 v1, 31, v0
	v_mov_b32_e32 v2, s9
	v_add_co_u32_e32 v0, vcc, s8, v0
	v_addc_co_u32_e32 v1, vcc, v2, v1, vcc
	v_mov_b32_e32 v2, 0xff
	v_and_b32_e32 v2, s33, v2
	v_cmp_gt_i16_e32 vcc, 11, v2
	s_cbranch_vccnz .LBB86_704
; %bb.676:
	v_cmp_lt_i16_e32 vcc, 25, v2
	s_mov_b64 s[12:13], -1
	s_mov_b64 s[8:9], 0
	s_mov_b64 s[4:5], 0
	s_cbranch_vccz .LBB86_752
; %bb.677:
	v_cmp_lt_i16_e32 vcc, 28, v2
	s_cbranch_vccz .LBB86_693
; %bb.678:
	v_cmp_lt_i16_e32 vcc, 43, v2
	;; [unrolled: 3-line block ×3, first 2 shown]
	s_cbranch_vccz .LBB86_683
; %bb.680:
	v_cmp_eq_u16_e32 vcc, 46, v2
	s_mov_b64 s[4:5], -1
	s_cbranch_vccz .LBB86_682
; %bb.681:
	v_mov_b32_e32 v3, s11
	global_store_dword v[0:1], v3, off
	s_mov_b64 s[4:5], 0
.LBB86_682:
	s_mov_b64 s[12:13], 0
.LBB86_683:
	s_and_b64 vcc, exec, s[12:13]
	s_cbranch_vccz .LBB86_688
; %bb.684:
	v_cmp_eq_u16_e32 vcc, 44, v2
	s_mov_b64 s[4:5], -1
	s_cbranch_vccz .LBB86_688
; %bb.685:
	s_lshl_b32 s4, s11, 16
	s_bfe_u32 s5, s4, 0x80017
	s_cmpk_eq_i32 s5, 0xff
	v_mov_b32_e32 v3, 0xff
	s_cbranch_scc1 .LBB86_687
; %bb.686:
	s_bfe_u32 s10, s11, 0x90007
	s_bitcmp1_b32 s11, 6
	s_cselect_b64 s[12:13], -1, 0
	s_and_b32 s4, s4, 0x3f0000
	s_or_b32 s4, s5, s4
	s_cmp_lg_u32 s4, 0
	s_cselect_b64 s[4:5], -1, 0
	s_and_b64 s[4:5], s[12:13], s[4:5]
	v_cndmask_b32_e64 v3, 0, 1, s[4:5]
	v_add_u32_e32 v3, s10, v3
.LBB86_687:
	s_mov_b64 s[4:5], 0
	global_store_byte v[0:1], v3, off
.LBB86_688:
	s_mov_b64 s[12:13], 0
.LBB86_689:
	s_and_b64 vcc, exec, s[12:13]
	s_cbranch_vccz .LBB86_692
; %bb.690:
	v_cmp_eq_u16_e32 vcc, 29, v2
	s_mov_b64 s[4:5], -1
	s_cbranch_vccz .LBB86_692
; %bb.691:
	s_lshl_b32 s4, s11, 16
	v_trunc_f32_e32 v3, s4
	v_mul_f32_e32 v4, 0x2f800000, v3
	v_floor_f32_e32 v4, v4
	v_fmac_f32_e32 v3, 0xcf800000, v4
	v_cvt_u32_f32_e32 v5, v4
	v_cvt_u32_f32_e32 v4, v3
	s_mov_b64 s[4:5], 0
	global_store_dwordx2 v[0:1], v[4:5], off
.LBB86_692:
	s_mov_b64 s[12:13], 0
.LBB86_693:
	s_and_b64 vcc, exec, s[12:13]
	s_cbranch_vccz .LBB86_751
; %bb.694:
	v_cmp_gt_i16_e32 vcc, 27, v2
	s_mov_b64 s[12:13], -1
	s_cbranch_vccnz .LBB86_700
; %bb.695:
	v_cmp_lt_i16_e32 vcc, 27, v2
	s_cbranch_vccz .LBB86_697
; %bb.696:
	s_lshl_b32 s10, s11, 16
	v_cvt_u32_f32_e32 v3, s10
	s_mov_b64 s[12:13], 0
	global_store_dword v[0:1], v3, off
.LBB86_697:
	s_andn2_b64 vcc, exec, s[12:13]
	s_cbranch_vccnz .LBB86_699
; %bb.698:
	s_lshl_b32 s10, s11, 16
	v_cvt_u32_f32_e32 v3, s10
	global_store_short v[0:1], v3, off
.LBB86_699:
	s_mov_b64 s[12:13], 0
.LBB86_700:
	s_andn2_b64 vcc, exec, s[12:13]
	s_cbranch_vccnz .LBB86_751
; %bb.701:
	s_lshl_b32 s10, s11, 16
	s_and_b32 s12, s10, 0x7fffffff
	s_cmp_gt_u32 s12, 0x437fffff
	v_mov_b32_e32 v4, 0x80
	s_cbranch_scc1 .LBB86_750
; %bb.702:
	s_cmp_gt_u32 s12, 0x3bffffff
	s_cbranch_scc0 .LBB86_745
; %bb.703:
	s_bfe_u32 s12, s10, 0x10014
	s_add_i32 s12, s10, s12
	s_add_i32 s12, s12, 0x487ffff
	s_lshr_b32 s16, s12, 20
	s_mov_b64 s[14:15], 0
	s_mov_b64 s[12:13], -1
	s_branch .LBB86_746
.LBB86_704:
	s_mov_b64 s[8:9], 0
	s_mov_b64 s[4:5], -1
	s_branch .LBB86_841
.LBB86_705:
	s_mov_b64 s[4:5], 0
	s_branch .LBB86_719
.LBB86_706:
	s_mov_b64 s[4:5], 0
	s_branch .LBB86_715
.LBB86_707:
	s_trap 2
	s_or_b64 s[6:7], s[6:7], exec
	s_cbranch_execz .LBB86_626
	s_branch .LBB86_627
.LBB86_708:
	s_mov_b64 s[4:5], 0
.LBB86_709:
	s_and_b64 vcc, exec, s[16:17]
	s_cbranch_vccz .LBB86_714
; %bb.710:
	v_mov_b32_e32 v3, 44
	v_cmp_eq_u16_sdwa s[16:17], s33, v3 src0_sel:BYTE_0 src1_sel:DWORD
	s_mov_b64 s[4:5], -1
	s_and_b64 vcc, exec, s[16:17]
	s_cbranch_vccz .LBB86_714
; %bb.711:
	s_lshl_b32 s4, s11, 16
	s_bfe_u32 s5, s4, 0x80017
	s_cmpk_eq_i32 s5, 0xff
	v_mov_b32_e32 v3, 0xff
	s_cbranch_scc1 .LBB86_713
; %bb.712:
	s_bfe_u32 s16, s11, 0x90007
	s_bitcmp1_b32 s11, 6
	s_cselect_b64 s[14:15], -1, 0
	s_and_b32 s4, s4, 0x3f0000
	s_or_b32 s4, s5, s4
	s_cmp_lg_u32 s4, 0
	s_cselect_b64 s[4:5], -1, 0
	s_and_b64 s[4:5], s[14:15], s[4:5]
	v_cndmask_b32_e64 v3, 0, 1, s[4:5]
	v_add_u32_e32 v3, s16, v3
.LBB86_713:
	s_mov_b64 s[4:5], 0
	s_mov_b64 s[14:15], -1
	global_store_byte v[0:1], v3, off
.LBB86_714:
	s_mov_b64 s[16:17], 0
.LBB86_715:
	s_and_b64 vcc, exec, s[16:17]
	s_cbranch_vccz .LBB86_718
; %bb.716:
	v_mov_b32_e32 v3, 29
	v_cmp_eq_u16_sdwa s[16:17], s33, v3 src0_sel:BYTE_0 src1_sel:DWORD
	s_mov_b64 s[4:5], -1
	s_and_b64 vcc, exec, s[16:17]
	s_cbranch_vccz .LBB86_718
; %bb.717:
	s_lshl_b32 s4, s11, 16
	v_trunc_f32_e32 v3, s4
	v_mul_f32_e32 v4, 0x2f800000, v3
	v_floor_f32_e32 v4, v4
	v_fmac_f32_e32 v3, 0xcf800000, v4
	v_cvt_u32_f32_e32 v5, v4
	v_cvt_u32_f32_e32 v4, v3
	s_mov_b64 s[4:5], 0
	s_mov_b64 s[14:15], -1
	s_mov_b64 s[16:17], 0
	global_store_dwordx2 v[0:1], v[4:5], off
	s_branch .LBB86_719
.LBB86_718:
	s_mov_b64 s[16:17], 0
.LBB86_719:
	s_and_b64 vcc, exec, s[16:17]
	s_cbranch_vccz .LBB86_737
; %bb.720:
	v_mov_b32_e32 v3, 27
	v_cmp_lt_i16_sdwa s[16:17], s33, v3 src0_sel:BYTE_0 src1_sel:DWORD
	s_mov_b64 s[14:15], -1
	s_and_b64 vcc, exec, s[16:17]
	s_cbranch_vccnz .LBB86_726
; %bb.721:
	v_cmp_gt_i16_sdwa s[16:17], s33, v3 src0_sel:BYTE_0 src1_sel:DWORD
	s_and_b64 vcc, exec, s[16:17]
	s_cbranch_vccz .LBB86_723
; %bb.722:
	s_lshl_b32 s14, s11, 16
	v_cvt_u32_f32_e32 v3, s14
	s_mov_b64 s[14:15], 0
	global_store_dword v[0:1], v3, off
.LBB86_723:
	s_andn2_b64 vcc, exec, s[14:15]
	s_cbranch_vccnz .LBB86_725
; %bb.724:
	s_lshl_b32 s14, s11, 16
	v_cvt_u32_f32_e32 v3, s14
	global_store_short v[0:1], v3, off
.LBB86_725:
	s_mov_b64 s[14:15], 0
.LBB86_726:
	s_andn2_b64 vcc, exec, s[14:15]
	s_cbranch_vccnz .LBB86_736
; %bb.727:
	s_lshl_b32 s18, s11, 16
	s_and_b32 s14, s18, 0x7fffffff
	s_cmp_gt_u32 s14, 0x437fffff
	v_mov_b32_e32 v4, 0x80
	s_cbranch_scc1 .LBB86_735
; %bb.728:
	s_cmp_gt_u32 s14, 0x3bffffff
	s_cbranch_scc0 .LBB86_730
; %bb.729:
	s_bfe_u32 s14, s18, 0x10014
	s_add_i32 s14, s18, s14
	s_add_i32 s14, s14, 0x487ffff
	s_lshr_b32 s19, s14, 20
	s_mov_b64 s[16:17], 0
	s_mov_b64 s[14:15], -1
	s_branch .LBB86_731
.LBB86_730:
	s_mov_b64 s[16:17], -1
	s_mov_b64 s[14:15], 0
                                        ; implicit-def: $sgpr19
.LBB86_731:
	s_andn2_b64 vcc, exec, s[16:17]
	v_mov_b32_e32 v3, s19
                                        ; implicit-def: $sgpr16
	s_cbranch_vccnz .LBB86_733
; %bb.732:
	v_mov_b32_e32 v3, 0x46000000
	v_add_f32_e64 v3, |s18|, v3
	v_and_b32_e32 v3, 0xff, v3
	s_mov_b32 s16, 0
	v_cmp_ne_u32_e64 s[14:15], 0, v3
.LBB86_733:
	s_andn2_b64 vcc, exec, s[14:15]
	v_mov_b32_e32 v4, s16
	s_cbranch_vccnz .LBB86_735
; %bb.734:
	s_lshr_b32 s14, s18, 24
	s_and_b32 s14, s14, 0x80
	v_or_b32_e32 v4, s14, v3
.LBB86_735:
	global_store_byte v[0:1], v4, off
.LBB86_736:
	s_mov_b64 s[14:15], -1
.LBB86_737:
	s_mov_b64 s[16:17], 0
.LBB86_738:
	s_and_b64 vcc, exec, s[16:17]
	s_cbranch_vccz .LBB86_798
; %bb.739:
	v_mov_b32_e32 v3, 22
	v_cmp_gt_i16_sdwa s[16:17], s33, v3 src0_sel:BYTE_0 src1_sel:DWORD
	s_mov_b64 s[12:13], -1
	s_and_b64 vcc, exec, s[16:17]
	s_cbranch_vccz .LBB86_791
; %bb.740:
	v_mov_b32_e32 v3, 24
	v_cmp_lt_i16_sdwa s[14:15], s33, v3 src0_sel:BYTE_0 src1_sel:DWORD
	s_and_b64 vcc, exec, s[14:15]
	s_cbranch_vccnz .LBB86_778
; %bb.741:
	v_cmp_gt_i16_sdwa s[14:15], s33, v3 src0_sel:BYTE_0 src1_sel:DWORD
	s_and_b64 vcc, exec, s[14:15]
	s_cbranch_vccz .LBB86_765
; %bb.742:
	s_lshl_b32 s16, s11, 16
	s_and_b32 s12, s16, 0x7fffffff
	s_cmp_gt_u32 s12, 0x477fffff
	v_mov_b32_e32 v4, 0x80
	s_cbranch_scc1 .LBB86_764
; %bb.743:
	s_cmp_gt_u32 s12, 0x37ffffff
	s_cbranch_scc0 .LBB86_759
; %bb.744:
	s_bfe_u32 s12, s16, 0x10015
	s_add_i32 s12, s16, s12
	s_add_i32 s12, s12, 0x88fffff
	s_lshr_b32 s17, s12, 21
	s_mov_b64 s[14:15], 0
	s_mov_b64 s[12:13], -1
	s_branch .LBB86_760
.LBB86_745:
	s_mov_b64 s[14:15], -1
	s_mov_b64 s[12:13], 0
                                        ; implicit-def: $sgpr16
.LBB86_746:
	s_andn2_b64 vcc, exec, s[14:15]
	v_mov_b32_e32 v3, s16
                                        ; implicit-def: $sgpr14
	s_cbranch_vccnz .LBB86_748
; %bb.747:
	v_mov_b32_e32 v3, 0x46000000
	v_add_f32_e64 v3, |s10|, v3
	v_and_b32_e32 v3, 0xff, v3
	s_mov_b32 s14, 0
	v_cmp_ne_u32_e64 s[12:13], 0, v3
.LBB86_748:
	s_andn2_b64 vcc, exec, s[12:13]
	v_mov_b32_e32 v4, s14
	s_cbranch_vccnz .LBB86_750
; %bb.749:
	s_lshr_b32 s10, s10, 24
	s_and_b32 s10, s10, 0x80
	v_or_b32_e32 v4, s10, v3
.LBB86_750:
	global_store_byte v[0:1], v4, off
.LBB86_751:
	s_mov_b64 s[12:13], 0
.LBB86_752:
	s_and_b64 vcc, exec, s[12:13]
	s_cbranch_vccz .LBB86_922
; %bb.753:
	v_cmp_lt_i16_e32 vcc, 22, v2
	s_mov_b64 s[8:9], -1
	s_cbranch_vccz .LBB86_915
; %bb.754:
	v_cmp_gt_i16_e32 vcc, 24, v2
	s_cbranch_vccnz .LBB86_902
; %bb.755:
	v_cmp_lt_i16_e32 vcc, 24, v2
	s_cbranch_vccz .LBB86_889
; %bb.756:
	s_lshl_b32 s10, s11, 16
	s_and_b32 s8, s10, 0x7fffffff
	s_cmp_gt_u32 s8, 0x477fffff
	v_mov_b32_e32 v4, 0x80
	s_cbranch_scc1 .LBB86_888
; %bb.757:
	s_cmp_gt_u32 s8, 0x37ffffff
	s_cbranch_scc0 .LBB86_883
; %bb.758:
	s_bfe_u32 s8, s10, 0x10015
	s_add_i32 s8, s10, s8
	s_add_i32 s8, s8, 0x88fffff
	s_lshr_b32 s14, s8, 21
	s_mov_b64 s[12:13], 0
	s_mov_b64 s[8:9], -1
	s_branch .LBB86_884
.LBB86_759:
	s_mov_b64 s[14:15], -1
	s_mov_b64 s[12:13], 0
                                        ; implicit-def: $sgpr17
.LBB86_760:
	s_andn2_b64 vcc, exec, s[14:15]
	v_mov_b32_e32 v3, s17
                                        ; implicit-def: $sgpr14
	s_cbranch_vccnz .LBB86_762
; %bb.761:
	v_mov_b32_e32 v3, 0x42800000
	v_add_f32_e64 v3, |s16|, v3
	v_and_b32_e32 v3, 0xff, v3
	s_mov_b32 s14, 0
	v_cmp_ne_u32_e64 s[12:13], 0, v3
.LBB86_762:
	s_andn2_b64 vcc, exec, s[12:13]
	v_mov_b32_e32 v4, s14
	s_cbranch_vccnz .LBB86_764
; %bb.763:
	s_lshr_b32 s12, s16, 24
	s_and_b32 s12, s12, 0x80
	v_or_b32_e32 v4, s12, v3
.LBB86_764:
	s_mov_b64 s[12:13], 0
	global_store_byte v[0:1], v4, off
.LBB86_765:
	s_and_b64 vcc, exec, s[12:13]
	s_cbranch_vccz .LBB86_777
; %bb.766:
	s_lshl_b32 s14, s11, 16
	s_and_b32 s15, s14, 0x7fffffff
	s_cmp_lt_u32 s15, 0x43f00000
	s_cbranch_scc0 .LBB86_769
; %bb.767:
	s_cmp_gt_u32 s15, 0x3c7fffff
	s_cbranch_scc0 .LBB86_770
; %bb.768:
	s_bfe_u32 s12, s14, 0x10014
	s_add_i32 s12, s14, s12
	s_add_i32 s12, s12, 0x407ffff
	s_lshr_b32 s13, s12, 20
	s_and_b32 s12, s12, 0xff00000
	s_cmp_lg_u32 s12, 0x7f00000
	s_cselect_b32 s16, s13, 0x7e
	s_mov_b64 s[12:13], 0
	s_branch .LBB86_771
.LBB86_769:
	s_mov_b64 s[12:13], -1
                                        ; implicit-def: $vgpr3
	s_branch .LBB86_774
.LBB86_770:
	s_mov_b64 s[12:13], -1
                                        ; implicit-def: $sgpr16
.LBB86_771:
	s_andn2_b64 vcc, exec, s[12:13]
	v_mov_b32_e32 v3, s16
	s_cbranch_vccnz .LBB86_773
; %bb.772:
	v_mov_b32_e32 v3, 0x46800000
	v_add_f32_e64 v3, |s14|, v3
.LBB86_773:
	s_mov_b64 s[12:13], 0
.LBB86_774:
	s_andn2_b64 vcc, exec, s[12:13]
	s_cbranch_vccnz .LBB86_776
; %bb.775:
	s_cmp_gt_u32 s15, 0x7f800000
	s_movk_i32 s12, 0x7f
	s_cselect_b32 s12, s12, 0x7e
	v_mov_b32_e32 v3, s12
.LBB86_776:
	s_lshr_b32 s12, s14, 24
	s_and_b32 s12, s12, 0x80
	v_or_b32_e32 v3, s12, v3
	global_store_byte v[0:1], v3, off
.LBB86_777:
	s_mov_b64 s[12:13], 0
.LBB86_778:
	s_andn2_b64 vcc, exec, s[12:13]
	s_cbranch_vccnz .LBB86_790
; %bb.779:
	s_lshl_b32 s14, s11, 16
	s_and_b32 s15, s14, 0x7fffffff
	s_cmp_lt_u32 s15, 0x47800000
	s_cbranch_scc0 .LBB86_782
; %bb.780:
	s_cmp_gt_u32 s15, 0x387fffff
	s_cbranch_scc0 .LBB86_783
; %bb.781:
	s_bfe_u32 s12, s14, 0x10015
	s_add_i32 s12, s14, s12
	s_add_i32 s12, s12, 0x80fffff
	s_lshr_b32 s16, s12, 21
	s_mov_b64 s[12:13], 0
	s_branch .LBB86_784
.LBB86_782:
	s_mov_b64 s[12:13], -1
                                        ; implicit-def: $vgpr3
	s_branch .LBB86_787
.LBB86_783:
	s_mov_b64 s[12:13], -1
                                        ; implicit-def: $sgpr16
.LBB86_784:
	s_andn2_b64 vcc, exec, s[12:13]
	v_mov_b32_e32 v3, s16
	s_cbranch_vccnz .LBB86_786
; %bb.785:
	v_mov_b32_e32 v3, 0x43000000
	v_add_f32_e64 v3, |s14|, v3
.LBB86_786:
	s_mov_b64 s[12:13], 0
.LBB86_787:
	s_andn2_b64 vcc, exec, s[12:13]
	s_cbranch_vccnz .LBB86_789
; %bb.788:
	s_cmp_gt_u32 s15, 0x7f800000
	s_movk_i32 s12, 0x7f
	s_cselect_b32 s12, s12, 0x7c
	v_mov_b32_e32 v3, s12
.LBB86_789:
	s_lshr_b32 s12, s14, 24
	s_and_b32 s12, s12, 0x80
	v_or_b32_e32 v3, s12, v3
	global_store_byte v[0:1], v3, off
.LBB86_790:
	s_mov_b64 s[12:13], 0
	s_mov_b64 s[14:15], -1
.LBB86_791:
	s_andn2_b64 vcc, exec, s[12:13]
	s_mov_b64 s[12:13], 0
	s_cbranch_vccnz .LBB86_798
; %bb.792:
	v_mov_b32_e32 v3, 14
	v_cmp_gt_i16_sdwa s[12:13], s33, v3 src0_sel:BYTE_0 src1_sel:DWORD
	s_mov_b64 s[16:17], -1
	s_and_b64 vcc, exec, s[12:13]
	s_cbranch_vccz .LBB86_796
; %bb.793:
	v_mov_b32_e32 v3, 15
	v_cmp_eq_u16_sdwa s[12:13], s33, v3 src0_sel:BYTE_0 src1_sel:DWORD
	s_mov_b64 s[4:5], -1
	s_and_b64 vcc, exec, s[12:13]
	s_cbranch_vccz .LBB86_795
; %bb.794:
	v_mov_b32_e32 v3, s11
	global_store_short v[0:1], v3, off
	s_mov_b64 s[4:5], 0
	s_mov_b64 s[14:15], -1
.LBB86_795:
	s_mov_b64 s[16:17], 0
.LBB86_796:
	s_mov_b64 s[12:13], 0
	s_and_b64 vcc, exec, s[16:17]
	s_cbranch_vccz .LBB86_798
; %bb.797:
	v_mov_b32_e32 v3, 11
	v_cmp_ne_u16_sdwa s[4:5], s33, v3 src0_sel:BYTE_0 src1_sel:DWORD
	s_mov_b64 s[12:13], -1
.LBB86_798:
	s_and_b64 vcc, exec, s[4:5]
	s_cbranch_vccnz .LBB86_882
; %bb.799:
	s_andn2_b64 vcc, exec, s[12:13]
	s_cbranch_vccnz .LBB86_801
.LBB86_800:
	s_and_b32 s4, s11, 0x7fff7fff
	s_cmp_lg_u32 s4, 0
	s_cselect_b64 s[4:5], -1, 0
	v_cndmask_b32_e64 v3, 0, 1, s[4:5]
	s_mov_b64 s[14:15], -1
	global_store_byte v[0:1], v3, off
.LBB86_801:
	s_branch .LBB86_674
.LBB86_802:
	v_mov_b32_e32 v3, 5
	v_cmp_lt_i16_sdwa s[12:13], s33, v3 src0_sel:BYTE_0 src1_sel:DWORD
	s_mov_b64 s[4:5], -1
	s_and_b64 vcc, exec, s[12:13]
	s_cbranch_vccnz .LBB86_823
; %bb.803:
	v_mov_b32_e32 v3, 8
	v_cmp_lt_i16_sdwa s[12:13], s33, v3 src0_sel:BYTE_0 src1_sel:DWORD
	s_and_b64 vcc, exec, s[12:13]
	s_cbranch_vccnz .LBB86_813
; %bb.804:
	v_mov_b32_e32 v3, 9
	v_cmp_lt_i16_sdwa s[12:13], s33, v3 src0_sel:BYTE_0 src1_sel:DWORD
	s_and_b64 vcc, exec, s[12:13]
	s_cbranch_vccnz .LBB86_810
; %bb.805:
	v_cmp_gt_i16_sdwa s[12:13], s33, v3 src0_sel:BYTE_0 src1_sel:DWORD
	s_and_b64 vcc, exec, s[12:13]
	s_cbranch_vccz .LBB86_807
; %bb.806:
	s_and_b32 s4, s11, 0xffff0000
	s_lshl_b32 s5, s11, 16
	v_cvt_f64_f32_e32 v[4:5], s5
	v_cvt_f64_f32_e32 v[6:7], s4
	global_store_dwordx4 v[0:1], v[4:7], off
	s_mov_b64 s[4:5], 0
.LBB86_807:
	s_andn2_b64 vcc, exec, s[4:5]
	s_cbranch_vccnz .LBB86_809
; %bb.808:
	s_and_b32 s4, s11, 0xffff0000
	s_lshl_b32 s5, s11, 16
	v_mov_b32_e32 v4, s5
	v_mov_b32_e32 v5, s4
	global_store_dwordx2 v[0:1], v[4:5], off
.LBB86_809:
	s_mov_b64 s[4:5], 0
.LBB86_810:
	s_andn2_b64 vcc, exec, s[4:5]
	s_cbranch_vccnz .LBB86_812
; %bb.811:
	s_and_b32 s4, s11, 0xffff0000
	s_lshl_b32 s5, s11, 16
	v_cvt_f16_f32_e32 v3, s5
	v_cvt_f16_f32_sdwa v4, s4 dst_sel:WORD_1 dst_unused:UNUSED_PAD src0_sel:DWORD
	v_or_b32_e32 v3, v4, v3
	global_store_dword v[0:1], v3, off
.LBB86_812:
	s_mov_b64 s[4:5], 0
.LBB86_813:
	s_andn2_b64 vcc, exec, s[4:5]
	s_cbranch_vccnz .LBB86_822
; %bb.814:
	v_mov_b32_e32 v3, 6
	v_cmp_lt_i16_sdwa s[12:13], s33, v3 src0_sel:BYTE_0 src1_sel:DWORD
	s_mov_b64 s[4:5], -1
	s_and_b64 vcc, exec, s[12:13]
	s_cbranch_vccnz .LBB86_820
; %bb.815:
	v_cmp_gt_i16_sdwa s[12:13], s33, v3 src0_sel:BYTE_0 src1_sel:DWORD
	s_and_b64 vcc, exec, s[12:13]
	s_cbranch_vccz .LBB86_817
; %bb.816:
	s_lshl_b32 s4, s11, 16
	v_cvt_f64_f32_e32 v[4:5], s4
	global_store_dwordx2 v[0:1], v[4:5], off
	s_mov_b64 s[4:5], 0
.LBB86_817:
	s_andn2_b64 vcc, exec, s[4:5]
	s_cbranch_vccnz .LBB86_819
; %bb.818:
	s_lshl_b32 s4, s11, 16
	v_mov_b32_e32 v3, s4
	global_store_dword v[0:1], v3, off
.LBB86_819:
	s_mov_b64 s[4:5], 0
.LBB86_820:
	s_andn2_b64 vcc, exec, s[4:5]
	s_cbranch_vccnz .LBB86_822
; %bb.821:
	s_lshl_b32 s4, s11, 16
	v_cvt_f16_f32_e32 v3, s4
	global_store_short v[0:1], v3, off
.LBB86_822:
	s_mov_b64 s[4:5], 0
.LBB86_823:
	s_andn2_b64 vcc, exec, s[4:5]
	s_cbranch_vccnz .LBB86_839
; %bb.824:
	v_mov_b32_e32 v3, 2
	v_cmp_lt_i16_sdwa s[12:13], s33, v3 src0_sel:BYTE_0 src1_sel:DWORD
	s_mov_b64 s[4:5], -1
	s_and_b64 vcc, exec, s[12:13]
	s_cbranch_vccnz .LBB86_834
; %bb.825:
	v_mov_b32_e32 v3, 3
	v_cmp_lt_i16_sdwa s[12:13], s33, v3 src0_sel:BYTE_0 src1_sel:DWORD
	s_and_b64 vcc, exec, s[12:13]
	s_cbranch_vccnz .LBB86_831
; %bb.826:
	v_cmp_gt_i16_sdwa s[12:13], s33, v3 src0_sel:BYTE_0 src1_sel:DWORD
	s_and_b64 vcc, exec, s[12:13]
	s_cbranch_vccz .LBB86_828
; %bb.827:
	s_lshl_b32 s4, s11, 16
	v_trunc_f32_e32 v3, s4
	s_mov_b32 s4, 0x2f800000
	v_mul_f32_e64 v4, |v3|, s4
	v_floor_f32_e32 v4, v4
	s_mov_b32 s4, 0xcf800000
	v_fma_f32 v5, v4, s4, |v3|
	v_cvt_u32_f32_e32 v5, v5
	v_cvt_u32_f32_e32 v4, v4
	v_ashrrev_i32_e32 v3, 31, v3
	s_mov_b64 s[4:5], 0
	v_xor_b32_e32 v5, v5, v3
	v_xor_b32_e32 v6, v4, v3
	v_sub_co_u32_e32 v4, vcc, v5, v3
	v_subb_co_u32_e32 v5, vcc, v6, v3, vcc
	global_store_dwordx2 v[0:1], v[4:5], off
.LBB86_828:
	s_andn2_b64 vcc, exec, s[4:5]
	s_cbranch_vccnz .LBB86_830
; %bb.829:
	s_lshl_b32 s4, s11, 16
	v_cvt_i32_f32_e32 v3, s4
	global_store_dword v[0:1], v3, off
.LBB86_830:
	s_mov_b64 s[4:5], 0
.LBB86_831:
	s_andn2_b64 vcc, exec, s[4:5]
	s_cbranch_vccnz .LBB86_833
; %bb.832:
	s_lshl_b32 s4, s11, 16
	v_cvt_i32_f32_e32 v3, s4
	global_store_short v[0:1], v3, off
.LBB86_833:
	s_mov_b64 s[4:5], 0
.LBB86_834:
	s_andn2_b64 vcc, exec, s[4:5]
	s_cbranch_vccnz .LBB86_839
; %bb.835:
	v_mov_b32_e32 v3, 0
	v_cmp_gt_i16_sdwa s[12:13], s33, v3 src0_sel:BYTE_0 src1_sel:DWORD
	s_mov_b64 s[4:5], -1
	s_and_b64 vcc, exec, s[12:13]
	s_cbranch_vccz .LBB86_837
; %bb.836:
	s_lshl_b32 s4, s11, 16
	v_cvt_i32_f32_e32 v3, s4
	s_mov_b64 s[4:5], 0
	global_store_byte v[0:1], v3, off
.LBB86_837:
	s_andn2_b64 vcc, exec, s[4:5]
	s_cbranch_vccnz .LBB86_839
; %bb.838:
	s_lshl_b32 s4, s11, 16
	v_trunc_f32_e32 v3, s4
	s_mov_b32 s4, 0x2f800000
	v_mul_f32_e64 v4, |v3|, s4
	v_floor_f32_e32 v4, v4
	s_mov_b32 s4, 0xcf800000
	v_fma_f32 v4, v4, s4, |v3|
	v_cvt_u32_f32_e32 v4, v4
	v_ashrrev_i32_e32 v3, 31, v3
	v_xor_b32_e32 v4, v4, v3
	v_sub_u32_e32 v3, v4, v3
	global_store_byte v[0:1], v3, off
.LBB86_839:
	s_branch .LBB86_675
.LBB86_840:
	s_mov_b64 s[4:5], 0
	s_mov_b64 s[8:9], 0
                                        ; implicit-def: $vgpr2
                                        ; implicit-def: $vgpr0_vgpr1
.LBB86_841:
	s_andn2_b64 s[0:1], s[0:1], exec
	s_and_b64 s[6:7], s[6:7], exec
	s_and_b64 s[12:13], s[4:5], exec
	;; [unrolled: 1-line block ×3, first 2 shown]
	s_or_b64 s[0:1], s[0:1], s[6:7]
	s_or_b64 exec, exec, s[2:3]
	s_and_saveexec_b64 s[2:3], s[0:1]
	s_cbranch_execnz .LBB86_413
.LBB86_842:
	s_or_b64 exec, exec, s[2:3]
	s_and_saveexec_b64 s[0:1], s[4:5]
	s_xor_b64 s[0:1], exec, s[0:1]
	s_cbranch_execz .LBB86_414
.LBB86_843:
	s_and_b32 s2, s11, 0x7fff7fff
	s_cmp_lg_u32 s2, 0
	s_cselect_b64 s[2:3], -1, 0
	v_cndmask_b32_e64 v3, 0, 1, s[2:3]
	global_store_byte v[0:1], v3, off
	s_or_b64 exec, exec, s[0:1]
	s_and_saveexec_b64 s[0:1], s[12:13]
	s_cbranch_execz .LBB86_881
.LBB86_844:
	v_cmp_gt_i16_e32 vcc, 5, v2
	s_mov_b64 s[0:1], -1
	s_cbranch_vccnz .LBB86_865
; %bb.845:
	v_cmp_gt_i16_e32 vcc, 8, v2
	s_cbranch_vccnz .LBB86_855
; %bb.846:
	v_cmp_gt_i16_e32 vcc, 9, v2
	s_cbranch_vccnz .LBB86_852
; %bb.847:
	v_cmp_lt_i16_e32 vcc, 9, v2
	s_cbranch_vccz .LBB86_849
; %bb.848:
	s_and_b32 s0, s11, 0xffff0000
	s_lshl_b32 s1, s11, 16
	v_cvt_f64_f32_e32 v[4:5], s1
	v_cvt_f64_f32_e32 v[6:7], s0
	global_store_dwordx4 v[0:1], v[4:7], off
	s_mov_b64 s[0:1], 0
.LBB86_849:
	s_andn2_b64 vcc, exec, s[0:1]
	s_cbranch_vccnz .LBB86_851
; %bb.850:
	s_and_b32 s0, s11, 0xffff0000
	s_lshl_b32 s1, s11, 16
	v_mov_b32_e32 v4, s1
	v_mov_b32_e32 v5, s0
	global_store_dwordx2 v[0:1], v[4:5], off
.LBB86_851:
	s_mov_b64 s[0:1], 0
.LBB86_852:
	s_andn2_b64 vcc, exec, s[0:1]
	s_cbranch_vccnz .LBB86_854
; %bb.853:
	s_and_b32 s0, s11, 0xffff0000
	s_lshl_b32 s1, s11, 16
	v_cvt_f16_f32_e32 v3, s1
	v_cvt_f16_f32_sdwa v4, s0 dst_sel:WORD_1 dst_unused:UNUSED_PAD src0_sel:DWORD
	v_or_b32_e32 v3, v4, v3
	global_store_dword v[0:1], v3, off
.LBB86_854:
	s_mov_b64 s[0:1], 0
.LBB86_855:
	s_andn2_b64 vcc, exec, s[0:1]
	s_cbranch_vccnz .LBB86_864
; %bb.856:
	v_cmp_gt_i16_e32 vcc, 6, v2
	s_mov_b64 s[0:1], -1
	s_cbranch_vccnz .LBB86_862
; %bb.857:
	v_cmp_lt_i16_e32 vcc, 6, v2
	s_cbranch_vccz .LBB86_859
; %bb.858:
	s_lshl_b32 s0, s11, 16
	v_cvt_f64_f32_e32 v[4:5], s0
	global_store_dwordx2 v[0:1], v[4:5], off
	s_mov_b64 s[0:1], 0
.LBB86_859:
	s_andn2_b64 vcc, exec, s[0:1]
	s_cbranch_vccnz .LBB86_861
; %bb.860:
	s_lshl_b32 s0, s11, 16
	v_mov_b32_e32 v3, s0
	global_store_dword v[0:1], v3, off
.LBB86_861:
	s_mov_b64 s[0:1], 0
.LBB86_862:
	s_andn2_b64 vcc, exec, s[0:1]
	s_cbranch_vccnz .LBB86_864
; %bb.863:
	s_lshl_b32 s0, s11, 16
	v_cvt_f16_f32_e32 v3, s0
	global_store_short v[0:1], v3, off
.LBB86_864:
	s_mov_b64 s[0:1], 0
.LBB86_865:
	s_andn2_b64 vcc, exec, s[0:1]
	s_cbranch_vccnz .LBB86_881
; %bb.866:
	v_cmp_gt_i16_e32 vcc, 2, v2
	s_mov_b64 s[0:1], -1
	s_cbranch_vccnz .LBB86_876
; %bb.867:
	v_cmp_gt_i16_e32 vcc, 3, v2
	s_cbranch_vccnz .LBB86_873
; %bb.868:
	v_cmp_lt_i16_e32 vcc, 3, v2
	s_cbranch_vccz .LBB86_870
; %bb.869:
	s_lshl_b32 s0, s11, 16
	v_trunc_f32_e32 v3, s0
	s_mov_b32 s0, 0x2f800000
	v_mul_f32_e64 v4, |v3|, s0
	v_floor_f32_e32 v4, v4
	s_mov_b32 s0, 0xcf800000
	v_fma_f32 v5, v4, s0, |v3|
	v_cvt_u32_f32_e32 v5, v5
	v_cvt_u32_f32_e32 v4, v4
	v_ashrrev_i32_e32 v3, 31, v3
	s_mov_b64 s[0:1], 0
	v_xor_b32_e32 v5, v5, v3
	v_xor_b32_e32 v6, v4, v3
	v_sub_co_u32_e32 v4, vcc, v5, v3
	v_subb_co_u32_e32 v5, vcc, v6, v3, vcc
	global_store_dwordx2 v[0:1], v[4:5], off
.LBB86_870:
	s_andn2_b64 vcc, exec, s[0:1]
	s_cbranch_vccnz .LBB86_872
; %bb.871:
	s_lshl_b32 s0, s11, 16
	v_cvt_i32_f32_e32 v3, s0
	global_store_dword v[0:1], v3, off
.LBB86_872:
	s_mov_b64 s[0:1], 0
.LBB86_873:
	s_andn2_b64 vcc, exec, s[0:1]
	s_cbranch_vccnz .LBB86_875
; %bb.874:
	s_lshl_b32 s0, s11, 16
	v_cvt_i32_f32_e32 v3, s0
	global_store_short v[0:1], v3, off
.LBB86_875:
	s_mov_b64 s[0:1], 0
.LBB86_876:
	s_andn2_b64 vcc, exec, s[0:1]
	s_cbranch_vccnz .LBB86_881
; %bb.877:
	v_cmp_lt_i16_e32 vcc, 0, v2
	s_mov_b64 s[0:1], -1
	s_cbranch_vccz .LBB86_879
; %bb.878:
	s_lshl_b32 s0, s11, 16
	v_cvt_i32_f32_e32 v2, s0
	s_mov_b64 s[0:1], 0
	global_store_byte v[0:1], v2, off
.LBB86_879:
	s_andn2_b64 vcc, exec, s[0:1]
	s_cbranch_vccnz .LBB86_881
; %bb.880:
	s_lshl_b32 s0, s11, 16
	v_trunc_f32_e32 v2, s0
	s_mov_b32 s0, 0x2f800000
	v_mul_f32_e64 v3, |v2|, s0
	v_floor_f32_e32 v3, v3
	s_mov_b32 s0, 0xcf800000
	v_fma_f32 v3, v3, s0, |v2|
	v_cvt_u32_f32_e32 v3, v3
	v_ashrrev_i32_e32 v2, 31, v2
	v_xor_b32_e32 v3, v3, v2
	v_sub_u32_e32 v2, v3, v2
	global_store_byte v[0:1], v2, off
	s_endpgm
.LBB86_881:
	s_endpgm
.LBB86_882:
	s_trap 2
	s_or_b64 s[6:7], s[6:7], exec
	s_cbranch_execz .LBB86_800
	s_branch .LBB86_801
.LBB86_883:
	s_mov_b64 s[12:13], -1
	s_mov_b64 s[8:9], 0
                                        ; implicit-def: $sgpr14
.LBB86_884:
	s_andn2_b64 vcc, exec, s[12:13]
	v_mov_b32_e32 v3, s14
                                        ; implicit-def: $sgpr12
	s_cbranch_vccnz .LBB86_886
; %bb.885:
	v_mov_b32_e32 v3, 0x42800000
	v_add_f32_e64 v3, |s10|, v3
	v_and_b32_e32 v3, 0xff, v3
	s_mov_b32 s12, 0
	v_cmp_ne_u32_e64 s[8:9], 0, v3
.LBB86_886:
	s_andn2_b64 vcc, exec, s[8:9]
	v_mov_b32_e32 v4, s12
	s_cbranch_vccnz .LBB86_888
; %bb.887:
	s_lshr_b32 s8, s10, 24
	s_and_b32 s8, s8, 0x80
	v_or_b32_e32 v4, s8, v3
.LBB86_888:
	s_mov_b64 s[8:9], 0
	global_store_byte v[0:1], v4, off
.LBB86_889:
	s_and_b64 vcc, exec, s[8:9]
	s_cbranch_vccz .LBB86_901
; %bb.890:
	s_lshl_b32 s10, s11, 16
	s_and_b32 s12, s10, 0x7fffffff
	s_cmp_lt_u32 s12, 0x43f00000
	s_cbranch_scc0 .LBB86_893
; %bb.891:
	s_cmp_gt_u32 s12, 0x3c7fffff
	s_cbranch_scc0 .LBB86_894
; %bb.892:
	s_bfe_u32 s8, s10, 0x10014
	s_add_i32 s8, s10, s8
	s_add_i32 s8, s8, 0x407ffff
	s_lshr_b32 s9, s8, 20
	s_and_b32 s8, s8, 0xff00000
	s_cmp_lg_u32 s8, 0x7f00000
	s_cselect_b32 s13, s9, 0x7e
	s_mov_b64 s[8:9], 0
	s_branch .LBB86_895
.LBB86_893:
	s_mov_b64 s[8:9], -1
                                        ; implicit-def: $vgpr3
	s_branch .LBB86_898
.LBB86_894:
	s_mov_b64 s[8:9], -1
                                        ; implicit-def: $sgpr13
.LBB86_895:
	s_andn2_b64 vcc, exec, s[8:9]
	v_mov_b32_e32 v3, s13
	s_cbranch_vccnz .LBB86_897
; %bb.896:
	v_mov_b32_e32 v3, 0x46800000
	v_add_f32_e64 v3, |s10|, v3
.LBB86_897:
	s_mov_b64 s[8:9], 0
.LBB86_898:
	s_andn2_b64 vcc, exec, s[8:9]
	s_cbranch_vccnz .LBB86_900
; %bb.899:
	s_cmp_gt_u32 s12, 0x7f800000
	s_movk_i32 s8, 0x7f
	s_cselect_b32 s8, s8, 0x7e
	v_mov_b32_e32 v3, s8
.LBB86_900:
	s_lshr_b32 s8, s10, 24
	s_and_b32 s8, s8, 0x80
	v_or_b32_e32 v3, s8, v3
	global_store_byte v[0:1], v3, off
.LBB86_901:
	s_mov_b64 s[8:9], 0
.LBB86_902:
	s_andn2_b64 vcc, exec, s[8:9]
	s_cbranch_vccnz .LBB86_914
; %bb.903:
	s_lshl_b32 s10, s11, 16
	s_and_b32 s12, s10, 0x7fffffff
	s_cmp_lt_u32 s12, 0x47800000
	s_cbranch_scc0 .LBB86_906
; %bb.904:
	s_cmp_gt_u32 s12, 0x387fffff
	s_cbranch_scc0 .LBB86_907
; %bb.905:
	s_bfe_u32 s8, s10, 0x10015
	s_add_i32 s8, s10, s8
	s_add_i32 s8, s8, 0x80fffff
	s_lshr_b32 s13, s8, 21
	s_mov_b64 s[8:9], 0
	s_branch .LBB86_908
.LBB86_906:
	s_mov_b64 s[8:9], -1
                                        ; implicit-def: $vgpr3
	s_branch .LBB86_911
.LBB86_907:
	s_mov_b64 s[8:9], -1
                                        ; implicit-def: $sgpr13
.LBB86_908:
	s_andn2_b64 vcc, exec, s[8:9]
	v_mov_b32_e32 v3, s13
	s_cbranch_vccnz .LBB86_910
; %bb.909:
	v_mov_b32_e32 v3, 0x43000000
	v_add_f32_e64 v3, |s10|, v3
.LBB86_910:
	s_mov_b64 s[8:9], 0
.LBB86_911:
	s_andn2_b64 vcc, exec, s[8:9]
	s_cbranch_vccnz .LBB86_913
; %bb.912:
	s_cmp_gt_u32 s12, 0x7f800000
	s_movk_i32 s8, 0x7f
	s_cselect_b32 s8, s8, 0x7c
	v_mov_b32_e32 v3, s8
.LBB86_913:
	s_lshr_b32 s8, s10, 24
	s_and_b32 s8, s8, 0x80
	v_or_b32_e32 v3, s8, v3
	global_store_byte v[0:1], v3, off
.LBB86_914:
	s_mov_b64 s[8:9], 0
.LBB86_915:
	s_andn2_b64 vcc, exec, s[8:9]
	s_mov_b64 s[8:9], 0
	s_cbranch_vccnz .LBB86_922
; %bb.916:
	v_cmp_lt_i16_e32 vcc, 14, v2
	s_mov_b64 s[12:13], -1
	s_cbranch_vccz .LBB86_920
; %bb.917:
	v_cmp_eq_u16_e32 vcc, 15, v2
	s_mov_b64 s[4:5], -1
	s_cbranch_vccz .LBB86_919
; %bb.918:
	v_mov_b32_e32 v3, s11
	global_store_short v[0:1], v3, off
	s_mov_b64 s[4:5], 0
.LBB86_919:
	s_mov_b64 s[12:13], 0
.LBB86_920:
	s_and_b64 vcc, exec, s[12:13]
	s_cbranch_vccz .LBB86_922
; %bb.921:
	v_cmp_ne_u16_e64 s[4:5], 11, v2
	s_mov_b64 s[8:9], -1
.LBB86_922:
	s_and_b64 vcc, exec, s[4:5]
	s_cbranch_vccnz .LBB86_924
.LBB86_923:
	s_mov_b64 s[4:5], 0
	s_branch .LBB86_841
.LBB86_924:
	s_mov_b64 s[8:9], 0
	s_or_b64 s[6:7], s[6:7], exec
	s_trap 2
	s_branch .LBB86_923
	.section	.rodata,"a",@progbits
	.p2align	6, 0x0
	.amdhsa_kernel _ZN2at6native32elementwise_kernel_manual_unrollILi128ELi4EZNS0_15gpu_kernel_implINS0_11FillFunctorIN3c107complexINS4_8BFloat16EEEEEEEvRNS_18TensorIteratorBaseERKT_EUlibE_EEviT1_
		.amdhsa_group_segment_fixed_size 0
		.amdhsa_private_segment_fixed_size 0
		.amdhsa_kernarg_size 32
		.amdhsa_user_sgpr_count 6
		.amdhsa_user_sgpr_private_segment_buffer 1
		.amdhsa_user_sgpr_dispatch_ptr 0
		.amdhsa_user_sgpr_queue_ptr 0
		.amdhsa_user_sgpr_kernarg_segment_ptr 1
		.amdhsa_user_sgpr_dispatch_id 0
		.amdhsa_user_sgpr_flat_scratch_init 0
		.amdhsa_user_sgpr_kernarg_preload_length 0
		.amdhsa_user_sgpr_kernarg_preload_offset 0
		.amdhsa_user_sgpr_private_segment_size 0
		.amdhsa_uses_dynamic_stack 0
		.amdhsa_system_sgpr_private_segment_wavefront_offset 0
		.amdhsa_system_sgpr_workgroup_id_x 1
		.amdhsa_system_sgpr_workgroup_id_y 0
		.amdhsa_system_sgpr_workgroup_id_z 0
		.amdhsa_system_sgpr_workgroup_info 0
		.amdhsa_system_vgpr_workitem_id 0
		.amdhsa_next_free_vgpr 20
		.amdhsa_next_free_sgpr 65
		.amdhsa_accum_offset 20
		.amdhsa_reserve_vcc 1
		.amdhsa_reserve_flat_scratch 0
		.amdhsa_float_round_mode_32 0
		.amdhsa_float_round_mode_16_64 0
		.amdhsa_float_denorm_mode_32 3
		.amdhsa_float_denorm_mode_16_64 3
		.amdhsa_dx10_clamp 1
		.amdhsa_ieee_mode 1
		.amdhsa_fp16_overflow 0
		.amdhsa_tg_split 0
		.amdhsa_exception_fp_ieee_invalid_op 0
		.amdhsa_exception_fp_denorm_src 0
		.amdhsa_exception_fp_ieee_div_zero 0
		.amdhsa_exception_fp_ieee_overflow 0
		.amdhsa_exception_fp_ieee_underflow 0
		.amdhsa_exception_fp_ieee_inexact 0
		.amdhsa_exception_int_div_zero 0
	.end_amdhsa_kernel
	.section	.text._ZN2at6native32elementwise_kernel_manual_unrollILi128ELi4EZNS0_15gpu_kernel_implINS0_11FillFunctorIN3c107complexINS4_8BFloat16EEEEEEEvRNS_18TensorIteratorBaseERKT_EUlibE_EEviT1_,"axG",@progbits,_ZN2at6native32elementwise_kernel_manual_unrollILi128ELi4EZNS0_15gpu_kernel_implINS0_11FillFunctorIN3c107complexINS4_8BFloat16EEEEEEEvRNS_18TensorIteratorBaseERKT_EUlibE_EEviT1_,comdat
.Lfunc_end86:
	.size	_ZN2at6native32elementwise_kernel_manual_unrollILi128ELi4EZNS0_15gpu_kernel_implINS0_11FillFunctorIN3c107complexINS4_8BFloat16EEEEEEEvRNS_18TensorIteratorBaseERKT_EUlibE_EEviT1_, .Lfunc_end86-_ZN2at6native32elementwise_kernel_manual_unrollILi128ELi4EZNS0_15gpu_kernel_implINS0_11FillFunctorIN3c107complexINS4_8BFloat16EEEEEEEvRNS_18TensorIteratorBaseERKT_EUlibE_EEviT1_
                                        ; -- End function
	.section	.AMDGPU.csdata,"",@progbits
; Kernel info:
; codeLenInByte = 14596
; NumSgprs: 69
; NumVgprs: 20
; NumAgprs: 0
; TotalNumVgprs: 20
; ScratchSize: 0
; MemoryBound: 0
; FloatMode: 240
; IeeeMode: 1
; LDSByteSize: 0 bytes/workgroup (compile time only)
; SGPRBlocks: 8
; VGPRBlocks: 2
; NumSGPRsForWavesPerEU: 69
; NumVGPRsForWavesPerEU: 20
; AccumOffset: 20
; Occupancy: 8
; WaveLimiterHint : 0
; COMPUTE_PGM_RSRC2:SCRATCH_EN: 0
; COMPUTE_PGM_RSRC2:USER_SGPR: 6
; COMPUTE_PGM_RSRC2:TRAP_HANDLER: 0
; COMPUTE_PGM_RSRC2:TGID_X_EN: 1
; COMPUTE_PGM_RSRC2:TGID_Y_EN: 0
; COMPUTE_PGM_RSRC2:TGID_Z_EN: 0
; COMPUTE_PGM_RSRC2:TIDIG_COMP_CNT: 0
; COMPUTE_PGM_RSRC3_GFX90A:ACCUM_OFFSET: 4
; COMPUTE_PGM_RSRC3_GFX90A:TG_SPLIT: 0
	.section	.text._ZN2at6native32elementwise_kernel_manual_unrollILi128ELi4EZNS0_15gpu_kernel_implINS0_11FillFunctorIN3c107complexINS4_8BFloat16EEEEEEEvRNS_18TensorIteratorBaseERKT_EUlibE0_EEviT1_,"axG",@progbits,_ZN2at6native32elementwise_kernel_manual_unrollILi128ELi4EZNS0_15gpu_kernel_implINS0_11FillFunctorIN3c107complexINS4_8BFloat16EEEEEEEvRNS_18TensorIteratorBaseERKT_EUlibE0_EEviT1_,comdat
	.protected	_ZN2at6native32elementwise_kernel_manual_unrollILi128ELi4EZNS0_15gpu_kernel_implINS0_11FillFunctorIN3c107complexINS4_8BFloat16EEEEEEEvRNS_18TensorIteratorBaseERKT_EUlibE0_EEviT1_ ; -- Begin function _ZN2at6native32elementwise_kernel_manual_unrollILi128ELi4EZNS0_15gpu_kernel_implINS0_11FillFunctorIN3c107complexINS4_8BFloat16EEEEEEEvRNS_18TensorIteratorBaseERKT_EUlibE0_EEviT1_
	.globl	_ZN2at6native32elementwise_kernel_manual_unrollILi128ELi4EZNS0_15gpu_kernel_implINS0_11FillFunctorIN3c107complexINS4_8BFloat16EEEEEEEvRNS_18TensorIteratorBaseERKT_EUlibE0_EEviT1_
	.p2align	8
	.type	_ZN2at6native32elementwise_kernel_manual_unrollILi128ELi4EZNS0_15gpu_kernel_implINS0_11FillFunctorIN3c107complexINS4_8BFloat16EEEEEEEvRNS_18TensorIteratorBaseERKT_EUlibE0_EEviT1_,@function
_ZN2at6native32elementwise_kernel_manual_unrollILi128ELi4EZNS0_15gpu_kernel_implINS0_11FillFunctorIN3c107complexINS4_8BFloat16EEEEEEEvRNS_18TensorIteratorBaseERKT_EUlibE0_EEviT1_: ; @_ZN2at6native32elementwise_kernel_manual_unrollILi128ELi4EZNS0_15gpu_kernel_implINS0_11FillFunctorIN3c107complexINS4_8BFloat16EEEEEEEvRNS_18TensorIteratorBaseERKT_EUlibE0_EEviT1_
; %bb.0:
	s_load_dword s94, s[4:5], 0x0
	s_load_dword s33, s[4:5], 0x8
	s_or_b32 s4, s4, 8
	v_lshl_or_b32 v12, s6, 9, v0
	v_or_b32_e32 v8, 0x180, v12
	s_waitcnt lgkmcnt(0)
	v_cmp_le_i32_e32 vcc, s94, v8
	s_add_i32 s80, s33, -1
	s_cmp_gt_u32 s80, 1
	s_cselect_b64 s[36:37], -1, 0
	s_mov_b64 s[34:35], 0
	s_mov_b64 s[6:7], 0
	s_and_saveexec_b64 s[0:1], vcc
	s_xor_b64 s[2:3], exec, s[0:1]
	s_cbranch_execz .LBB87_464
; %bb.1:
	s_cmp_lg_u32 s33, 0
	s_cselect_b64 s[64:65], -1, 0
	s_add_u32 s62, s4, 0xc4
	s_load_dwordx2 s[56:57], s[4:5], 0xc4
	s_load_dwordx4 s[16:19], s[4:5], 0x108
	s_load_dwordx4 s[20:23], s[4:5], 0x4
	s_load_dwordx2 s[58:59], s[4:5], 0x14
	s_addc_u32 s63, s5, 0
	s_min_u32 s95, s80, 15
	s_cmp_gt_u32 s33, 1
	s_cselect_b64 s[60:61], -1, 0
	s_waitcnt lgkmcnt(0)
	s_lshl_b32 s81, s18, 16
	s_bfe_u32 s12, s18, 0x90007
	s_or_b32 s8, s12, s81
	s_bfe_u32 s0, s81, 0x80017
	s_cmpk_eq_i32 s0, 0xff
	s_cselect_b64 s[0:1], -1, 0
	s_bitcmp1_b32 s18, 6
	s_cselect_b64 s[6:7], -1, 0
	s_and_b32 s8, s8, 0x3f00ff
	s_cmp_lg_u32 s8, 0
	v_trunc_f32_e32 v4, s81
	s_cselect_b64 s[8:9], -1, 0
	v_mul_f32_e32 v0, 0x2f800000, v4
	s_and_b64 s[6:7], s[6:7], s[8:9]
	s_and_b32 s8, s81, 0x7fffffff
	v_floor_f32_e32 v0, v0
	v_mov_b32_e32 v1, v4
	s_cmp_lt_u32 s8, 0x43800000
	v_fmac_f32_e32 v1, 0xcf800000, v0
	v_cvt_u32_f32_e32 v7, v0
	v_cndmask_b32_e64 v0, 0, 1, s[6:7]
	s_cselect_b64 s[52:53], -1, 0
	s_cmp_gt_u32 s8, 0x3bffffff
	v_add_u32_e32 v16, s12, v0
	s_cselect_b64 s[50:51], -1, 0
	s_bfe_u32 s6, s18, 0x10004
	v_mov_b32_e32 v0, 0x46000000
	s_or_b32 s9, s81, s6
	v_add_f32_e64 v0, |s81|, v0
	s_add_i32 s6, s9, 0x487ffff
	v_readfirstlane_b32 s93, v0
	s_lshr_b32 s92, s6, 20
	s_and_b32 s6, s93, 0xff
	s_cmp_lg_u32 s6, 0
	s_cselect_b64 s[54:55], -1, 0
	s_lshr_b32 s6, s18, 8
	s_and_b32 s83, s6, 0x80
	s_cmp_gt_u32 s8, 0x477fffff
	s_cselect_b64 s[6:7], -1, 0
	s_cmp_lt_u32 s8, 0x47800000
	s_cselect_b64 s[46:47], -1, 0
	s_cmp_gt_u32 s8, 0x37ffffff
	s_cselect_b64 s[44:45], -1, 0
	s_bfe_u32 s12, s18, 0x10005
	v_mov_b32_e32 v0, 0x42800000
	s_or_b32 s12, s81, s12
	v_add_f32_e64 v0, |s81|, v0
	s_add_i32 s13, s12, 0x88fffff
	v_readfirstlane_b32 s91, v0
	s_lshr_b32 s89, s13, 21
	s_and_b32 s13, s91, 0xff
	s_cmp_lg_u32 s13, 0
	s_cselect_b64 s[48:49], -1, 0
	s_cmp_gt_u32 s8, 0x43efffff
	s_cselect_b64 s[40:41], -1, 0
	s_cmp_lt_u32 s8, 0x3c800000
	s_cselect_b64 s[42:43], -1, 0
	s_add_i32 s9, s9, 0x407ffff
	s_lshr_b32 s13, s9, 20
	s_and_b32 s9, s9, 0xff00000
	s_cmp_lg_u32 s9, 0x7f00000
	s_cselect_b32 s87, s13, 0x7e
	s_cmp_lt_u32 s8, 0x38800000
	s_cselect_b64 s[38:39], -1, 0
	s_add_i32 s12, s12, 0x80fffff
	s_lshr_b32 s84, s12, 21
	s_cmp_gt_u32 s8, 0x7f800000
	s_movk_i32 s8, 0x7f
	s_cselect_b32 s90, s8, 0x7e
	s_movk_i32 s8, 0x7c
	s_mov_b32 s10, 0x2f800000
	s_cselect_b32 s86, 0x7f, s8
	s_and_b32 s8, s18, 0x7fff7fff
	s_cmp_lg_u32 s8, 0
	v_mul_f32_e64 v8, |v4|, s10
	s_mov_b32 s11, 0xcf800000
	s_cselect_b64 s[8:9], -1, 0
	s_and_b32 s82, s18, 0xffff0000
	v_floor_f32_e32 v8, v8
	v_cvt_f16_f32_e32 v11, s81
	v_cvt_f16_f32_sdwa v5, s82 dst_sel:WORD_1 dst_unused:UNUSED_PAD src0_sel:DWORD
	v_fma_f32 v9, v8, s11, |v4|
	v_cvt_u32_f32_e32 v9, v9
	v_cvt_u32_f32_e32 v8, v8
	v_mov_b32_e32 v0, 0x46800000
	v_or_b32_e32 v13, v5, v11
	v_ashrrev_i32_e32 v5, 31, v4
	v_cvt_u32_f32_e32 v6, v1
	v_cvt_u32_f32_e32 v15, s81
	v_add_f32_e64 v0, |s81|, v0
	v_xor_b32_e32 v4, v9, v5
	v_cvt_i32_f32_e32 v10, s81
	v_readfirstlane_b32 s88, v0
	v_mov_b32_e32 v0, 0x43000000
	v_xor_b32_e32 v8, v8, v5
	v_sub_co_u32_e32 v4, vcc, v4, v5
	v_add_f32_e64 v0, |s81|, v0
	v_subb_co_u32_e32 v5, vcc, v8, v5, vcc
	v_readfirstlane_b32 s85, v0
	v_cndmask_b32_e64 v14, 0, 1, s[8:9]
	v_cvt_f64_f32_e32 v[0:1], s81
	v_cvt_f64_f32_e32 v[2:3], s82
	v_cmp_gt_i32_e32 vcc, s94, v12
	s_mov_b64 s[10:11], -1
	s_mov_b64 s[72:73], 0
	s_mov_b64 s[66:67], 0
	s_and_saveexec_b64 s[68:69], vcc
	s_cbranch_execz .LBB87_114
; %bb.2:
	s_andn2_b64 vcc, exec, s[36:37]
	s_cbranch_vccnz .LBB87_7
; %bb.3:
	s_andn2_b64 vcc, exec, s[64:65]
	s_cbranch_vccnz .LBB87_8
; %bb.4:
	s_add_i32 s75, s95, 1
	s_mov_b32 s74, 0
	s_cmp_eq_u32 s80, 2
	v_mov_b32_e32 v8, 0
	s_cbranch_scc1 .LBB87_9
; %bb.5:
	s_and_b32 s74, s75, 28
	s_mov_b32 s76, 0
	v_mov_b32_e32 v8, 0
	s_mov_b64 s[66:67], s[4:5]
	s_mov_b64 s[70:71], s[62:63]
	v_mov_b32_e32 v17, v12
.LBB87_6:                               ; =>This Inner Loop Header: Depth=1
	s_load_dwordx8 s[8:15], s[66:67], 0x4
	s_load_dwordx4 s[24:27], s[66:67], 0x24
	s_load_dwordx4 s[28:31], s[70:71], 0x0
	s_add_u32 s66, s66, 48
	s_addc_u32 s67, s67, 0
	s_waitcnt lgkmcnt(0)
	v_mul_hi_u32 v9, s9, v17
	v_add_u32_e32 v9, v17, v9
	v_lshrrev_b32_e32 v9, s10, v9
	v_mul_lo_u32 v18, v9, s8
	v_mul_hi_u32 v19, s12, v9
	v_sub_u32_e32 v17, v17, v18
	v_add_u32_e32 v18, v9, v19
	v_lshrrev_b32_e32 v18, s13, v18
	v_mul_lo_u32 v19, v18, s11
	v_mul_hi_u32 v20, s15, v18
	v_sub_u32_e32 v9, v9, v19
	v_add_u32_e32 v19, v18, v20
	v_mul_lo_u32 v17, v17, s28
	v_mul_lo_u32 v9, v9, s29
	v_lshrrev_b32_e32 v19, s24, v19
	v_add3_u32 v8, v17, v8, v9
	v_mul_hi_u32 v17, s26, v19
	v_add_u32_e32 v17, v19, v17
	v_mul_lo_u32 v9, v19, s14
	v_lshrrev_b32_e32 v17, s27, v17
	s_add_i32 s76, s76, 4
	v_sub_u32_e32 v9, v18, v9
	v_mul_lo_u32 v18, v17, s25
	s_add_u32 s70, s70, 16
	v_sub_u32_e32 v18, v19, v18
	s_addc_u32 s71, s71, 0
	v_mul_lo_u32 v9, v9, s30
	v_mul_lo_u32 v18, v18, s31
	s_cmp_lg_u32 s74, s76
	v_add3_u32 v8, v9, v8, v18
	s_cbranch_scc1 .LBB87_6
	s_branch .LBB87_10
.LBB87_7:
                                        ; implicit-def: $vgpr8
	s_branch .LBB87_14
.LBB87_8:
	v_mov_b32_e32 v8, 0
	s_branch .LBB87_13
.LBB87_9:
	v_mov_b32_e32 v17, v12
.LBB87_10:
	s_and_b32 s12, s75, 3
	s_cmp_eq_u32 s12, 0
	s_cbranch_scc1 .LBB87_13
; %bb.11:
	s_lshl_b32 s8, s74, 2
	s_add_u32 s8, s8, s4
	s_addc_u32 s9, s5, 0
	s_add_u32 s8, s8, 0xc4
	s_addc_u32 s9, s9, 0
	s_mul_i32 s10, s74, 12
	s_add_u32 s10, s4, s10
	s_addc_u32 s11, s5, 0
.LBB87_12:                              ; =>This Inner Loop Header: Depth=1
	s_load_dwordx2 s[14:15], s[10:11], 0x4
	s_load_dword s13, s[10:11], 0xc
	s_load_dword s24, s[8:9], 0x0
	s_add_u32 s10, s10, 12
	s_addc_u32 s11, s11, 0
	s_waitcnt lgkmcnt(0)
	v_mul_hi_u32 v9, s15, v17
	v_add_u32_e32 v9, v17, v9
	v_lshrrev_b32_e32 v9, s13, v9
	s_add_u32 s8, s8, 4
	v_mul_lo_u32 v18, v9, s14
	s_addc_u32 s9, s9, 0
	s_add_i32 s12, s12, -1
	v_sub_u32_e32 v18, v17, v18
	s_cmp_lg_u32 s12, 0
	v_mov_b32_e32 v17, v9
	v_mad_u64_u32 v[8:9], s[14:15], v18, s24, v[8:9]
	s_cbranch_scc1 .LBB87_12
.LBB87_13:
	s_cbranch_execnz .LBB87_16
.LBB87_14:
	v_mul_hi_u32 v8, s21, v12
	v_add_u32_e32 v8, v12, v8
	v_lshrrev_b32_e32 v9, s22, v8
	v_mul_lo_u32 v8, v9, s20
	v_sub_u32_e32 v8, v12, v8
	s_andn2_b64 vcc, exec, s[60:61]
	v_mul_lo_u32 v8, v8, s56
	s_cbranch_vccnz .LBB87_16
; %bb.15:
	v_mul_hi_u32 v17, s58, v9
	v_add_u32_e32 v17, v9, v17
	v_lshrrev_b32_e32 v17, s59, v17
	v_mul_lo_u32 v17, v17, s23
	v_sub_u32_e32 v9, v9, v17
	v_mad_u64_u32 v[8:9], s[8:9], v9, s57, v[8:9]
.LBB87_16:
	v_mov_b32_e32 v9, s17
	v_add_co_u32_e32 v8, vcc, s16, v8
	v_mov_b32_e32 v17, 11
	v_addc_co_u32_e32 v9, vcc, 0, v9, vcc
	v_cmp_lt_i16_sdwa s[8:9], s19, v17 src0_sel:BYTE_0 src1_sel:DWORD
	s_and_b64 vcc, exec, s[8:9]
	s_cbranch_vccnz .LBB87_23
; %bb.17:
	v_mov_b32_e32 v17, 25
	v_cmp_gt_i16_sdwa s[8:9], s19, v17 src0_sel:BYTE_0 src1_sel:DWORD
	s_and_b64 vcc, exec, s[8:9]
	s_cbranch_vccz .LBB87_26
; %bb.18:
	v_mov_b32_e32 v17, 28
	v_cmp_gt_i16_sdwa s[8:9], s19, v17 src0_sel:BYTE_0 src1_sel:DWORD
	s_and_b64 vcc, exec, s[8:9]
	s_cbranch_vccz .LBB87_27
	;; [unrolled: 5-line block ×4, first 2 shown]
; %bb.21:
	v_mov_b32_e32 v17, 46
	v_cmp_eq_u16_sdwa s[10:11], s19, v17 src0_sel:BYTE_0 src1_sel:DWORD
	s_mov_b64 s[12:13], 0
	s_mov_b64 s[8:9], -1
	s_and_b64 vcc, exec, s[10:11]
	s_mov_b64 s[10:11], 0
	s_cbranch_vccz .LBB87_30
; %bb.22:
	v_mov_b32_e32 v17, s18
	global_store_dword v[8:9], v17, off
	s_mov_b64 s[10:11], -1
	s_mov_b64 s[8:9], 0
	s_branch .LBB87_30
.LBB87_23:
	s_mov_b64 s[8:9], 0
	s_mov_b64 s[10:11], 0
	s_cbranch_execnz .LBB87_74
.LBB87_24:
	s_andn2_b64 vcc, exec, s[10:11]
	s_cbranch_vccnz .LBB87_112
.LBB87_25:
	v_add_u32_e32 v12, 0x80, v12
	s_mov_b64 s[10:11], -1
	s_branch .LBB87_113
.LBB87_26:
	s_mov_b64 s[8:9], 0
	s_mov_b64 s[10:11], 0
	s_cbranch_execnz .LBB87_52
	s_branch .LBB87_73
.LBB87_27:
	s_mov_b64 s[12:13], -1
	s_mov_b64 s[8:9], 0
	s_mov_b64 s[10:11], 0
	s_branch .LBB87_38
.LBB87_28:
	s_mov_b64 s[12:13], -1
	s_mov_b64 s[8:9], 0
	s_mov_b64 s[10:11], 0
	s_branch .LBB87_34
.LBB87_29:
	s_mov_b64 s[12:13], -1
	s_mov_b64 s[8:9], 0
	s_mov_b64 s[10:11], 0
.LBB87_30:
	s_and_b64 vcc, exec, s[12:13]
	s_cbranch_vccz .LBB87_33
; %bb.31:
	v_mov_b32_e32 v17, 44
	v_cmp_eq_u16_sdwa s[12:13], s19, v17 src0_sel:BYTE_0 src1_sel:DWORD
	s_mov_b64 s[8:9], -1
	s_and_b64 vcc, exec, s[12:13]
	s_cbranch_vccz .LBB87_33
; %bb.32:
	v_mov_b32_e32 v17, 0xff
	v_cndmask_b32_e64 v17, v16, v17, s[0:1]
	global_store_byte v[8:9], v17, off
	s_mov_b64 s[10:11], -1
	s_mov_b64 s[8:9], 0
.LBB87_33:
	s_mov_b64 s[12:13], 0
.LBB87_34:
	s_and_b64 vcc, exec, s[12:13]
	s_cbranch_vccz .LBB87_37
; %bb.35:
	v_mov_b32_e32 v17, 29
	v_cmp_eq_u16_sdwa s[12:13], s19, v17 src0_sel:BYTE_0 src1_sel:DWORD
	s_mov_b64 s[8:9], -1
	s_and_b64 vcc, exec, s[12:13]
	s_cbranch_vccz .LBB87_37
; %bb.36:
	global_store_dwordx2 v[8:9], v[6:7], off
	s_mov_b64 s[10:11], -1
	s_mov_b64 s[8:9], 0
.LBB87_37:
	s_mov_b64 s[12:13], 0
.LBB87_38:
	s_and_b64 vcc, exec, s[12:13]
	s_cbranch_vccz .LBB87_51
; %bb.39:
	v_mov_b32_e32 v17, 27
	v_cmp_lt_i16_sdwa s[12:13], s19, v17 src0_sel:BYTE_0 src1_sel:DWORD
	s_mov_b64 s[10:11], -1
	s_and_b64 vcc, exec, s[12:13]
	s_cbranch_vccnz .LBB87_45
; %bb.40:
	v_cmp_gt_i16_sdwa s[12:13], s19, v17 src0_sel:BYTE_0 src1_sel:DWORD
	s_and_b64 vcc, exec, s[12:13]
	s_cbranch_vccz .LBB87_42
; %bb.41:
	s_mov_b64 s[10:11], 0
	global_store_dword v[8:9], v15, off
.LBB87_42:
	s_andn2_b64 vcc, exec, s[10:11]
	s_cbranch_vccnz .LBB87_44
; %bb.43:
	global_store_short v[8:9], v15, off
.LBB87_44:
	s_mov_b64 s[10:11], 0
.LBB87_45:
	s_andn2_b64 vcc, exec, s[10:11]
	s_cbranch_vccnz .LBB87_50
; %bb.46:
	s_andn2_b64 vcc, exec, s[52:53]
	s_movk_i32 s10, 0x80
	s_cbranch_vccnz .LBB87_49
; %bb.47:
	s_or_b64 s[10:11], s[50:51], s[54:55]
	s_andn2_b64 vcc, exec, s[10:11]
	s_mov_b32 s10, 0
	s_cbranch_vccnz .LBB87_49
; %bb.48:
	s_and_b64 s[10:11], s[50:51], exec
	s_cselect_b32 s10, s92, s93
	s_or_b32 s10, s10, s83
.LBB87_49:
	v_mov_b32_e32 v17, s10
	global_store_byte v[8:9], v17, off
.LBB87_50:
	s_mov_b64 s[10:11], -1
.LBB87_51:
	s_branch .LBB87_73
.LBB87_52:
	v_mov_b32_e32 v17, 22
	v_cmp_gt_i16_sdwa s[14:15], s19, v17 src0_sel:BYTE_0 src1_sel:DWORD
	s_mov_b64 s[12:13], -1
	s_and_b64 vcc, exec, s[14:15]
	s_cbranch_vccz .LBB87_65
; %bb.53:
	v_mov_b32_e32 v17, 24
	v_cmp_lt_i16_sdwa s[12:13], s19, v17 src0_sel:BYTE_0 src1_sel:DWORD
	s_mov_b64 s[10:11], -1
	s_and_b64 vcc, exec, s[12:13]
	s_cbranch_vccnz .LBB87_62
; %bb.54:
	v_cmp_gt_i16_sdwa s[12:13], s19, v17 src0_sel:BYTE_0 src1_sel:DWORD
	s_and_b64 vcc, exec, s[12:13]
	s_cbranch_vccz .LBB87_59
; %bb.55:
	s_andn2_b64 vcc, exec, s[46:47]
	s_movk_i32 s10, 0x80
	s_cbranch_vccnz .LBB87_58
; %bb.56:
	s_or_b64 s[10:11], s[44:45], s[48:49]
	s_andn2_b64 vcc, exec, s[10:11]
	s_mov_b32 s10, 0
	s_cbranch_vccnz .LBB87_58
; %bb.57:
	s_and_b64 s[10:11], s[44:45], exec
	s_cselect_b32 s10, s89, s91
	s_or_b32 s10, s10, s83
.LBB87_58:
	v_mov_b32_e32 v17, s10
	s_mov_b64 s[10:11], 0
	global_store_byte v[8:9], v17, off
.LBB87_59:
	s_and_b64 vcc, exec, s[10:11]
	s_cbranch_vccz .LBB87_61
; %bb.60:
	s_and_b64 s[10:11], s[42:43], exec
	s_cselect_b32 s12, s88, s87
	s_and_b64 s[10:11], s[40:41], exec
	s_cselect_b32 s10, s90, s12
	s_or_b32 s10, s10, s83
	v_mov_b32_e32 v17, s10
	global_store_byte v[8:9], v17, off
.LBB87_61:
	s_mov_b64 s[10:11], 0
.LBB87_62:
	s_andn2_b64 vcc, exec, s[10:11]
	s_cbranch_vccnz .LBB87_64
; %bb.63:
	s_and_b64 s[10:11], s[38:39], exec
	s_cselect_b32 s12, s85, s84
	s_and_b64 s[10:11], s[6:7], exec
	s_cselect_b32 s10, s86, s12
	s_or_b32 s10, s10, s83
	v_mov_b32_e32 v17, s10
	global_store_byte v[8:9], v17, off
.LBB87_64:
	s_mov_b64 s[12:13], 0
	s_mov_b64 s[10:11], -1
.LBB87_65:
	s_andn2_b64 vcc, exec, s[12:13]
	s_cbranch_vccnz .LBB87_73
; %bb.66:
	v_mov_b32_e32 v17, 14
	v_cmp_gt_i16_sdwa s[14:15], s19, v17 src0_sel:BYTE_0 src1_sel:DWORD
	s_mov_b64 s[12:13], -1
	s_and_b64 vcc, exec, s[14:15]
	s_cbranch_vccz .LBB87_70
; %bb.67:
	v_mov_b32_e32 v17, 15
	v_cmp_eq_u16_sdwa s[12:13], s19, v17 src0_sel:BYTE_0 src1_sel:DWORD
	s_mov_b64 s[8:9], -1
	s_and_b64 vcc, exec, s[12:13]
	s_cbranch_vccz .LBB87_69
; %bb.68:
	v_mov_b32_e32 v17, s18
	global_store_short v[8:9], v17, off
	s_mov_b64 s[10:11], -1
	s_mov_b64 s[8:9], 0
.LBB87_69:
	s_mov_b64 s[12:13], 0
.LBB87_70:
	s_and_b64 vcc, exec, s[12:13]
	s_cbranch_vccz .LBB87_73
; %bb.71:
	v_mov_b32_e32 v17, 11
	v_cmp_eq_u16_sdwa s[12:13], s19, v17 src0_sel:BYTE_0 src1_sel:DWORD
	s_mov_b64 s[8:9], -1
	s_and_b64 vcc, exec, s[12:13]
	s_cbranch_vccz .LBB87_73
; %bb.72:
	s_mov_b64 s[10:11], -1
	s_mov_b64 s[8:9], 0
	global_store_byte v[8:9], v14, off
.LBB87_73:
	s_branch .LBB87_24
.LBB87_74:
	v_mov_b32_e32 v17, 5
	v_cmp_lt_i16_sdwa s[12:13], s19, v17 src0_sel:BYTE_0 src1_sel:DWORD
	s_mov_b64 s[10:11], -1
	s_and_b64 vcc, exec, s[12:13]
	s_cbranch_vccnz .LBB87_95
; %bb.75:
	v_mov_b32_e32 v17, 8
	v_cmp_lt_i16_sdwa s[12:13], s19, v17 src0_sel:BYTE_0 src1_sel:DWORD
	s_and_b64 vcc, exec, s[12:13]
	s_cbranch_vccnz .LBB87_85
; %bb.76:
	v_mov_b32_e32 v17, 9
	v_cmp_lt_i16_sdwa s[12:13], s19, v17 src0_sel:BYTE_0 src1_sel:DWORD
	s_and_b64 vcc, exec, s[12:13]
	s_cbranch_vccnz .LBB87_82
; %bb.77:
	v_cmp_gt_i16_sdwa s[12:13], s19, v17 src0_sel:BYTE_0 src1_sel:DWORD
	s_and_b64 vcc, exec, s[12:13]
	s_cbranch_vccz .LBB87_79
; %bb.78:
	global_store_dwordx4 v[8:9], v[0:3], off
	s_mov_b64 s[10:11], 0
.LBB87_79:
	s_andn2_b64 vcc, exec, s[10:11]
	s_cbranch_vccnz .LBB87_81
; %bb.80:
	v_mov_b32_e32 v18, s81
	v_mov_b32_e32 v19, s82
	global_store_dwordx2 v[8:9], v[18:19], off
.LBB87_81:
	s_mov_b64 s[10:11], 0
.LBB87_82:
	s_andn2_b64 vcc, exec, s[10:11]
	s_cbranch_vccnz .LBB87_84
; %bb.83:
	global_store_dword v[8:9], v13, off
.LBB87_84:
	s_mov_b64 s[10:11], 0
.LBB87_85:
	s_andn2_b64 vcc, exec, s[10:11]
	s_cbranch_vccnz .LBB87_94
; %bb.86:
	v_mov_b32_e32 v17, 6
	v_cmp_lt_i16_sdwa s[12:13], s19, v17 src0_sel:BYTE_0 src1_sel:DWORD
	s_mov_b64 s[10:11], -1
	s_and_b64 vcc, exec, s[12:13]
	s_cbranch_vccnz .LBB87_92
; %bb.87:
	v_cmp_gt_i16_sdwa s[12:13], s19, v17 src0_sel:BYTE_0 src1_sel:DWORD
	s_and_b64 vcc, exec, s[12:13]
	s_cbranch_vccz .LBB87_89
; %bb.88:
	global_store_dwordx2 v[8:9], v[0:1], off
	s_mov_b64 s[10:11], 0
.LBB87_89:
	s_andn2_b64 vcc, exec, s[10:11]
	s_cbranch_vccnz .LBB87_91
; %bb.90:
	v_mov_b32_e32 v17, s81
	global_store_dword v[8:9], v17, off
.LBB87_91:
	s_mov_b64 s[10:11], 0
.LBB87_92:
	s_andn2_b64 vcc, exec, s[10:11]
	s_cbranch_vccnz .LBB87_94
; %bb.93:
	global_store_short v[8:9], v11, off
.LBB87_94:
	s_mov_b64 s[10:11], 0
.LBB87_95:
	s_andn2_b64 vcc, exec, s[10:11]
	s_cbranch_vccnz .LBB87_111
; %bb.96:
	v_mov_b32_e32 v17, 2
	v_cmp_lt_i16_sdwa s[12:13], s19, v17 src0_sel:BYTE_0 src1_sel:DWORD
	s_mov_b64 s[10:11], -1
	s_and_b64 vcc, exec, s[12:13]
	s_cbranch_vccnz .LBB87_106
; %bb.97:
	v_mov_b32_e32 v17, 3
	v_cmp_lt_i16_sdwa s[12:13], s19, v17 src0_sel:BYTE_0 src1_sel:DWORD
	s_and_b64 vcc, exec, s[12:13]
	s_cbranch_vccnz .LBB87_103
; %bb.98:
	v_cmp_gt_i16_sdwa s[12:13], s19, v17 src0_sel:BYTE_0 src1_sel:DWORD
	s_and_b64 vcc, exec, s[12:13]
	s_cbranch_vccz .LBB87_100
; %bb.99:
	global_store_dwordx2 v[8:9], v[4:5], off
	s_mov_b64 s[10:11], 0
.LBB87_100:
	s_andn2_b64 vcc, exec, s[10:11]
	s_cbranch_vccnz .LBB87_102
; %bb.101:
	global_store_dword v[8:9], v10, off
.LBB87_102:
	s_mov_b64 s[10:11], 0
.LBB87_103:
	s_andn2_b64 vcc, exec, s[10:11]
	s_cbranch_vccnz .LBB87_105
; %bb.104:
	global_store_short v[8:9], v10, off
.LBB87_105:
	s_mov_b64 s[10:11], 0
.LBB87_106:
	s_andn2_b64 vcc, exec, s[10:11]
	s_cbranch_vccnz .LBB87_111
; %bb.107:
	v_mov_b32_e32 v17, 0
	v_cmp_gt_i16_sdwa s[12:13], s19, v17 src0_sel:BYTE_0 src1_sel:DWORD
	s_mov_b64 s[10:11], -1
	s_and_b64 vcc, exec, s[12:13]
	s_cbranch_vccz .LBB87_109
; %bb.108:
	global_store_byte v[8:9], v10, off
	s_mov_b64 s[10:11], 0
.LBB87_109:
	s_andn2_b64 vcc, exec, s[10:11]
	s_cbranch_vccnz .LBB87_111
; %bb.110:
	global_store_byte v[8:9], v4, off
.LBB87_111:
	s_branch .LBB87_25
.LBB87_112:
	s_mov_b64 s[10:11], 0
                                        ; implicit-def: $vgpr12
.LBB87_113:
	s_and_b64 s[66:67], s[8:9], exec
	s_orn2_b64 s[10:11], s[10:11], exec
.LBB87_114:
	s_or_b64 exec, exec, s[68:69]
	s_mov_b64 s[8:9], 0
                                        ; implicit-def: $vgpr17
                                        ; implicit-def: $vgpr8_vgpr9
	s_and_saveexec_b64 s[68:69], s[10:11]
	s_cbranch_execz .LBB87_121
; %bb.115:
	v_cmp_gt_i32_e32 vcc, s94, v12
	s_mov_b64 s[8:9], -1
	s_mov_b64 s[70:71], s[66:67]
	s_and_saveexec_b64 s[72:73], vcc
	s_cbranch_execz .LBB87_232
; %bb.116:
	s_andn2_b64 vcc, exec, s[36:37]
	s_cbranch_vccnz .LBB87_124
; %bb.117:
	s_andn2_b64 vcc, exec, s[64:65]
	s_cbranch_vccnz .LBB87_125
; %bb.118:
	s_add_i32 s77, s95, 1
	s_mov_b32 s76, 0
	s_cmp_eq_u32 s80, 2
	v_mov_b32_e32 v8, 0
	s_cbranch_scc1 .LBB87_126
; %bb.119:
	s_and_b32 s76, s77, 28
	s_mov_b32 s78, 0
	v_mov_b32_e32 v8, 0
	s_mov_b64 s[70:71], s[4:5]
	s_mov_b64 s[74:75], s[62:63]
	v_mov_b32_e32 v17, v12
.LBB87_120:                             ; =>This Inner Loop Header: Depth=1
	s_load_dwordx8 s[8:15], s[70:71], 0x4
	s_load_dwordx4 s[24:27], s[70:71], 0x24
	s_load_dwordx4 s[28:31], s[74:75], 0x0
	s_add_u32 s70, s70, 48
	s_addc_u32 s71, s71, 0
	s_waitcnt lgkmcnt(0)
	v_mul_hi_u32 v9, s9, v17
	v_add_u32_e32 v9, v17, v9
	v_lshrrev_b32_e32 v9, s10, v9
	v_mul_lo_u32 v18, v9, s8
	v_mul_hi_u32 v19, s12, v9
	v_sub_u32_e32 v17, v17, v18
	v_add_u32_e32 v18, v9, v19
	v_lshrrev_b32_e32 v18, s13, v18
	v_mul_lo_u32 v19, v18, s11
	v_mul_hi_u32 v20, s15, v18
	v_sub_u32_e32 v9, v9, v19
	v_add_u32_e32 v19, v18, v20
	v_mul_lo_u32 v17, v17, s28
	v_mul_lo_u32 v9, v9, s29
	v_lshrrev_b32_e32 v19, s24, v19
	v_add3_u32 v8, v17, v8, v9
	v_mul_hi_u32 v17, s26, v19
	v_add_u32_e32 v17, v19, v17
	v_mul_lo_u32 v9, v19, s14
	v_lshrrev_b32_e32 v17, s27, v17
	s_add_i32 s78, s78, 4
	v_sub_u32_e32 v9, v18, v9
	v_mul_lo_u32 v18, v17, s25
	s_add_u32 s74, s74, 16
	v_sub_u32_e32 v18, v19, v18
	s_addc_u32 s75, s75, 0
	v_mul_lo_u32 v9, v9, s30
	v_mul_lo_u32 v18, v18, s31
	s_cmp_eq_u32 s76, s78
	v_add3_u32 v8, v9, v8, v18
	s_cbranch_scc0 .LBB87_120
	s_branch .LBB87_127
.LBB87_121:
	s_or_b64 exec, exec, s[68:69]
	s_mov_b64 s[0:1], 0
	s_and_saveexec_b64 s[6:7], s[66:67]
	s_cbranch_execnz .LBB87_424
.LBB87_122:
	s_or_b64 exec, exec, s[6:7]
	s_and_saveexec_b64 s[6:7], s[72:73]
	s_xor_b64 s[6:7], exec, s[6:7]
	s_cbranch_execz .LBB87_425
.LBB87_123:
	global_store_byte v[8:9], v14, off
	s_or_b64 exec, exec, s[6:7]
	s_and_saveexec_b64 s[6:7], s[8:9]
	s_xor_b64 s[6:7], exec, s[6:7]
	s_cbranch_execz .LBB87_463
	s_branch .LBB87_426
.LBB87_124:
                                        ; implicit-def: $vgpr8
	s_andn2_b64 vcc, exec, s[8:9]
	s_cbranch_vccz .LBB87_131
	s_branch .LBB87_133
.LBB87_125:
	v_mov_b32_e32 v8, 0
	s_branch .LBB87_130
.LBB87_126:
	v_mov_b32_e32 v17, v12
.LBB87_127:
	s_and_b32 s12, s77, 3
	s_cmp_eq_u32 s12, 0
	s_cbranch_scc1 .LBB87_130
; %bb.128:
	s_lshl_b32 s8, s76, 2
	s_add_u32 s8, s8, s4
	s_addc_u32 s9, s5, 0
	s_add_u32 s8, s8, 0xc4
	s_addc_u32 s9, s9, 0
	s_mul_i32 s10, s76, 12
	s_add_u32 s10, s4, s10
	s_addc_u32 s11, s5, 0
.LBB87_129:                             ; =>This Inner Loop Header: Depth=1
	s_load_dwordx2 s[14:15], s[10:11], 0x4
	s_load_dword s13, s[10:11], 0xc
	s_load_dword s24, s[8:9], 0x0
	s_add_u32 s10, s10, 12
	s_addc_u32 s11, s11, 0
	s_waitcnt lgkmcnt(0)
	v_mul_hi_u32 v9, s15, v17
	v_add_u32_e32 v9, v17, v9
	v_lshrrev_b32_e32 v9, s13, v9
	s_add_u32 s8, s8, 4
	v_mul_lo_u32 v18, v9, s14
	s_addc_u32 s9, s9, 0
	s_add_i32 s12, s12, -1
	v_sub_u32_e32 v18, v17, v18
	s_cmp_lg_u32 s12, 0
	v_mov_b32_e32 v17, v9
	v_mad_u64_u32 v[8:9], s[14:15], v18, s24, v[8:9]
	s_cbranch_scc1 .LBB87_129
.LBB87_130:
	s_cbranch_execnz .LBB87_133
.LBB87_131:
	v_mul_hi_u32 v8, s21, v12
	v_add_u32_e32 v8, v12, v8
	v_lshrrev_b32_e32 v9, s22, v8
	v_mul_lo_u32 v8, v9, s20
	v_sub_u32_e32 v8, v12, v8
	s_andn2_b64 vcc, exec, s[60:61]
	v_mul_lo_u32 v8, v8, s56
	s_cbranch_vccnz .LBB87_133
; %bb.132:
	v_mul_hi_u32 v17, s58, v9
	v_add_u32_e32 v17, v9, v17
	v_lshrrev_b32_e32 v17, s59, v17
	v_mul_lo_u32 v17, v17, s23
	v_sub_u32_e32 v9, v9, v17
	v_mad_u64_u32 v[8:9], s[8:9], v9, s57, v[8:9]
.LBB87_133:
	v_mov_b32_e32 v9, s17
	v_add_co_u32_e32 v8, vcc, s16, v8
	v_mov_b32_e32 v17, 11
	v_addc_co_u32_e32 v9, vcc, 0, v9, vcc
	v_cmp_lt_i16_sdwa s[8:9], s19, v17 src0_sel:BYTE_0 src1_sel:DWORD
	s_and_b64 vcc, exec, s[8:9]
	s_cbranch_vccnz .LBB87_140
; %bb.134:
	v_mov_b32_e32 v17, 25
	v_cmp_gt_i16_sdwa s[8:9], s19, v17 src0_sel:BYTE_0 src1_sel:DWORD
	s_and_b64 vcc, exec, s[8:9]
	s_cbranch_vccz .LBB87_143
; %bb.135:
	v_mov_b32_e32 v17, 28
	v_cmp_gt_i16_sdwa s[8:9], s19, v17 src0_sel:BYTE_0 src1_sel:DWORD
	s_and_b64 vcc, exec, s[8:9]
	s_cbranch_vccz .LBB87_144
	;; [unrolled: 5-line block ×4, first 2 shown]
; %bb.138:
	v_mov_b32_e32 v17, 46
	v_cmp_eq_u16_sdwa s[10:11], s19, v17 src0_sel:BYTE_0 src1_sel:DWORD
	s_mov_b64 s[12:13], 0
	s_mov_b64 s[8:9], -1
	s_and_b64 vcc, exec, s[10:11]
	s_mov_b64 s[10:11], 0
	s_cbranch_vccz .LBB87_147
; %bb.139:
	v_mov_b32_e32 v17, s18
	global_store_dword v[8:9], v17, off
	s_mov_b64 s[10:11], -1
	s_mov_b64 s[8:9], 0
	s_branch .LBB87_147
.LBB87_140:
	s_mov_b64 s[10:11], 0
	s_mov_b64 s[8:9], s[66:67]
	s_cbranch_execnz .LBB87_192
.LBB87_141:
	s_andn2_b64 vcc, exec, s[10:11]
	s_cbranch_vccnz .LBB87_230
.LBB87_142:
	v_add_u32_e32 v12, 0x80, v12
	s_mov_b64 s[10:11], -1
	s_branch .LBB87_231
.LBB87_143:
	s_mov_b64 s[12:13], -1
	s_mov_b64 s[10:11], 0
	s_mov_b64 s[8:9], s[66:67]
	s_branch .LBB87_169
.LBB87_144:
	s_mov_b64 s[12:13], -1
	s_mov_b64 s[10:11], 0
	s_mov_b64 s[8:9], s[66:67]
	s_branch .LBB87_155
.LBB87_145:
	s_mov_b64 s[12:13], -1
	s_mov_b64 s[10:11], 0
	s_mov_b64 s[8:9], s[66:67]
	s_branch .LBB87_151
.LBB87_146:
	s_mov_b64 s[12:13], -1
	s_mov_b64 s[10:11], 0
	s_mov_b64 s[8:9], s[66:67]
.LBB87_147:
	s_and_b64 vcc, exec, s[12:13]
	s_cbranch_vccz .LBB87_150
; %bb.148:
	v_mov_b32_e32 v17, 44
	v_cmp_eq_u16_sdwa s[12:13], s19, v17 src0_sel:BYTE_0 src1_sel:DWORD
	s_mov_b64 s[8:9], -1
	s_and_b64 vcc, exec, s[12:13]
	s_cbranch_vccz .LBB87_150
; %bb.149:
	v_mov_b32_e32 v17, 0xff
	v_cndmask_b32_e64 v17, v16, v17, s[0:1]
	s_mov_b64 s[10:11], -1
	s_mov_b64 s[8:9], 0
	global_store_byte v[8:9], v17, off
.LBB87_150:
	s_mov_b64 s[12:13], 0
.LBB87_151:
	s_and_b64 vcc, exec, s[12:13]
	s_cbranch_vccz .LBB87_154
; %bb.152:
	v_mov_b32_e32 v17, 29
	v_cmp_eq_u16_sdwa s[12:13], s19, v17 src0_sel:BYTE_0 src1_sel:DWORD
	s_mov_b64 s[8:9], -1
	s_and_b64 vcc, exec, s[12:13]
	s_cbranch_vccz .LBB87_154
; %bb.153:
	global_store_dwordx2 v[8:9], v[6:7], off
	s_mov_b64 s[10:11], -1
	s_mov_b64 s[8:9], 0
.LBB87_154:
	s_mov_b64 s[12:13], 0
.LBB87_155:
	s_and_b64 vcc, exec, s[12:13]
	s_cbranch_vccz .LBB87_168
; %bb.156:
	v_mov_b32_e32 v17, 27
	v_cmp_lt_i16_sdwa s[12:13], s19, v17 src0_sel:BYTE_0 src1_sel:DWORD
	s_mov_b64 s[10:11], -1
	s_and_b64 vcc, exec, s[12:13]
	s_cbranch_vccnz .LBB87_162
; %bb.157:
	v_cmp_gt_i16_sdwa s[12:13], s19, v17 src0_sel:BYTE_0 src1_sel:DWORD
	s_and_b64 vcc, exec, s[12:13]
	s_cbranch_vccz .LBB87_159
; %bb.158:
	s_mov_b64 s[10:11], 0
	global_store_dword v[8:9], v15, off
.LBB87_159:
	s_andn2_b64 vcc, exec, s[10:11]
	s_cbranch_vccnz .LBB87_161
; %bb.160:
	global_store_short v[8:9], v15, off
.LBB87_161:
	s_mov_b64 s[10:11], 0
.LBB87_162:
	s_andn2_b64 vcc, exec, s[10:11]
	s_cbranch_vccnz .LBB87_167
; %bb.163:
	s_andn2_b64 vcc, exec, s[52:53]
	s_movk_i32 s10, 0x80
	s_cbranch_vccnz .LBB87_166
; %bb.164:
	s_or_b64 s[10:11], s[50:51], s[54:55]
	s_andn2_b64 vcc, exec, s[10:11]
	s_mov_b32 s10, 0
	s_cbranch_vccnz .LBB87_166
; %bb.165:
	s_and_b64 s[10:11], s[50:51], exec
	s_cselect_b32 s10, s92, s93
	s_or_b32 s10, s10, s83
.LBB87_166:
	v_mov_b32_e32 v17, s10
	global_store_byte v[8:9], v17, off
.LBB87_167:
	s_mov_b64 s[10:11], -1
.LBB87_168:
	s_mov_b64 s[12:13], 0
.LBB87_169:
	s_and_b64 vcc, exec, s[12:13]
	s_cbranch_vccz .LBB87_191
; %bb.170:
	v_mov_b32_e32 v17, 22
	v_cmp_gt_i16_sdwa s[14:15], s19, v17 src0_sel:BYTE_0 src1_sel:DWORD
	s_mov_b64 s[12:13], -1
	s_and_b64 vcc, exec, s[14:15]
	s_cbranch_vccz .LBB87_183
; %bb.171:
	v_mov_b32_e32 v17, 24
	v_cmp_lt_i16_sdwa s[12:13], s19, v17 src0_sel:BYTE_0 src1_sel:DWORD
	s_mov_b64 s[10:11], -1
	s_and_b64 vcc, exec, s[12:13]
	s_cbranch_vccnz .LBB87_180
; %bb.172:
	v_cmp_gt_i16_sdwa s[12:13], s19, v17 src0_sel:BYTE_0 src1_sel:DWORD
	s_and_b64 vcc, exec, s[12:13]
	s_cbranch_vccz .LBB87_177
; %bb.173:
	s_andn2_b64 vcc, exec, s[46:47]
	s_movk_i32 s10, 0x80
	s_cbranch_vccnz .LBB87_176
; %bb.174:
	s_or_b64 s[10:11], s[44:45], s[48:49]
	s_andn2_b64 vcc, exec, s[10:11]
	s_mov_b32 s10, 0
	s_cbranch_vccnz .LBB87_176
; %bb.175:
	s_and_b64 s[10:11], s[44:45], exec
	s_cselect_b32 s10, s89, s91
	s_or_b32 s10, s10, s83
.LBB87_176:
	v_mov_b32_e32 v17, s10
	s_mov_b64 s[10:11], 0
	global_store_byte v[8:9], v17, off
.LBB87_177:
	s_and_b64 vcc, exec, s[10:11]
	s_cbranch_vccz .LBB87_179
; %bb.178:
	s_and_b64 s[10:11], s[42:43], exec
	s_cselect_b32 s12, s88, s87
	s_and_b64 s[10:11], s[40:41], exec
	s_cselect_b32 s10, s90, s12
	s_or_b32 s10, s10, s83
	v_mov_b32_e32 v17, s10
	global_store_byte v[8:9], v17, off
.LBB87_179:
	s_mov_b64 s[10:11], 0
.LBB87_180:
	s_andn2_b64 vcc, exec, s[10:11]
	s_cbranch_vccnz .LBB87_182
; %bb.181:
	s_and_b64 s[10:11], s[38:39], exec
	s_cselect_b32 s12, s85, s84
	s_and_b64 s[10:11], s[6:7], exec
	s_cselect_b32 s10, s86, s12
	s_or_b32 s10, s10, s83
	v_mov_b32_e32 v17, s10
	global_store_byte v[8:9], v17, off
.LBB87_182:
	s_mov_b64 s[12:13], 0
	s_mov_b64 s[10:11], -1
.LBB87_183:
	s_andn2_b64 vcc, exec, s[12:13]
	s_cbranch_vccnz .LBB87_191
; %bb.184:
	v_mov_b32_e32 v17, 14
	v_cmp_gt_i16_sdwa s[14:15], s19, v17 src0_sel:BYTE_0 src1_sel:DWORD
	s_mov_b64 s[12:13], -1
	s_and_b64 vcc, exec, s[14:15]
	s_cbranch_vccz .LBB87_188
; %bb.185:
	v_mov_b32_e32 v17, 15
	v_cmp_eq_u16_sdwa s[12:13], s19, v17 src0_sel:BYTE_0 src1_sel:DWORD
	s_mov_b64 s[8:9], -1
	s_and_b64 vcc, exec, s[12:13]
	s_cbranch_vccz .LBB87_187
; %bb.186:
	v_mov_b32_e32 v17, s18
	global_store_short v[8:9], v17, off
	s_mov_b64 s[10:11], -1
	s_mov_b64 s[8:9], 0
.LBB87_187:
	s_mov_b64 s[12:13], 0
.LBB87_188:
	s_and_b64 vcc, exec, s[12:13]
	s_cbranch_vccz .LBB87_191
; %bb.189:
	v_mov_b32_e32 v17, 11
	v_cmp_eq_u16_sdwa s[12:13], s19, v17 src0_sel:BYTE_0 src1_sel:DWORD
	s_mov_b64 s[8:9], -1
	s_and_b64 vcc, exec, s[12:13]
	s_cbranch_vccz .LBB87_191
; %bb.190:
	s_mov_b64 s[10:11], -1
	s_mov_b64 s[8:9], 0
	global_store_byte v[8:9], v14, off
.LBB87_191:
	s_branch .LBB87_141
.LBB87_192:
	v_mov_b32_e32 v17, 5
	v_cmp_lt_i16_sdwa s[12:13], s19, v17 src0_sel:BYTE_0 src1_sel:DWORD
	s_mov_b64 s[10:11], -1
	s_and_b64 vcc, exec, s[12:13]
	s_cbranch_vccnz .LBB87_213
; %bb.193:
	v_mov_b32_e32 v17, 8
	v_cmp_lt_i16_sdwa s[12:13], s19, v17 src0_sel:BYTE_0 src1_sel:DWORD
	s_and_b64 vcc, exec, s[12:13]
	s_cbranch_vccnz .LBB87_203
; %bb.194:
	v_mov_b32_e32 v17, 9
	v_cmp_lt_i16_sdwa s[12:13], s19, v17 src0_sel:BYTE_0 src1_sel:DWORD
	s_and_b64 vcc, exec, s[12:13]
	s_cbranch_vccnz .LBB87_200
; %bb.195:
	v_cmp_gt_i16_sdwa s[12:13], s19, v17 src0_sel:BYTE_0 src1_sel:DWORD
	s_and_b64 vcc, exec, s[12:13]
	s_cbranch_vccz .LBB87_197
; %bb.196:
	s_mov_b64 s[10:11], 0
	global_store_dwordx4 v[8:9], v[0:3], off
.LBB87_197:
	s_andn2_b64 vcc, exec, s[10:11]
	s_cbranch_vccnz .LBB87_199
; %bb.198:
	v_mov_b32_e32 v18, s81
	v_mov_b32_e32 v19, s82
	global_store_dwordx2 v[8:9], v[18:19], off
.LBB87_199:
	s_mov_b64 s[10:11], 0
.LBB87_200:
	s_andn2_b64 vcc, exec, s[10:11]
	s_cbranch_vccnz .LBB87_202
; %bb.201:
	global_store_dword v[8:9], v13, off
.LBB87_202:
	s_mov_b64 s[10:11], 0
.LBB87_203:
	s_andn2_b64 vcc, exec, s[10:11]
	s_cbranch_vccnz .LBB87_212
; %bb.204:
	v_mov_b32_e32 v17, 6
	v_cmp_lt_i16_sdwa s[12:13], s19, v17 src0_sel:BYTE_0 src1_sel:DWORD
	s_mov_b64 s[10:11], -1
	s_and_b64 vcc, exec, s[12:13]
	s_cbranch_vccnz .LBB87_210
; %bb.205:
	v_cmp_gt_i16_sdwa s[12:13], s19, v17 src0_sel:BYTE_0 src1_sel:DWORD
	s_and_b64 vcc, exec, s[12:13]
	s_cbranch_vccz .LBB87_207
; %bb.206:
	s_mov_b64 s[10:11], 0
	global_store_dwordx2 v[8:9], v[0:1], off
.LBB87_207:
	s_andn2_b64 vcc, exec, s[10:11]
	s_cbranch_vccnz .LBB87_209
; %bb.208:
	v_mov_b32_e32 v17, s81
	global_store_dword v[8:9], v17, off
.LBB87_209:
	s_mov_b64 s[10:11], 0
.LBB87_210:
	s_andn2_b64 vcc, exec, s[10:11]
	s_cbranch_vccnz .LBB87_212
; %bb.211:
	global_store_short v[8:9], v11, off
.LBB87_212:
	s_mov_b64 s[10:11], 0
.LBB87_213:
	s_andn2_b64 vcc, exec, s[10:11]
	s_cbranch_vccnz .LBB87_229
; %bb.214:
	v_mov_b32_e32 v17, 2
	v_cmp_lt_i16_sdwa s[12:13], s19, v17 src0_sel:BYTE_0 src1_sel:DWORD
	s_mov_b64 s[10:11], -1
	s_and_b64 vcc, exec, s[12:13]
	s_cbranch_vccnz .LBB87_224
; %bb.215:
	v_mov_b32_e32 v17, 3
	v_cmp_lt_i16_sdwa s[12:13], s19, v17 src0_sel:BYTE_0 src1_sel:DWORD
	s_and_b64 vcc, exec, s[12:13]
	s_cbranch_vccnz .LBB87_221
; %bb.216:
	v_cmp_gt_i16_sdwa s[12:13], s19, v17 src0_sel:BYTE_0 src1_sel:DWORD
	s_and_b64 vcc, exec, s[12:13]
	s_cbranch_vccz .LBB87_218
; %bb.217:
	s_mov_b64 s[10:11], 0
	global_store_dwordx2 v[8:9], v[4:5], off
.LBB87_218:
	s_andn2_b64 vcc, exec, s[10:11]
	s_cbranch_vccnz .LBB87_220
; %bb.219:
	global_store_dword v[8:9], v10, off
.LBB87_220:
	s_mov_b64 s[10:11], 0
.LBB87_221:
	s_andn2_b64 vcc, exec, s[10:11]
	s_cbranch_vccnz .LBB87_223
; %bb.222:
	global_store_short v[8:9], v10, off
.LBB87_223:
	s_mov_b64 s[10:11], 0
.LBB87_224:
	s_andn2_b64 vcc, exec, s[10:11]
	s_cbranch_vccnz .LBB87_229
; %bb.225:
	v_mov_b32_e32 v17, 0
	v_cmp_gt_i16_sdwa s[12:13], s19, v17 src0_sel:BYTE_0 src1_sel:DWORD
	s_mov_b64 s[10:11], -1
	s_and_b64 vcc, exec, s[12:13]
	s_cbranch_vccz .LBB87_227
; %bb.226:
	s_mov_b64 s[10:11], 0
	global_store_byte v[8:9], v10, off
.LBB87_227:
	s_andn2_b64 vcc, exec, s[10:11]
	s_cbranch_vccnz .LBB87_229
; %bb.228:
	global_store_byte v[8:9], v4, off
.LBB87_229:
	s_branch .LBB87_142
.LBB87_230:
	s_mov_b64 s[10:11], 0
                                        ; implicit-def: $vgpr12
.LBB87_231:
	s_andn2_b64 s[12:13], s[66:67], exec
	s_and_b64 s[8:9], s[8:9], exec
	s_or_b64 s[70:71], s[12:13], s[8:9]
	s_orn2_b64 s[8:9], s[10:11], exec
.LBB87_232:
	s_or_b64 exec, exec, s[72:73]
	s_mov_b64 s[10:11], 0
	s_mov_b64 s[12:13], 0
                                        ; implicit-def: $vgpr17
                                        ; implicit-def: $vgpr8_vgpr9
	s_and_saveexec_b64 s[72:73], s[8:9]
	s_cbranch_execz .LBB87_423
; %bb.233:
	v_cmp_gt_i32_e32 vcc, s94, v12
	s_mov_b64 s[10:11], -1
	s_mov_b64 s[76:77], s[70:71]
	s_and_saveexec_b64 s[74:75], vcc
	s_cbranch_execz .LBB87_350
; %bb.234:
	s_andn2_b64 vcc, exec, s[36:37]
	s_cbranch_vccnz .LBB87_240
; %bb.235:
	s_andn2_b64 vcc, exec, s[64:65]
	s_cbranch_vccnz .LBB87_241
; %bb.236:
	s_add_i32 vcc_hi, s95, 1
	s_mov_b32 vcc_lo, 0
	s_cmp_eq_u32 s80, 2
	v_mov_b32_e32 v8, 0
	s_cbranch_scc1 .LBB87_242
; %bb.237:
	s_and_b32 vcc_lo, vcc_hi, 28
	s_mov_b32 s58, 0
	v_mov_b32_e32 v8, 0
	s_mov_b64 s[76:77], s[4:5]
	s_mov_b64 s[78:79], s[62:63]
	v_mov_b32_e32 v17, v12
.LBB87_238:                             ; =>This Inner Loop Header: Depth=1
	s_load_dwordx8 s[8:15], s[76:77], 0x4
	s_load_dwordx4 s[24:27], s[76:77], 0x24
	s_load_dwordx4 s[28:31], s[78:79], 0x0
	s_add_u32 s76, s76, 48
	s_addc_u32 s77, s77, 0
	s_waitcnt lgkmcnt(0)
	v_mul_hi_u32 v9, s9, v17
	v_add_u32_e32 v9, v17, v9
	v_lshrrev_b32_e32 v9, s10, v9
	v_mul_lo_u32 v18, v9, s8
	v_mul_hi_u32 v19, s12, v9
	v_sub_u32_e32 v17, v17, v18
	v_add_u32_e32 v18, v9, v19
	v_lshrrev_b32_e32 v18, s13, v18
	v_mul_lo_u32 v19, v18, s11
	v_mul_hi_u32 v20, s15, v18
	v_sub_u32_e32 v9, v9, v19
	v_add_u32_e32 v19, v18, v20
	v_mul_lo_u32 v17, v17, s28
	v_mul_lo_u32 v9, v9, s29
	v_lshrrev_b32_e32 v19, s24, v19
	v_add3_u32 v8, v17, v8, v9
	v_mul_hi_u32 v17, s26, v19
	v_add_u32_e32 v17, v19, v17
	v_mul_lo_u32 v9, v19, s14
	v_lshrrev_b32_e32 v17, s27, v17
	s_add_i32 s58, s58, 4
	v_sub_u32_e32 v9, v18, v9
	v_mul_lo_u32 v18, v17, s25
	s_add_u32 s78, s78, 16
	v_sub_u32_e32 v18, v19, v18
	s_addc_u32 s79, s79, 0
	v_mul_lo_u32 v9, v9, s30
	v_mul_lo_u32 v18, v18, s31
	s_cmp_eq_u32 vcc_lo, s58
	v_add3_u32 v8, v9, v8, v18
	s_cbranch_scc0 .LBB87_238
; %bb.239:
	s_load_dwordx2 s[58:59], s[4:5], 0x14
	s_branch .LBB87_243
.LBB87_240:
	s_mov_b64 s[8:9], -1
                                        ; implicit-def: $vgpr8
	s_branch .LBB87_247
.LBB87_241:
	v_mov_b32_e32 v8, 0
	s_branch .LBB87_246
.LBB87_242:
	v_mov_b32_e32 v17, v12
.LBB87_243:
	s_and_b32 s12, vcc_hi, 3
	s_cmp_eq_u32 s12, 0
	s_cbranch_scc1 .LBB87_246
; %bb.244:
	s_lshl_b32 s8, vcc_lo, 2
	s_add_u32 s8, s8, s4
	s_addc_u32 s9, s5, 0
	s_add_u32 s8, s8, 0xc4
	s_addc_u32 s9, s9, 0
	s_mul_i32 s10, vcc_lo, 12
	s_add_u32 s10, s4, s10
	s_addc_u32 s11, s5, 0
.LBB87_245:                             ; =>This Inner Loop Header: Depth=1
	s_load_dwordx2 s[14:15], s[10:11], 0x4
	s_load_dword s13, s[10:11], 0xc
	s_load_dword s24, s[8:9], 0x0
	s_add_u32 s10, s10, 12
	s_addc_u32 s11, s11, 0
	s_waitcnt lgkmcnt(0)
	v_mul_hi_u32 v9, s15, v17
	v_add_u32_e32 v9, v17, v9
	v_lshrrev_b32_e32 v9, s13, v9
	s_add_u32 s8, s8, 4
	v_mul_lo_u32 v18, v9, s14
	s_addc_u32 s9, s9, 0
	s_add_i32 s12, s12, -1
	v_sub_u32_e32 v18, v17, v18
	s_cmp_lg_u32 s12, 0
	v_mov_b32_e32 v17, v9
	v_mad_u64_u32 v[8:9], s[14:15], v18, s24, v[8:9]
	s_cbranch_scc1 .LBB87_245
.LBB87_246:
	s_mov_b64 s[8:9], 0
.LBB87_247:
	s_andn2_b64 vcc, exec, s[8:9]
	s_cbranch_vccnz .LBB87_250
; %bb.248:
	v_mul_hi_u32 v8, s21, v12
	v_add_u32_e32 v8, v12, v8
	v_lshrrev_b32_e32 v9, s22, v8
	v_mul_lo_u32 v8, v9, s20
	v_sub_u32_e32 v8, v12, v8
	s_andn2_b64 vcc, exec, s[60:61]
	v_mul_lo_u32 v8, v8, s56
	s_cbranch_vccnz .LBB87_250
; %bb.249:
	s_waitcnt lgkmcnt(0)
	v_mul_hi_u32 v17, s58, v9
	v_add_u32_e32 v17, v9, v17
	v_lshrrev_b32_e32 v17, s59, v17
	v_mul_lo_u32 v17, v17, s23
	v_sub_u32_e32 v9, v9, v17
	v_mad_u64_u32 v[8:9], s[8:9], v9, s57, v[8:9]
.LBB87_250:
	v_mov_b32_e32 v9, s17
	v_add_co_u32_e32 v8, vcc, s16, v8
	v_mov_b32_e32 v17, 11
	v_addc_co_u32_e32 v9, vcc, 0, v9, vcc
	v_cmp_lt_i16_sdwa s[8:9], s19, v17 src0_sel:BYTE_0 src1_sel:DWORD
	s_and_b64 vcc, exec, s[8:9]
	s_cbranch_vccnz .LBB87_257
; %bb.251:
	v_mov_b32_e32 v17, 25
	v_cmp_gt_i16_sdwa s[8:9], s19, v17 src0_sel:BYTE_0 src1_sel:DWORD
	s_and_b64 vcc, exec, s[8:9]
	s_cbranch_vccz .LBB87_258
; %bb.252:
	v_mov_b32_e32 v17, 28
	v_cmp_gt_i16_sdwa s[8:9], s19, v17 src0_sel:BYTE_0 src1_sel:DWORD
	s_and_b64 vcc, exec, s[8:9]
	s_cbranch_vccz .LBB87_259
	;; [unrolled: 5-line block ×4, first 2 shown]
; %bb.255:
	v_mov_b32_e32 v17, 46
	v_cmp_eq_u16_sdwa s[10:11], s19, v17 src0_sel:BYTE_0 src1_sel:DWORD
	s_mov_b64 s[12:13], 0
	s_mov_b64 s[8:9], -1
	s_and_b64 vcc, exec, s[10:11]
	s_mov_b64 s[10:11], 0
	s_cbranch_vccz .LBB87_262
; %bb.256:
	v_mov_b32_e32 v17, s18
	global_store_dword v[8:9], v17, off
	s_mov_b64 s[10:11], -1
	s_mov_b64 s[8:9], 0
	s_branch .LBB87_262
.LBB87_257:
	s_mov_b64 s[12:13], -1
	s_mov_b64 s[10:11], 0
	s_mov_b64 s[8:9], s[70:71]
	s_branch .LBB87_307
.LBB87_258:
	s_mov_b64 s[12:13], -1
	s_mov_b64 s[10:11], 0
	s_mov_b64 s[8:9], s[70:71]
	s_branch .LBB87_284
.LBB87_259:
	s_mov_b64 s[12:13], -1
	s_mov_b64 s[10:11], 0
	s_mov_b64 s[8:9], s[70:71]
	s_branch .LBB87_270
.LBB87_260:
	s_mov_b64 s[12:13], -1
	s_mov_b64 s[10:11], 0
	s_mov_b64 s[8:9], s[70:71]
	s_branch .LBB87_266
.LBB87_261:
	s_mov_b64 s[12:13], -1
	s_mov_b64 s[10:11], 0
	s_mov_b64 s[8:9], s[70:71]
.LBB87_262:
	s_and_b64 vcc, exec, s[12:13]
	s_cbranch_vccz .LBB87_265
; %bb.263:
	v_mov_b32_e32 v17, 44
	v_cmp_eq_u16_sdwa s[12:13], s19, v17 src0_sel:BYTE_0 src1_sel:DWORD
	s_mov_b64 s[8:9], -1
	s_and_b64 vcc, exec, s[12:13]
	s_cbranch_vccz .LBB87_265
; %bb.264:
	v_mov_b32_e32 v17, 0xff
	v_cndmask_b32_e64 v17, v16, v17, s[0:1]
	s_mov_b64 s[10:11], -1
	s_mov_b64 s[8:9], 0
	global_store_byte v[8:9], v17, off
.LBB87_265:
	s_mov_b64 s[12:13], 0
.LBB87_266:
	s_and_b64 vcc, exec, s[12:13]
	s_cbranch_vccz .LBB87_269
; %bb.267:
	v_mov_b32_e32 v17, 29
	v_cmp_eq_u16_sdwa s[12:13], s19, v17 src0_sel:BYTE_0 src1_sel:DWORD
	s_mov_b64 s[8:9], -1
	s_and_b64 vcc, exec, s[12:13]
	s_cbranch_vccz .LBB87_269
; %bb.268:
	global_store_dwordx2 v[8:9], v[6:7], off
	s_mov_b64 s[10:11], -1
	s_mov_b64 s[8:9], 0
.LBB87_269:
	s_mov_b64 s[12:13], 0
.LBB87_270:
	s_and_b64 vcc, exec, s[12:13]
	s_cbranch_vccz .LBB87_283
; %bb.271:
	v_mov_b32_e32 v17, 27
	v_cmp_lt_i16_sdwa s[12:13], s19, v17 src0_sel:BYTE_0 src1_sel:DWORD
	s_mov_b64 s[10:11], -1
	s_and_b64 vcc, exec, s[12:13]
	s_cbranch_vccnz .LBB87_277
; %bb.272:
	v_cmp_gt_i16_sdwa s[12:13], s19, v17 src0_sel:BYTE_0 src1_sel:DWORD
	s_and_b64 vcc, exec, s[12:13]
	s_cbranch_vccz .LBB87_274
; %bb.273:
	s_mov_b64 s[10:11], 0
	global_store_dword v[8:9], v15, off
.LBB87_274:
	s_andn2_b64 vcc, exec, s[10:11]
	s_cbranch_vccnz .LBB87_276
; %bb.275:
	global_store_short v[8:9], v15, off
.LBB87_276:
	s_mov_b64 s[10:11], 0
.LBB87_277:
	s_andn2_b64 vcc, exec, s[10:11]
	s_cbranch_vccnz .LBB87_282
; %bb.278:
	s_andn2_b64 vcc, exec, s[52:53]
	s_movk_i32 s10, 0x80
	s_cbranch_vccnz .LBB87_281
; %bb.279:
	s_or_b64 s[10:11], s[50:51], s[54:55]
	s_andn2_b64 vcc, exec, s[10:11]
	s_mov_b32 s10, 0
	s_cbranch_vccnz .LBB87_281
; %bb.280:
	s_and_b64 s[10:11], s[50:51], exec
	s_cselect_b32 s10, s92, s93
	s_or_b32 s10, s10, s83
.LBB87_281:
	v_mov_b32_e32 v17, s10
	global_store_byte v[8:9], v17, off
.LBB87_282:
	s_mov_b64 s[10:11], -1
.LBB87_283:
	s_mov_b64 s[12:13], 0
.LBB87_284:
	s_and_b64 vcc, exec, s[12:13]
	s_cbranch_vccz .LBB87_306
; %bb.285:
	v_mov_b32_e32 v17, 22
	v_cmp_gt_i16_sdwa s[14:15], s19, v17 src0_sel:BYTE_0 src1_sel:DWORD
	s_mov_b64 s[12:13], -1
	s_and_b64 vcc, exec, s[14:15]
	s_cbranch_vccz .LBB87_298
; %bb.286:
	v_mov_b32_e32 v17, 24
	v_cmp_lt_i16_sdwa s[12:13], s19, v17 src0_sel:BYTE_0 src1_sel:DWORD
	s_mov_b64 s[10:11], -1
	s_and_b64 vcc, exec, s[12:13]
	s_cbranch_vccnz .LBB87_295
; %bb.287:
	v_cmp_gt_i16_sdwa s[12:13], s19, v17 src0_sel:BYTE_0 src1_sel:DWORD
	s_and_b64 vcc, exec, s[12:13]
	s_cbranch_vccz .LBB87_292
; %bb.288:
	s_andn2_b64 vcc, exec, s[46:47]
	s_movk_i32 s10, 0x80
	s_cbranch_vccnz .LBB87_291
; %bb.289:
	s_or_b64 s[10:11], s[44:45], s[48:49]
	s_andn2_b64 vcc, exec, s[10:11]
	s_mov_b32 s10, 0
	s_cbranch_vccnz .LBB87_291
; %bb.290:
	s_and_b64 s[10:11], s[44:45], exec
	s_cselect_b32 s10, s89, s91
	s_or_b32 s10, s10, s83
.LBB87_291:
	v_mov_b32_e32 v17, s10
	s_mov_b64 s[10:11], 0
	global_store_byte v[8:9], v17, off
.LBB87_292:
	s_and_b64 vcc, exec, s[10:11]
	s_cbranch_vccz .LBB87_294
; %bb.293:
	s_and_b64 s[10:11], s[42:43], exec
	s_cselect_b32 s12, s88, s87
	s_and_b64 s[10:11], s[40:41], exec
	s_cselect_b32 s10, s90, s12
	s_or_b32 s10, s10, s83
	v_mov_b32_e32 v17, s10
	global_store_byte v[8:9], v17, off
.LBB87_294:
	s_mov_b64 s[10:11], 0
.LBB87_295:
	s_andn2_b64 vcc, exec, s[10:11]
	s_cbranch_vccnz .LBB87_297
; %bb.296:
	s_and_b64 s[10:11], s[38:39], exec
	s_cselect_b32 s12, s85, s84
	s_and_b64 s[10:11], s[6:7], exec
	s_cselect_b32 s10, s86, s12
	s_or_b32 s10, s10, s83
	v_mov_b32_e32 v17, s10
	global_store_byte v[8:9], v17, off
.LBB87_297:
	s_mov_b64 s[12:13], 0
	s_mov_b64 s[10:11], -1
.LBB87_298:
	s_andn2_b64 vcc, exec, s[12:13]
	s_cbranch_vccnz .LBB87_306
; %bb.299:
	v_mov_b32_e32 v17, 14
	v_cmp_gt_i16_sdwa s[14:15], s19, v17 src0_sel:BYTE_0 src1_sel:DWORD
	s_mov_b64 s[12:13], -1
	s_and_b64 vcc, exec, s[14:15]
	s_cbranch_vccz .LBB87_303
; %bb.300:
	v_mov_b32_e32 v17, 15
	v_cmp_eq_u16_sdwa s[12:13], s19, v17 src0_sel:BYTE_0 src1_sel:DWORD
	s_mov_b64 s[8:9], -1
	s_and_b64 vcc, exec, s[12:13]
	s_cbranch_vccz .LBB87_302
; %bb.301:
	v_mov_b32_e32 v17, s18
	global_store_short v[8:9], v17, off
	s_mov_b64 s[10:11], -1
	s_mov_b64 s[8:9], 0
.LBB87_302:
	s_mov_b64 s[12:13], 0
.LBB87_303:
	s_and_b64 vcc, exec, s[12:13]
	s_cbranch_vccz .LBB87_306
; %bb.304:
	v_mov_b32_e32 v17, 11
	v_cmp_eq_u16_sdwa s[12:13], s19, v17 src0_sel:BYTE_0 src1_sel:DWORD
	s_mov_b64 s[8:9], -1
	s_and_b64 vcc, exec, s[12:13]
	s_cbranch_vccz .LBB87_306
; %bb.305:
	s_mov_b64 s[10:11], -1
	s_mov_b64 s[8:9], 0
	global_store_byte v[8:9], v14, off
.LBB87_306:
	s_mov_b64 s[12:13], 0
.LBB87_307:
	s_and_b64 vcc, exec, s[12:13]
	s_cbranch_vccz .LBB87_346
; %bb.308:
	v_mov_b32_e32 v17, 5
	v_cmp_lt_i16_sdwa s[12:13], s19, v17 src0_sel:BYTE_0 src1_sel:DWORD
	s_mov_b64 s[10:11], -1
	s_and_b64 vcc, exec, s[12:13]
	s_cbranch_vccnz .LBB87_329
; %bb.309:
	v_mov_b32_e32 v17, 8
	v_cmp_lt_i16_sdwa s[12:13], s19, v17 src0_sel:BYTE_0 src1_sel:DWORD
	s_and_b64 vcc, exec, s[12:13]
	s_cbranch_vccnz .LBB87_319
; %bb.310:
	v_mov_b32_e32 v17, 9
	v_cmp_lt_i16_sdwa s[12:13], s19, v17 src0_sel:BYTE_0 src1_sel:DWORD
	s_and_b64 vcc, exec, s[12:13]
	s_cbranch_vccnz .LBB87_316
; %bb.311:
	v_cmp_gt_i16_sdwa s[12:13], s19, v17 src0_sel:BYTE_0 src1_sel:DWORD
	s_and_b64 vcc, exec, s[12:13]
	s_cbranch_vccz .LBB87_313
; %bb.312:
	s_mov_b64 s[10:11], 0
	global_store_dwordx4 v[8:9], v[0:3], off
.LBB87_313:
	s_andn2_b64 vcc, exec, s[10:11]
	s_cbranch_vccnz .LBB87_315
; %bb.314:
	v_mov_b32_e32 v18, s81
	v_mov_b32_e32 v19, s82
	global_store_dwordx2 v[8:9], v[18:19], off
.LBB87_315:
	s_mov_b64 s[10:11], 0
.LBB87_316:
	s_andn2_b64 vcc, exec, s[10:11]
	s_cbranch_vccnz .LBB87_318
; %bb.317:
	global_store_dword v[8:9], v13, off
.LBB87_318:
	s_mov_b64 s[10:11], 0
.LBB87_319:
	s_andn2_b64 vcc, exec, s[10:11]
	s_cbranch_vccnz .LBB87_328
; %bb.320:
	v_mov_b32_e32 v17, 6
	v_cmp_lt_i16_sdwa s[12:13], s19, v17 src0_sel:BYTE_0 src1_sel:DWORD
	s_mov_b64 s[10:11], -1
	s_and_b64 vcc, exec, s[12:13]
	s_cbranch_vccnz .LBB87_326
; %bb.321:
	v_cmp_gt_i16_sdwa s[12:13], s19, v17 src0_sel:BYTE_0 src1_sel:DWORD
	s_and_b64 vcc, exec, s[12:13]
	s_cbranch_vccz .LBB87_323
; %bb.322:
	s_mov_b64 s[10:11], 0
	global_store_dwordx2 v[8:9], v[0:1], off
.LBB87_323:
	s_andn2_b64 vcc, exec, s[10:11]
	s_cbranch_vccnz .LBB87_325
; %bb.324:
	v_mov_b32_e32 v17, s81
	global_store_dword v[8:9], v17, off
.LBB87_325:
	s_mov_b64 s[10:11], 0
.LBB87_326:
	s_andn2_b64 vcc, exec, s[10:11]
	s_cbranch_vccnz .LBB87_328
; %bb.327:
	global_store_short v[8:9], v11, off
.LBB87_328:
	s_mov_b64 s[10:11], 0
.LBB87_329:
	s_andn2_b64 vcc, exec, s[10:11]
	s_cbranch_vccnz .LBB87_345
; %bb.330:
	v_mov_b32_e32 v17, 2
	v_cmp_lt_i16_sdwa s[12:13], s19, v17 src0_sel:BYTE_0 src1_sel:DWORD
	s_mov_b64 s[10:11], -1
	s_and_b64 vcc, exec, s[12:13]
	s_cbranch_vccnz .LBB87_340
; %bb.331:
	v_mov_b32_e32 v17, 3
	v_cmp_lt_i16_sdwa s[12:13], s19, v17 src0_sel:BYTE_0 src1_sel:DWORD
	s_and_b64 vcc, exec, s[12:13]
	s_cbranch_vccnz .LBB87_337
; %bb.332:
	v_cmp_gt_i16_sdwa s[12:13], s19, v17 src0_sel:BYTE_0 src1_sel:DWORD
	s_and_b64 vcc, exec, s[12:13]
	s_cbranch_vccz .LBB87_334
; %bb.333:
	s_mov_b64 s[10:11], 0
	global_store_dwordx2 v[8:9], v[4:5], off
.LBB87_334:
	s_andn2_b64 vcc, exec, s[10:11]
	s_cbranch_vccnz .LBB87_336
; %bb.335:
	global_store_dword v[8:9], v10, off
.LBB87_336:
	s_mov_b64 s[10:11], 0
.LBB87_337:
	s_andn2_b64 vcc, exec, s[10:11]
	s_cbranch_vccnz .LBB87_339
; %bb.338:
	global_store_short v[8:9], v10, off
.LBB87_339:
	s_mov_b64 s[10:11], 0
.LBB87_340:
	s_andn2_b64 vcc, exec, s[10:11]
	s_cbranch_vccnz .LBB87_345
; %bb.341:
	v_mov_b32_e32 v17, 0
	v_cmp_gt_i16_sdwa s[12:13], s19, v17 src0_sel:BYTE_0 src1_sel:DWORD
	s_mov_b64 s[10:11], -1
	s_and_b64 vcc, exec, s[12:13]
	s_cbranch_vccz .LBB87_343
; %bb.342:
	s_mov_b64 s[10:11], 0
	global_store_byte v[8:9], v10, off
.LBB87_343:
	s_andn2_b64 vcc, exec, s[10:11]
	s_cbranch_vccnz .LBB87_345
; %bb.344:
	global_store_byte v[8:9], v4, off
.LBB87_345:
	s_mov_b64 s[10:11], -1
.LBB87_346:
	s_andn2_b64 vcc, exec, s[10:11]
	s_cbranch_vccnz .LBB87_348
; %bb.347:
	v_add_u32_e32 v12, 0x80, v12
	s_mov_b64 s[10:11], -1
	s_branch .LBB87_349
.LBB87_348:
	s_mov_b64 s[10:11], 0
                                        ; implicit-def: $vgpr12
.LBB87_349:
	s_andn2_b64 s[12:13], s[70:71], exec
	s_and_b64 s[8:9], s[8:9], exec
	s_or_b64 s[76:77], s[12:13], s[8:9]
	s_orn2_b64 s[10:11], s[10:11], exec
.LBB87_350:
	s_or_b64 exec, exec, s[74:75]
	s_mov_b64 s[8:9], 0
	s_mov_b64 s[14:15], 0
                                        ; implicit-def: $vgpr17
                                        ; implicit-def: $vgpr8_vgpr9
	s_and_saveexec_b64 s[74:75], s[10:11]
	s_cbranch_execz .LBB87_422
; %bb.351:
	v_cmp_gt_i32_e32 vcc, s94, v12
	s_mov_b64 s[10:11], 0
	s_mov_b64 s[12:13], s[76:77]
                                        ; implicit-def: $vgpr17
                                        ; implicit-def: $vgpr8_vgpr9
	s_and_saveexec_b64 s[78:79], vcc
	s_cbranch_execz .LBB87_421
; %bb.352:
	s_andn2_b64 vcc, exec, s[36:37]
	s_cbranch_vccnz .LBB87_358
; %bb.353:
	s_andn2_b64 vcc, exec, s[64:65]
	s_cbranch_vccnz .LBB87_359
; %bb.354:
	s_add_i32 s95, s95, 1
	s_mov_b32 s94, 0
	s_cmp_eq_u32 s80, 2
	v_mov_b32_e32 v8, 0
	s_cbranch_scc1 .LBB87_360
; %bb.355:
	s_waitcnt lgkmcnt(0)
	s_mov_b64 vcc, s[58:59]
	s_and_b32 s94, s95, 28
	s_mov_b32 s58, 0
	v_mov_b32_e32 v8, 0
	s_mov_b64 s[64:65], s[4:5]
	v_mov_b32_e32 v17, v12
.LBB87_356:                             ; =>This Inner Loop Header: Depth=1
	s_load_dwordx8 s[8:15], s[64:65], 0x4
	s_load_dwordx4 s[24:27], s[64:65], 0x24
	s_load_dwordx4 s[28:31], s[62:63], 0x0
	s_add_u32 s64, s64, 48
	s_addc_u32 s65, s65, 0
	s_waitcnt lgkmcnt(0)
	v_mul_hi_u32 v9, s9, v17
	v_add_u32_e32 v9, v17, v9
	v_lshrrev_b32_e32 v9, s10, v9
	v_mul_lo_u32 v18, v9, s8
	v_mul_hi_u32 v19, s12, v9
	v_sub_u32_e32 v17, v17, v18
	v_add_u32_e32 v18, v9, v19
	v_lshrrev_b32_e32 v18, s13, v18
	v_mul_lo_u32 v19, v18, s11
	v_mul_hi_u32 v20, s15, v18
	v_sub_u32_e32 v9, v9, v19
	v_add_u32_e32 v19, v18, v20
	v_mul_lo_u32 v17, v17, s28
	v_mul_lo_u32 v9, v9, s29
	v_lshrrev_b32_e32 v19, s24, v19
	v_add3_u32 v8, v17, v8, v9
	v_mul_hi_u32 v17, s26, v19
	v_add_u32_e32 v17, v19, v17
	v_mul_lo_u32 v9, v19, s14
	v_lshrrev_b32_e32 v17, s27, v17
	s_add_i32 s58, s58, 4
	v_sub_u32_e32 v9, v18, v9
	v_mul_lo_u32 v18, v17, s25
	s_add_u32 s62, s62, 16
	v_sub_u32_e32 v18, v19, v18
	s_addc_u32 s63, s63, 0
	v_mul_lo_u32 v9, v9, s30
	v_mul_lo_u32 v18, v18, s31
	s_cmp_eq_u32 s94, s58
	v_add3_u32 v8, v9, v8, v18
	s_cbranch_scc0 .LBB87_356
; %bb.357:
	s_mov_b64 s[58:59], vcc
	s_branch .LBB87_361
.LBB87_358:
	s_mov_b64 s[8:9], -1
                                        ; implicit-def: $vgpr8
	s_branch .LBB87_365
.LBB87_359:
	v_mov_b32_e32 v8, 0
	s_branch .LBB87_364
.LBB87_360:
	v_mov_b32_e32 v17, v12
.LBB87_361:
	s_and_b32 s12, s95, 3
	s_cmp_eq_u32 s12, 0
	s_cbranch_scc1 .LBB87_364
; %bb.362:
	s_lshl_b32 s8, s94, 2
	s_add_u32 s8, s8, s4
	s_addc_u32 s9, s5, 0
	s_add_u32 s8, s8, 0xc4
	s_addc_u32 s9, s9, 0
	s_mul_i32 s10, s94, 12
	s_add_u32 s10, s4, s10
	s_addc_u32 s11, s5, 0
.LBB87_363:                             ; =>This Inner Loop Header: Depth=1
	s_load_dwordx2 s[14:15], s[10:11], 0x4
	s_load_dword s13, s[10:11], 0xc
	s_load_dword s24, s[8:9], 0x0
	s_add_u32 s10, s10, 12
	s_addc_u32 s11, s11, 0
	s_waitcnt lgkmcnt(0)
	v_mul_hi_u32 v9, s15, v17
	v_add_u32_e32 v9, v17, v9
	v_lshrrev_b32_e32 v9, s13, v9
	s_add_u32 s8, s8, 4
	v_mul_lo_u32 v18, v9, s14
	s_addc_u32 s9, s9, 0
	s_add_i32 s12, s12, -1
	v_sub_u32_e32 v18, v17, v18
	s_cmp_lg_u32 s12, 0
	v_mov_b32_e32 v17, v9
	v_mad_u64_u32 v[8:9], s[14:15], v18, s24, v[8:9]
	s_cbranch_scc1 .LBB87_363
.LBB87_364:
	s_mov_b64 s[8:9], 0
.LBB87_365:
	s_andn2_b64 vcc, exec, s[8:9]
	s_cbranch_vccnz .LBB87_368
; %bb.366:
	v_mul_hi_u32 v8, s21, v12
	v_add_u32_e32 v8, v12, v8
	v_lshrrev_b32_e32 v9, s22, v8
	v_mul_lo_u32 v8, v9, s20
	v_sub_u32_e32 v8, v12, v8
	s_andn2_b64 vcc, exec, s[60:61]
	v_mul_lo_u32 v8, v8, s56
	s_cbranch_vccnz .LBB87_368
; %bb.367:
	s_waitcnt lgkmcnt(0)
	v_mul_hi_u32 v12, s58, v9
	v_add_u32_e32 v12, v9, v12
	v_lshrrev_b32_e32 v12, s59, v12
	v_mul_lo_u32 v12, v12, s23
	v_sub_u32_e32 v9, v9, v12
	v_mad_u64_u32 v[8:9], s[8:9], v9, s57, v[8:9]
.LBB87_368:
	v_mov_b32_e32 v9, s17
	v_add_co_u32_e32 v8, vcc, s16, v8
	v_mov_b32_e32 v12, 0xff
	v_addc_co_u32_e32 v9, vcc, 0, v9, vcc
	v_and_b32_e32 v17, s19, v12
	v_cmp_gt_i16_e32 vcc, 11, v17
	s_cbranch_vccnz .LBB87_418
; %bb.369:
	v_cmp_lt_i16_e32 vcc, 25, v17
	s_mov_b64 s[10:11], -1
	s_mov_b64 s[8:9], s[76:77]
	s_cbranch_vccz .LBB87_397
; %bb.370:
	v_cmp_lt_i16_e32 vcc, 28, v17
	s_mov_b64 s[8:9], s[76:77]
	s_cbranch_vccz .LBB87_384
; %bb.371:
	v_cmp_lt_i16_e32 vcc, 43, v17
	;; [unrolled: 4-line block ×3, first 2 shown]
	s_mov_b64 s[8:9], s[76:77]
	s_cbranch_vccz .LBB87_376
; %bb.373:
	v_cmp_eq_u16_e32 vcc, 46, v17
	s_mov_b64 s[8:9], -1
	s_cbranch_vccz .LBB87_375
; %bb.374:
	v_mov_b32_e32 v12, s18
	global_store_dword v[8:9], v12, off
	s_mov_b64 s[8:9], 0
.LBB87_375:
	s_mov_b64 s[10:11], 0
.LBB87_376:
	s_and_b64 vcc, exec, s[10:11]
	s_cbranch_vccz .LBB87_379
; %bb.377:
	v_cmp_eq_u16_e32 vcc, 44, v17
	s_mov_b64 s[8:9], -1
	s_cbranch_vccz .LBB87_379
; %bb.378:
	v_mov_b32_e32 v12, 0xff
	v_cndmask_b32_e64 v12, v16, v12, s[0:1]
	global_store_byte v[8:9], v12, off
	s_mov_b64 s[8:9], 0
.LBB87_379:
	s_mov_b64 s[10:11], 0
.LBB87_380:
	s_and_b64 vcc, exec, s[10:11]
	s_cbranch_vccz .LBB87_383
; %bb.381:
	v_cmp_eq_u16_e32 vcc, 29, v17
	s_mov_b64 s[8:9], -1
	s_cbranch_vccz .LBB87_383
; %bb.382:
	global_store_dwordx2 v[8:9], v[6:7], off
	s_mov_b64 s[8:9], 0
.LBB87_383:
	s_mov_b64 s[10:11], 0
.LBB87_384:
	s_and_b64 vcc, exec, s[10:11]
	s_cbranch_vccz .LBB87_396
; %bb.385:
	v_cmp_gt_i16_e32 vcc, 27, v17
	s_mov_b64 s[0:1], -1
	s_cbranch_vccnz .LBB87_391
; %bb.386:
	v_cmp_lt_i16_e32 vcc, 27, v17
	s_cbranch_vccz .LBB87_388
; %bb.387:
	s_mov_b64 s[0:1], 0
	global_store_dword v[8:9], v15, off
.LBB87_388:
	s_andn2_b64 vcc, exec, s[0:1]
	s_cbranch_vccnz .LBB87_390
; %bb.389:
	global_store_short v[8:9], v15, off
.LBB87_390:
	s_mov_b64 s[0:1], 0
.LBB87_391:
	s_andn2_b64 vcc, exec, s[0:1]
	s_cbranch_vccnz .LBB87_396
; %bb.392:
	s_andn2_b64 vcc, exec, s[52:53]
	s_movk_i32 s0, 0x80
	s_cbranch_vccnz .LBB87_395
; %bb.393:
	s_or_b64 s[0:1], s[50:51], s[54:55]
	s_andn2_b64 vcc, exec, s[0:1]
	s_mov_b32 s0, 0
	s_cbranch_vccnz .LBB87_395
; %bb.394:
	s_and_b64 s[0:1], s[50:51], exec
	s_cselect_b32 s0, s92, s93
	s_or_b32 s0, s0, s83
.LBB87_395:
	v_mov_b32_e32 v6, s0
	global_store_byte v[8:9], v6, off
.LBB87_396:
	s_mov_b64 s[10:11], 0
.LBB87_397:
	s_mov_b64 s[0:1], 0
	s_and_b64 vcc, exec, s[10:11]
	s_cbranch_vccz .LBB87_419
; %bb.398:
	v_cmp_lt_i16_e32 vcc, 22, v17
	s_mov_b64 s[10:11], -1
	s_cbranch_vccz .LBB87_411
; %bb.399:
	v_cmp_gt_i16_e32 vcc, 24, v17
	s_cbranch_vccnz .LBB87_408
; %bb.400:
	v_cmp_lt_i16_e32 vcc, 24, v17
	s_cbranch_vccz .LBB87_405
; %bb.401:
	s_andn2_b64 vcc, exec, s[46:47]
	s_movk_i32 s10, 0x80
	s_cbranch_vccnz .LBB87_404
; %bb.402:
	s_or_b64 s[10:11], s[44:45], s[48:49]
	s_andn2_b64 vcc, exec, s[10:11]
	s_mov_b32 s10, 0
	s_cbranch_vccnz .LBB87_404
; %bb.403:
	s_and_b64 s[10:11], s[44:45], exec
	s_cselect_b32 s10, s89, s91
	s_or_b32 s10, s10, s83
.LBB87_404:
	v_mov_b32_e32 v6, s10
	s_mov_b64 s[10:11], 0
	global_store_byte v[8:9], v6, off
.LBB87_405:
	s_and_b64 vcc, exec, s[10:11]
	s_cbranch_vccz .LBB87_407
; %bb.406:
	s_and_b64 s[10:11], s[42:43], exec
	s_cselect_b32 s12, s88, s87
	s_and_b64 s[10:11], s[40:41], exec
	s_cselect_b32 s10, s90, s12
	s_or_b32 s10, s10, s83
	v_mov_b32_e32 v6, s10
	global_store_byte v[8:9], v6, off
.LBB87_407:
	s_mov_b64 s[10:11], 0
.LBB87_408:
	s_andn2_b64 vcc, exec, s[10:11]
	s_cbranch_vccnz .LBB87_410
; %bb.409:
	s_and_b64 s[10:11], s[38:39], exec
	s_cselect_b32 s10, s85, s84
	s_and_b64 s[6:7], s[6:7], exec
	s_cselect_b32 s6, s86, s10
	s_or_b32 s6, s6, s83
	v_mov_b32_e32 v6, s6
	global_store_byte v[8:9], v6, off
.LBB87_410:
	s_mov_b64 s[10:11], 0
.LBB87_411:
	s_andn2_b64 vcc, exec, s[10:11]
	s_mov_b64 s[6:7], 0
	s_cbranch_vccnz .LBB87_420
; %bb.412:
	v_cmp_lt_i16_e32 vcc, 14, v17
	s_mov_b64 s[10:11], -1
	s_cbranch_vccz .LBB87_416
; %bb.413:
	v_cmp_eq_u16_e32 vcc, 15, v17
	s_mov_b64 s[8:9], -1
	s_cbranch_vccz .LBB87_415
; %bb.414:
	v_mov_b32_e32 v6, s18
	global_store_short v[8:9], v6, off
	s_mov_b64 s[8:9], 0
.LBB87_415:
	s_mov_b64 s[10:11], 0
.LBB87_416:
	s_and_b64 vcc, exec, s[10:11]
	s_cbranch_vccz .LBB87_420
; %bb.417:
	v_cmp_ne_u16_e32 vcc, 11, v17
	s_andn2_b64 s[8:9], s[8:9], exec
	s_and_b64 s[10:11], vcc, exec
	s_mov_b64 s[6:7], -1
	s_or_b64 s[8:9], s[8:9], s[10:11]
	s_branch .LBB87_420
.LBB87_418:
	s_mov_b64 s[6:7], 0
	s_mov_b64 s[0:1], -1
	s_mov_b64 s[8:9], s[76:77]
	s_branch .LBB87_420
.LBB87_419:
	s_mov_b64 s[6:7], 0
.LBB87_420:
	s_and_b64 s[14:15], s[0:1], exec
	s_and_b64 s[10:11], s[6:7], exec
	s_andn2_b64 s[0:1], s[76:77], exec
	s_and_b64 s[6:7], s[8:9], exec
	s_or_b64 s[12:13], s[0:1], s[6:7]
.LBB87_421:
	s_or_b64 exec, exec, s[78:79]
	s_andn2_b64 s[0:1], s[76:77], exec
	s_and_b64 s[6:7], s[12:13], exec
	s_and_b64 s[14:15], s[14:15], exec
	;; [unrolled: 1-line block ×3, first 2 shown]
	s_or_b64 s[76:77], s[0:1], s[6:7]
.LBB87_422:
	s_or_b64 exec, exec, s[74:75]
	s_andn2_b64 s[0:1], s[70:71], exec
	s_and_b64 s[6:7], s[76:77], exec
	s_and_b64 s[12:13], s[14:15], exec
	;; [unrolled: 1-line block ×3, first 2 shown]
	s_or_b64 s[70:71], s[0:1], s[6:7]
.LBB87_423:
	s_or_b64 exec, exec, s[72:73]
	s_andn2_b64 s[0:1], s[66:67], exec
	s_and_b64 s[6:7], s[70:71], exec
	s_and_b64 s[8:9], s[12:13], exec
	;; [unrolled: 1-line block ×3, first 2 shown]
	s_or_b64 s[66:67], s[0:1], s[6:7]
	s_or_b64 exec, exec, s[68:69]
	s_mov_b64 s[0:1], 0
	s_and_saveexec_b64 s[6:7], s[66:67]
	s_cbranch_execz .LBB87_122
.LBB87_424:
	s_mov_b64 s[0:1], exec
	s_andn2_b64 s[72:73], s[72:73], exec
	s_trap 2
	s_or_b64 exec, exec, s[6:7]
	s_and_saveexec_b64 s[6:7], s[72:73]
	s_xor_b64 s[6:7], exec, s[6:7]
	s_cbranch_execnz .LBB87_123
.LBB87_425:
	s_or_b64 exec, exec, s[6:7]
	s_and_saveexec_b64 s[6:7], s[8:9]
	s_xor_b64 s[6:7], exec, s[6:7]
	s_cbranch_execz .LBB87_463
.LBB87_426:
	v_cmp_gt_i16_e32 vcc, 5, v17
	s_mov_b64 s[8:9], -1
	s_cbranch_vccnz .LBB87_447
; %bb.427:
	v_cmp_gt_i16_e32 vcc, 8, v17
	s_cbranch_vccnz .LBB87_437
; %bb.428:
	v_cmp_gt_i16_e32 vcc, 9, v17
	s_cbranch_vccnz .LBB87_434
; %bb.429:
	v_cmp_lt_i16_e32 vcc, 9, v17
	s_cbranch_vccz .LBB87_431
; %bb.430:
	s_mov_b64 s[8:9], 0
	global_store_dwordx4 v[8:9], v[0:3], off
.LBB87_431:
	s_andn2_b64 vcc, exec, s[8:9]
	s_cbranch_vccnz .LBB87_433
; %bb.432:
	v_mov_b32_e32 v2, s81
	v_mov_b32_e32 v3, s82
	global_store_dwordx2 v[8:9], v[2:3], off
.LBB87_433:
	s_mov_b64 s[8:9], 0
.LBB87_434:
	s_andn2_b64 vcc, exec, s[8:9]
	s_cbranch_vccnz .LBB87_436
; %bb.435:
	global_store_dword v[8:9], v13, off
.LBB87_436:
	s_mov_b64 s[8:9], 0
.LBB87_437:
	s_andn2_b64 vcc, exec, s[8:9]
	s_cbranch_vccnz .LBB87_446
; %bb.438:
	v_cmp_gt_i16_e32 vcc, 6, v17
	s_mov_b64 s[8:9], -1
	s_cbranch_vccnz .LBB87_444
; %bb.439:
	v_cmp_lt_i16_e32 vcc, 6, v17
	s_cbranch_vccz .LBB87_441
; %bb.440:
	s_mov_b64 s[8:9], 0
	global_store_dwordx2 v[8:9], v[0:1], off
.LBB87_441:
	s_andn2_b64 vcc, exec, s[8:9]
	s_cbranch_vccnz .LBB87_443
; %bb.442:
	v_mov_b32_e32 v0, s81
	global_store_dword v[8:9], v0, off
.LBB87_443:
	s_mov_b64 s[8:9], 0
.LBB87_444:
	s_andn2_b64 vcc, exec, s[8:9]
	s_cbranch_vccnz .LBB87_446
; %bb.445:
	global_store_short v[8:9], v11, off
.LBB87_446:
	s_mov_b64 s[8:9], 0
.LBB87_447:
	s_andn2_b64 vcc, exec, s[8:9]
	s_cbranch_vccnz .LBB87_463
; %bb.448:
	v_cmp_gt_i16_e32 vcc, 2, v17
	s_mov_b64 s[8:9], -1
	s_cbranch_vccnz .LBB87_458
; %bb.449:
	v_cmp_gt_i16_e32 vcc, 3, v17
	s_cbranch_vccnz .LBB87_455
; %bb.450:
	v_cmp_lt_i16_e32 vcc, 3, v17
	s_cbranch_vccz .LBB87_452
; %bb.451:
	s_mov_b64 s[8:9], 0
	global_store_dwordx2 v[8:9], v[4:5], off
.LBB87_452:
	s_andn2_b64 vcc, exec, s[8:9]
	s_cbranch_vccnz .LBB87_454
; %bb.453:
	global_store_dword v[8:9], v10, off
.LBB87_454:
	s_mov_b64 s[8:9], 0
.LBB87_455:
	s_andn2_b64 vcc, exec, s[8:9]
	s_cbranch_vccnz .LBB87_457
; %bb.456:
	global_store_short v[8:9], v10, off
.LBB87_457:
	s_mov_b64 s[8:9], 0
.LBB87_458:
	s_andn2_b64 vcc, exec, s[8:9]
	s_cbranch_vccnz .LBB87_463
; %bb.459:
	v_cmp_lt_i16_e32 vcc, 0, v17
	s_mov_b64 s[8:9], -1
	s_cbranch_vccz .LBB87_461
; %bb.460:
	s_mov_b64 s[8:9], 0
	global_store_byte v[8:9], v10, off
.LBB87_461:
	s_andn2_b64 vcc, exec, s[8:9]
	s_cbranch_vccnz .LBB87_463
; %bb.462:
	global_store_byte v[8:9], v4, off
.LBB87_463:
	s_or_b64 exec, exec, s[6:7]
	s_and_b64 s[6:7], s[0:1], exec
                                        ; implicit-def: $vgpr8
                                        ; implicit-def: $vgpr12
.LBB87_464:
	s_or_saveexec_b64 s[24:25], s[2:3]
	s_mov_b64 s[0:1], 0
                                        ; implicit-def: $sgpr3
                                        ; implicit-def: $vgpr0_vgpr1
                                        ; implicit-def: $sgpr2
	s_xor_b64 exec, exec, s[24:25]
	s_cbranch_execz .LBB87_954
; %bb.465:
	v_cndmask_b32_e64 v0, 0, 1, s[36:37]
	v_cmp_ne_u32_e64 s[0:1], 1, v0
	s_andn2_b64 vcc, exec, s[36:37]
	s_cbranch_vccnz .LBB87_471
; %bb.466:
	s_mov_b32 s28, 0
	s_cmp_eq_u32 s33, 0
	v_mov_b32_e32 v6, 0
	s_cbranch_scc1 .LBB87_475
; %bb.467:
	s_min_u32 s29, s80, 15
	s_add_i32 s29, s29, 1
	s_cmp_eq_u32 s80, 2
	v_mov_b32_e32 v6, 0
	s_cbranch_scc1 .LBB87_472
; %bb.468:
	s_add_u32 s2, s4, 0xc4
	s_addc_u32 s3, s5, 0
	s_and_b32 s28, s29, 28
	s_mov_b32 s30, 0
	v_mov_b32_e32 v6, 0
	s_mov_b64 s[26:27], s[4:5]
	v_mov_b32_e32 v0, v12
.LBB87_469:                             ; =>This Inner Loop Header: Depth=1
	s_load_dwordx8 s[8:15], s[26:27], 0x4
	s_load_dwordx4 s[16:19], s[26:27], 0x24
	s_load_dwordx4 s[20:23], s[2:3], 0x0
	s_add_u32 s26, s26, 48
	s_addc_u32 s27, s27, 0
	s_waitcnt lgkmcnt(0)
	v_mul_hi_u32 v1, s9, v0
	v_add_u32_e32 v1, v0, v1
	v_lshrrev_b32_e32 v1, s10, v1
	v_mul_lo_u32 v2, v1, s8
	v_mul_hi_u32 v3, s12, v1
	v_sub_u32_e32 v0, v0, v2
	v_add_u32_e32 v2, v1, v3
	v_lshrrev_b32_e32 v2, s13, v2
	v_mul_lo_u32 v3, v2, s11
	v_mul_hi_u32 v4, s15, v2
	v_sub_u32_e32 v1, v1, v3
	v_add_u32_e32 v3, v2, v4
	v_mul_lo_u32 v0, v0, s20
	v_mul_lo_u32 v1, v1, s21
	v_lshrrev_b32_e32 v3, s16, v3
	v_add3_u32 v1, v0, v6, v1
	v_mul_lo_u32 v0, v3, s14
	v_mul_hi_u32 v4, s18, v3
	v_sub_u32_e32 v0, v2, v0
	v_add_u32_e32 v2, v3, v4
	v_mul_lo_u32 v4, v0, s22
	v_lshrrev_b32_e32 v0, s19, v2
	s_add_i32 s30, s30, 4
	v_mul_lo_u32 v2, v0, s17
	s_add_u32 s2, s2, 16
	v_sub_u32_e32 v2, v3, v2
	s_addc_u32 s3, s3, 0
	v_mul_lo_u32 v2, v2, s23
	s_cmp_lg_u32 s28, s30
	v_add3_u32 v6, v4, v1, v2
	s_cbranch_scc1 .LBB87_469
; %bb.470:
	s_and_b32 s10, s29, 3
	s_cmp_eq_u32 s10, 0
	s_cbranch_scc0 .LBB87_473
	s_branch .LBB87_475
.LBB87_471:
                                        ; implicit-def: $vgpr6
	s_branch .LBB87_476
.LBB87_472:
	v_mov_b32_e32 v0, v12
	s_and_b32 s10, s29, 3
	s_cmp_eq_u32 s10, 0
	s_cbranch_scc1 .LBB87_475
.LBB87_473:
	s_lshl_b32 s2, s28, 2
	s_add_u32 s2, s2, s4
	s_addc_u32 s3, 0, s5
	s_add_u32 s2, s2, 0xc4
	s_addc_u32 s3, s3, 0
	s_mul_i32 s8, s28, 12
	s_add_u32 s8, s4, s8
	s_addc_u32 s9, 0, s5
.LBB87_474:                             ; =>This Inner Loop Header: Depth=1
	s_load_dwordx2 s[12:13], s[8:9], 0x4
	s_load_dword s11, s[8:9], 0xc
	s_load_dword s14, s[2:3], 0x0
	s_add_u32 s8, s8, 12
	s_addc_u32 s9, s9, 0
	s_waitcnt lgkmcnt(0)
	v_mul_hi_u32 v1, s13, v0
	v_add_u32_e32 v1, v0, v1
	v_lshrrev_b32_e32 v1, s11, v1
	s_add_u32 s2, s2, 4
	v_mul_lo_u32 v2, v1, s12
	s_addc_u32 s3, s3, 0
	s_add_i32 s10, s10, -1
	v_sub_u32_e32 v2, v0, v2
	s_cmp_lg_u32 s10, 0
	v_mov_b32_e32 v0, v1
	v_mad_u64_u32 v[6:7], s[12:13], v2, s14, v[6:7]
	s_cbranch_scc1 .LBB87_474
.LBB87_475:
	s_cbranch_execnz .LBB87_478
.LBB87_476:
	s_load_dwordx4 s[8:11], s[4:5], 0x4
	s_load_dword s2, s[4:5], 0xc4
	s_cmp_lt_u32 s33, 2
	s_waitcnt lgkmcnt(0)
	v_mul_hi_u32 v0, s9, v12
	v_add_u32_e32 v0, v12, v0
	v_lshrrev_b32_e32 v0, s10, v0
	v_mul_lo_u32 v1, v0, s8
	v_sub_u32_e32 v1, v12, v1
	v_mul_lo_u32 v6, v1, s2
	s_cbranch_scc1 .LBB87_478
; %bb.477:
	s_load_dwordx4 s[8:11], s[4:5], 0x10
	s_load_dword s2, s[4:5], 0xc8
	s_waitcnt lgkmcnt(0)
	v_mul_hi_u32 v1, s9, v0
	v_add_u32_e32 v1, v0, v1
	v_lshrrev_b32_e32 v1, s10, v1
	v_mul_lo_u32 v1, v1, s8
	v_sub_u32_e32 v0, v0, v1
	v_mad_u64_u32 v[6:7], s[2:3], v0, s2, v[6:7]
.LBB87_478:
	s_and_b64 vcc, exec, s[0:1]
	v_add_u32_e32 v0, 0x80, v12
	s_cbranch_vccnz .LBB87_484
; %bb.479:
	s_mov_b32 s28, 0
	s_cmp_eq_u32 s33, 0
	v_mov_b32_e32 v4, 0
	s_cbranch_scc1 .LBB87_488
; %bb.480:
	s_min_u32 s29, s80, 15
	s_add_i32 s29, s29, 1
	s_cmp_eq_u32 s80, 2
	v_mov_b32_e32 v4, 0
	s_cbranch_scc1 .LBB87_485
; %bb.481:
	s_add_u32 s2, s4, 0xc4
	s_addc_u32 s3, s5, 0
	s_and_b32 s28, s29, 28
	s_mov_b32 s30, 0
	v_mov_b32_e32 v4, 0
	s_mov_b64 s[26:27], s[4:5]
	v_mov_b32_e32 v1, v0
.LBB87_482:                             ; =>This Inner Loop Header: Depth=1
	s_load_dwordx8 s[8:15], s[26:27], 0x4
	s_load_dwordx4 s[16:19], s[26:27], 0x24
	s_load_dwordx4 s[20:23], s[2:3], 0x0
	s_add_u32 s26, s26, 48
	s_addc_u32 s27, s27, 0
	s_waitcnt lgkmcnt(0)
	v_mul_hi_u32 v2, s9, v1
	v_add_u32_e32 v2, v1, v2
	v_lshrrev_b32_e32 v2, s10, v2
	v_mul_lo_u32 v3, v2, s8
	v_mul_hi_u32 v5, s12, v2
	v_sub_u32_e32 v1, v1, v3
	v_add_u32_e32 v3, v2, v5
	v_lshrrev_b32_e32 v3, s13, v3
	v_mul_lo_u32 v5, v3, s11
	v_mul_hi_u32 v7, s15, v3
	v_sub_u32_e32 v2, v2, v5
	v_add_u32_e32 v5, v3, v7
	v_mul_lo_u32 v1, v1, s20
	v_mul_lo_u32 v2, v2, s21
	v_lshrrev_b32_e32 v5, s16, v5
	v_add3_u32 v2, v1, v4, v2
	v_mul_lo_u32 v1, v5, s14
	v_mul_hi_u32 v4, s18, v5
	v_sub_u32_e32 v1, v3, v1
	v_add_u32_e32 v3, v5, v4
	v_mul_lo_u32 v4, v1, s22
	v_lshrrev_b32_e32 v1, s19, v3
	s_add_i32 s30, s30, 4
	v_mul_lo_u32 v3, v1, s17
	s_add_u32 s2, s2, 16
	v_sub_u32_e32 v3, v5, v3
	s_addc_u32 s3, s3, 0
	v_mul_lo_u32 v3, v3, s23
	s_cmp_lg_u32 s28, s30
	v_add3_u32 v4, v4, v2, v3
	s_cbranch_scc1 .LBB87_482
; %bb.483:
	s_and_b32 s10, s29, 3
	s_cmp_eq_u32 s10, 0
	s_cbranch_scc0 .LBB87_486
	s_branch .LBB87_488
.LBB87_484:
                                        ; implicit-def: $vgpr4
	s_branch .LBB87_489
.LBB87_485:
	v_mov_b32_e32 v1, v0
	s_and_b32 s10, s29, 3
	s_cmp_eq_u32 s10, 0
	s_cbranch_scc1 .LBB87_488
.LBB87_486:
	s_lshl_b32 s2, s28, 2
	s_add_u32 s2, s2, s4
	s_addc_u32 s3, 0, s5
	s_add_u32 s2, s2, 0xc4
	s_addc_u32 s3, s3, 0
	s_mul_i32 s8, s28, 12
	s_add_u32 s8, s4, s8
	s_addc_u32 s9, 0, s5
.LBB87_487:                             ; =>This Inner Loop Header: Depth=1
	s_load_dwordx2 s[12:13], s[8:9], 0x4
	s_load_dword s11, s[8:9], 0xc
	s_load_dword s14, s[2:3], 0x0
	s_add_u32 s8, s8, 12
	s_addc_u32 s9, s9, 0
	s_waitcnt lgkmcnt(0)
	v_mul_hi_u32 v2, s13, v1
	v_add_u32_e32 v2, v1, v2
	v_lshrrev_b32_e32 v2, s11, v2
	s_add_u32 s2, s2, 4
	v_mul_lo_u32 v3, v2, s12
	s_addc_u32 s3, s3, 0
	s_add_i32 s10, s10, -1
	v_sub_u32_e32 v3, v1, v3
	s_cmp_lg_u32 s10, 0
	v_mov_b32_e32 v1, v2
	v_mad_u64_u32 v[4:5], s[12:13], v3, s14, v[4:5]
	s_cbranch_scc1 .LBB87_487
.LBB87_488:
	s_cbranch_execnz .LBB87_491
.LBB87_489:
	s_load_dwordx4 s[8:11], s[4:5], 0x4
	s_load_dword s2, s[4:5], 0xc4
	s_cmp_lt_u32 s33, 2
	s_waitcnt lgkmcnt(0)
	v_mul_hi_u32 v1, s9, v0
	v_add_u32_e32 v1, v0, v1
	v_lshrrev_b32_e32 v1, s10, v1
	v_mul_lo_u32 v2, v1, s8
	v_sub_u32_e32 v0, v0, v2
	v_mul_lo_u32 v4, v0, s2
	s_cbranch_scc1 .LBB87_491
; %bb.490:
	s_load_dwordx4 s[8:11], s[4:5], 0x10
	s_load_dword s2, s[4:5], 0xc8
	s_waitcnt lgkmcnt(0)
	v_mul_hi_u32 v0, s9, v1
	v_add_u32_e32 v0, v1, v0
	v_lshrrev_b32_e32 v0, s10, v0
	v_mul_lo_u32 v0, v0, s8
	v_sub_u32_e32 v0, v1, v0
	v_mad_u64_u32 v[4:5], s[2:3], v0, s2, v[4:5]
.LBB87_491:
	s_and_b64 vcc, exec, s[0:1]
	v_add_u32_e32 v0, 0x100, v12
	s_cbranch_vccnz .LBB87_497
; %bb.492:
	s_mov_b32 s28, 0
	s_cmp_eq_u32 s33, 0
	v_mov_b32_e32 v2, 0
	s_cbranch_scc1 .LBB87_501
; %bb.493:
	s_min_u32 s29, s80, 15
	s_add_i32 s29, s29, 1
	s_cmp_eq_u32 s80, 2
	v_mov_b32_e32 v2, 0
	s_cbranch_scc1 .LBB87_498
; %bb.494:
	s_add_u32 s2, s4, 0xc4
	s_addc_u32 s3, s5, 0
	s_and_b32 s28, s29, 28
	s_mov_b32 s30, 0
	v_mov_b32_e32 v2, 0
	s_mov_b64 s[26:27], s[4:5]
	v_mov_b32_e32 v1, v0
.LBB87_495:                             ; =>This Inner Loop Header: Depth=1
	s_load_dwordx8 s[8:15], s[26:27], 0x4
	s_load_dwordx4 s[16:19], s[26:27], 0x24
	s_load_dwordx4 s[20:23], s[2:3], 0x0
	s_add_u32 s26, s26, 48
	s_addc_u32 s27, s27, 0
	s_waitcnt lgkmcnt(0)
	v_mul_hi_u32 v3, s9, v1
	v_add_u32_e32 v3, v1, v3
	v_lshrrev_b32_e32 v3, s10, v3
	v_mul_lo_u32 v5, v3, s8
	v_mul_hi_u32 v7, s12, v3
	v_sub_u32_e32 v1, v1, v5
	v_add_u32_e32 v5, v3, v7
	v_lshrrev_b32_e32 v5, s13, v5
	v_mul_lo_u32 v7, v5, s11
	v_mul_hi_u32 v9, s15, v5
	v_sub_u32_e32 v3, v3, v7
	v_add_u32_e32 v7, v5, v9
	v_mul_lo_u32 v1, v1, s20
	v_mul_lo_u32 v3, v3, s21
	v_lshrrev_b32_e32 v7, s16, v7
	v_add3_u32 v2, v1, v2, v3
	v_mul_lo_u32 v1, v7, s14
	v_mul_hi_u32 v3, s18, v7
	v_sub_u32_e32 v1, v5, v1
	v_add_u32_e32 v3, v7, v3
	v_mul_lo_u32 v5, v1, s22
	v_lshrrev_b32_e32 v1, s19, v3
	s_add_i32 s30, s30, 4
	v_mul_lo_u32 v3, v1, s17
	s_add_u32 s2, s2, 16
	v_sub_u32_e32 v3, v7, v3
	s_addc_u32 s3, s3, 0
	v_mul_lo_u32 v3, v3, s23
	s_cmp_lg_u32 s28, s30
	v_add3_u32 v2, v5, v2, v3
	s_cbranch_scc1 .LBB87_495
; %bb.496:
	s_and_b32 s10, s29, 3
	s_cmp_eq_u32 s10, 0
	s_cbranch_scc0 .LBB87_499
	s_branch .LBB87_501
.LBB87_497:
                                        ; implicit-def: $vgpr2
	s_branch .LBB87_502
.LBB87_498:
	v_mov_b32_e32 v1, v0
	s_and_b32 s10, s29, 3
	s_cmp_eq_u32 s10, 0
	s_cbranch_scc1 .LBB87_501
.LBB87_499:
	s_lshl_b32 s2, s28, 2
	s_add_u32 s2, s2, s4
	s_addc_u32 s3, 0, s5
	s_add_u32 s2, s2, 0xc4
	s_addc_u32 s3, s3, 0
	s_mul_i32 s8, s28, 12
	s_add_u32 s8, s4, s8
	s_addc_u32 s9, 0, s5
.LBB87_500:                             ; =>This Inner Loop Header: Depth=1
	s_load_dwordx2 s[12:13], s[8:9], 0x4
	s_load_dword s11, s[8:9], 0xc
	s_load_dword s14, s[2:3], 0x0
	s_add_u32 s8, s8, 12
	s_addc_u32 s9, s9, 0
	s_waitcnt lgkmcnt(0)
	v_mul_hi_u32 v3, s13, v1
	v_add_u32_e32 v3, v1, v3
	v_lshrrev_b32_e32 v3, s11, v3
	s_add_u32 s2, s2, 4
	v_mul_lo_u32 v5, v3, s12
	s_addc_u32 s3, s3, 0
	s_add_i32 s10, s10, -1
	v_sub_u32_e32 v5, v1, v5
	s_cmp_lg_u32 s10, 0
	v_mov_b32_e32 v1, v3
	v_mad_u64_u32 v[2:3], s[12:13], v5, s14, v[2:3]
	s_cbranch_scc1 .LBB87_500
.LBB87_501:
	s_cbranch_execnz .LBB87_504
.LBB87_502:
	s_load_dwordx4 s[8:11], s[4:5], 0x4
	s_load_dword s2, s[4:5], 0xc4
	s_cmp_lt_u32 s33, 2
	s_waitcnt lgkmcnt(0)
	v_mul_hi_u32 v1, s9, v0
	v_add_u32_e32 v1, v0, v1
	v_lshrrev_b32_e32 v1, s10, v1
	v_mul_lo_u32 v2, v1, s8
	v_sub_u32_e32 v0, v0, v2
	v_mul_lo_u32 v2, v0, s2
	s_cbranch_scc1 .LBB87_504
; %bb.503:
	s_load_dwordx4 s[8:11], s[4:5], 0x10
	s_load_dword s2, s[4:5], 0xc8
	s_waitcnt lgkmcnt(0)
	v_mul_hi_u32 v0, s9, v1
	v_add_u32_e32 v0, v1, v0
	v_lshrrev_b32_e32 v0, s10, v0
	v_mul_lo_u32 v0, v0, s8
	v_sub_u32_e32 v0, v1, v0
	v_mad_u64_u32 v[2:3], s[2:3], v0, s2, v[2:3]
.LBB87_504:
	s_and_b64 vcc, exec, s[0:1]
	s_cbranch_vccnz .LBB87_510
; %bb.505:
	s_mov_b32 s26, 0
	s_cmp_eq_u32 s33, 0
	v_mov_b32_e32 v0, 0
	s_cbranch_scc1 .LBB87_514
; %bb.506:
	s_min_u32 s27, s80, 15
	s_add_i32 s27, s27, 1
	s_cmp_eq_u32 s80, 2
	v_mov_b32_e32 v0, 0
	s_cbranch_scc1 .LBB87_511
; %bb.507:
	s_add_u32 s20, s4, 0xc4
	s_addc_u32 s21, s5, 0
	s_and_b32 s26, s27, 28
	s_mov_b32 s28, 0
	v_mov_b32_e32 v0, 0
	s_mov_b64 s[22:23], s[4:5]
	v_mov_b32_e32 v3, v8
.LBB87_508:                             ; =>This Inner Loop Header: Depth=1
	s_load_dwordx8 s[8:15], s[22:23], 0x4
	s_load_dwordx4 s[0:3], s[22:23], 0x24
	s_load_dwordx4 s[16:19], s[20:21], 0x0
	s_add_u32 s22, s22, 48
	s_addc_u32 s23, s23, 0
	s_waitcnt lgkmcnt(0)
	v_mul_hi_u32 v1, s9, v3
	v_add_u32_e32 v1, v3, v1
	v_lshrrev_b32_e32 v1, s10, v1
	v_mul_lo_u32 v5, v1, s8
	v_mul_hi_u32 v7, s12, v1
	v_sub_u32_e32 v3, v3, v5
	v_add_u32_e32 v5, v1, v7
	v_lshrrev_b32_e32 v5, s13, v5
	v_mul_lo_u32 v7, v5, s11
	v_mul_hi_u32 v9, s15, v5
	v_sub_u32_e32 v1, v1, v7
	v_add_u32_e32 v7, v5, v9
	v_mul_lo_u32 v3, v3, s16
	v_mul_lo_u32 v1, v1, s17
	v_lshrrev_b32_e32 v7, s0, v7
	v_add3_u32 v0, v3, v0, v1
	v_mul_hi_u32 v3, s2, v7
	v_add_u32_e32 v3, v7, v3
	v_mul_lo_u32 v1, v7, s14
	v_lshrrev_b32_e32 v3, s3, v3
	s_add_i32 s28, s28, 4
	v_sub_u32_e32 v1, v5, v1
	v_mul_lo_u32 v5, v3, s1
	s_add_u32 s20, s20, 16
	v_sub_u32_e32 v5, v7, v5
	s_addc_u32 s21, s21, 0
	v_mul_lo_u32 v1, v1, s18
	v_mul_lo_u32 v5, v5, s19
	s_cmp_lg_u32 s26, s28
	v_add3_u32 v0, v1, v0, v5
	s_cbranch_scc1 .LBB87_508
; %bb.509:
	s_and_b32 s8, s27, 3
	s_cmp_eq_u32 s8, 0
	s_cbranch_scc0 .LBB87_512
	s_branch .LBB87_514
.LBB87_510:
                                        ; implicit-def: $vgpr0
	s_branch .LBB87_515
.LBB87_511:
	v_mov_b32_e32 v3, v8
	s_and_b32 s8, s27, 3
	s_cmp_eq_u32 s8, 0
	s_cbranch_scc1 .LBB87_514
.LBB87_512:
	s_lshl_b32 s0, s26, 2
	s_add_u32 s0, s0, s4
	s_addc_u32 s1, 0, s5
	s_add_u32 s0, s0, 0xc4
	s_addc_u32 s1, s1, 0
	s_mul_i32 s2, s26, 12
	s_add_u32 s2, s4, s2
	s_addc_u32 s3, 0, s5
.LBB87_513:                             ; =>This Inner Loop Header: Depth=1
	s_load_dwordx2 s[10:11], s[2:3], 0x4
	s_load_dword s9, s[2:3], 0xc
	s_load_dword s12, s[0:1], 0x0
	s_add_u32 s2, s2, 12
	s_addc_u32 s3, s3, 0
	s_waitcnt lgkmcnt(0)
	v_mul_hi_u32 v1, s11, v3
	v_add_u32_e32 v1, v3, v1
	v_lshrrev_b32_e32 v1, s9, v1
	s_add_u32 s0, s0, 4
	v_mul_lo_u32 v5, v1, s10
	s_addc_u32 s1, s1, 0
	s_add_i32 s8, s8, -1
	v_sub_u32_e32 v5, v3, v5
	s_cmp_lg_u32 s8, 0
	v_mov_b32_e32 v3, v1
	v_mad_u64_u32 v[0:1], s[10:11], v5, s12, v[0:1]
	s_cbranch_scc1 .LBB87_513
.LBB87_514:
	s_cbranch_execnz .LBB87_517
.LBB87_515:
	s_load_dwordx4 s[0:3], s[4:5], 0x4
	s_waitcnt lgkmcnt(0)
	s_load_dword s3, s[4:5], 0xc4
	s_cmp_lt_u32 s33, 2
	v_mul_hi_u32 v0, s1, v8
	v_add_u32_e32 v0, v8, v0
	v_lshrrev_b32_e32 v1, s2, v0
	v_mul_lo_u32 v0, v1, s0
	v_sub_u32_e32 v0, v8, v0
	s_waitcnt lgkmcnt(0)
	v_mul_lo_u32 v0, v0, s3
	s_cbranch_scc1 .LBB87_517
; %bb.516:
	s_load_dwordx4 s[0:3], s[4:5], 0x10
	s_waitcnt lgkmcnt(0)
	s_load_dword s3, s[4:5], 0xc8
	v_mul_hi_u32 v3, s1, v1
	v_add_u32_e32 v3, v1, v3
	v_lshrrev_b32_e32 v3, s2, v3
	v_mul_lo_u32 v3, v3, s0
	v_sub_u32_e32 v1, v1, v3
	s_waitcnt lgkmcnt(0)
	v_mad_u64_u32 v[0:1], s[0:1], v1, s3, v[0:1]
.LBB87_517:
	s_load_dwordx4 s[0:3], s[4:5], 0x108
	s_waitcnt lgkmcnt(0)
	v_mov_b32_e32 v1, s1
	s_and_b32 s3, s3, 0xff
	v_add_co_u32_e32 v6, vcc, s0, v6
	v_addc_co_u32_e32 v7, vcc, 0, v1, vcc
	v_cmp_lt_i16_e64 s[8:9], s3, 11
	s_and_b64 vcc, exec, s[8:9]
	s_cbranch_vccnz .LBB87_524
; %bb.518:
	v_cmp_gt_i16_e64 s[4:5], s3, 25
	s_mov_b64 s[14:15], -1
	s_mov_b64 s[10:11], 0
	s_and_b64 vcc, exec, s[4:5]
	s_mov_b64 s[12:13], 0
	s_mov_b64 s[4:5], 0
	s_cbranch_vccz .LBB87_557
; %bb.519:
	v_cmp_gt_i16_e64 s[4:5], s3, 28
	s_and_b64 vcc, exec, s[4:5]
	s_cbranch_vccz .LBB87_526
; %bb.520:
	v_cmp_gt_i16_e64 s[4:5], s3, 43
	s_and_b64 vcc, exec, s[4:5]
	;; [unrolled: 4-line block ×3, first 2 shown]
	s_cbranch_vccz .LBB87_528
; %bb.522:
	v_cmp_eq_u16_e64 s[12:13], s3, 46
	s_mov_b64 s[4:5], -1
	s_mov_b64 s[14:15], 0
	s_and_b64 vcc, exec, s[12:13]
	s_mov_b64 s[12:13], 0
	s_cbranch_vccz .LBB87_529
; %bb.523:
	v_mov_b32_e32 v1, s2
	global_store_dword v[6:7], v1, off
	s_mov_b64 s[4:5], 0
	s_mov_b64 s[12:13], -1
	s_branch .LBB87_529
.LBB87_524:
	s_mov_b64 s[12:13], 0
	s_mov_b64 s[4:5], s[6:7]
	s_cbranch_execnz .LBB87_607
.LBB87_525:
	s_andn2_b64 vcc, exec, s[12:13]
	s_cbranch_vccz .LBB87_645
	s_branch .LBB87_952
.LBB87_526:
	s_mov_b64 s[4:5], 0
	s_branch .LBB87_538
.LBB87_527:
	s_mov_b64 s[4:5], 0
	s_and_b64 vcc, exec, s[14:15]
	s_cbranch_vccnz .LBB87_535
	s_branch .LBB87_537
.LBB87_528:
	s_mov_b64 s[4:5], 0
.LBB87_529:
	s_and_b64 vcc, exec, s[14:15]
	s_cbranch_vccz .LBB87_534
; %bb.530:
	v_cmp_eq_u16_e64 s[14:15], s3, 44
	s_mov_b64 s[4:5], -1
	s_and_b64 vcc, exec, s[14:15]
	s_cbranch_vccz .LBB87_534
; %bb.531:
	s_lshl_b32 s4, s2, 16
	s_bfe_u32 s5, s4, 0x80017
	s_cmpk_eq_i32 s5, 0xff
	v_mov_b32_e32 v1, 0xff
	s_cbranch_scc1 .LBB87_533
; %bb.532:
	s_bfe_u32 s14, s2, 0x90007
	s_bitcmp1_b32 s2, 6
	s_cselect_b64 s[12:13], -1, 0
	s_and_b32 s4, s4, 0x3f0000
	s_or_b32 s4, s5, s4
	s_cmp_lg_u32 s4, 0
	s_cselect_b64 s[4:5], -1, 0
	s_and_b64 s[4:5], s[12:13], s[4:5]
	v_cndmask_b32_e64 v1, 0, 1, s[4:5]
	v_add_u32_e32 v1, s14, v1
.LBB87_533:
	s_mov_b64 s[4:5], 0
	s_mov_b64 s[12:13], -1
	global_store_byte v[6:7], v1, off
.LBB87_534:
	s_branch .LBB87_537
.LBB87_535:
	v_cmp_eq_u16_e64 s[14:15], s3, 29
	s_mov_b64 s[4:5], -1
	s_and_b64 vcc, exec, s[14:15]
	s_cbranch_vccz .LBB87_537
; %bb.536:
	s_lshl_b32 s4, s2, 16
	v_trunc_f32_e32 v1, s4
	v_mul_f32_e32 v3, 0x2f800000, v1
	v_floor_f32_e32 v3, v3
	v_fmac_f32_e32 v1, 0xcf800000, v3
	v_cvt_u32_f32_e32 v9, v3
	v_cvt_u32_f32_e32 v8, v1
	s_mov_b64 s[4:5], 0
	s_mov_b64 s[12:13], -1
	s_mov_b64 s[14:15], 0
	global_store_dwordx2 v[6:7], v[8:9], off
	s_branch .LBB87_538
.LBB87_537:
	s_mov_b64 s[14:15], 0
.LBB87_538:
	s_and_b64 vcc, exec, s[14:15]
	s_cbranch_vccz .LBB87_556
; %bb.539:
	v_cmp_lt_i16_e64 s[14:15], s3, 27
	s_mov_b64 s[12:13], -1
	s_and_b64 vcc, exec, s[14:15]
	s_cbranch_vccnz .LBB87_545
; %bb.540:
	v_cmp_gt_i16_e64 s[14:15], s3, 27
	s_and_b64 vcc, exec, s[14:15]
	s_cbranch_vccz .LBB87_542
; %bb.541:
	s_lshl_b32 s12, s2, 16
	v_cvt_u32_f32_e32 v1, s12
	s_mov_b64 s[12:13], 0
	global_store_dword v[6:7], v1, off
.LBB87_542:
	s_andn2_b64 vcc, exec, s[12:13]
	s_cbranch_vccnz .LBB87_544
; %bb.543:
	s_lshl_b32 s12, s2, 16
	v_cvt_u32_f32_e32 v1, s12
	global_store_short v[6:7], v1, off
.LBB87_544:
	s_mov_b64 s[12:13], 0
.LBB87_545:
	s_andn2_b64 vcc, exec, s[12:13]
	s_cbranch_vccnz .LBB87_555
; %bb.546:
	s_lshl_b32 s16, s2, 16
	s_and_b32 s12, s16, 0x7fffffff
	s_cmp_gt_u32 s12, 0x437fffff
	v_mov_b32_e32 v3, 0x80
	s_cbranch_scc1 .LBB87_554
; %bb.547:
	s_cmp_gt_u32 s12, 0x3bffffff
	s_cbranch_scc0 .LBB87_549
; %bb.548:
	s_bfe_u32 s12, s16, 0x10014
	s_add_i32 s12, s16, s12
	s_add_i32 s12, s12, 0x487ffff
	s_lshr_b32 s17, s12, 20
	s_mov_b64 s[14:15], 0
	s_mov_b64 s[12:13], -1
	s_branch .LBB87_550
.LBB87_549:
	s_mov_b64 s[14:15], -1
	s_mov_b64 s[12:13], 0
                                        ; implicit-def: $sgpr17
.LBB87_550:
	s_andn2_b64 vcc, exec, s[14:15]
	v_mov_b32_e32 v1, s17
                                        ; implicit-def: $sgpr14
	s_cbranch_vccnz .LBB87_552
; %bb.551:
	v_mov_b32_e32 v1, 0x46000000
	v_add_f32_e64 v1, |s16|, v1
	v_and_b32_e32 v1, 0xff, v1
	s_mov_b32 s14, 0
	v_cmp_ne_u32_e64 s[12:13], 0, v1
.LBB87_552:
	s_andn2_b64 vcc, exec, s[12:13]
	v_mov_b32_e32 v3, s14
	s_cbranch_vccnz .LBB87_554
; %bb.553:
	s_lshr_b32 s12, s16, 24
	s_and_b32 s12, s12, 0x80
	v_or_b32_e32 v3, s12, v1
.LBB87_554:
	global_store_byte v[6:7], v3, off
.LBB87_555:
	s_mov_b64 s[12:13], -1
.LBB87_556:
	s_mov_b64 s[14:15], 0
.LBB87_557:
	s_and_b64 vcc, exec, s[14:15]
	s_cbranch_vccz .LBB87_603
; %bb.558:
	v_cmp_gt_i16_e64 s[14:15], s3, 22
	s_mov_b64 s[10:11], -1
	s_and_b64 vcc, exec, s[14:15]
	s_cbranch_vccz .LBB87_596
; %bb.559:
	v_cmp_lt_i16_e64 s[12:13], s3, 24
	s_and_b64 vcc, exec, s[12:13]
	s_cbranch_vccnz .LBB87_583
; %bb.560:
	v_cmp_gt_i16_e64 s[12:13], s3, 24
	s_and_b64 vcc, exec, s[12:13]
	s_cbranch_vccz .LBB87_570
; %bb.561:
	s_lshl_b32 s14, s2, 16
	s_and_b32 s10, s14, 0x7fffffff
	s_cmp_gt_u32 s10, 0x477fffff
	v_mov_b32_e32 v3, 0x80
	s_cbranch_scc1 .LBB87_569
; %bb.562:
	s_cmp_gt_u32 s10, 0x37ffffff
	s_cbranch_scc0 .LBB87_564
; %bb.563:
	s_bfe_u32 s10, s14, 0x10015
	s_add_i32 s10, s14, s10
	s_add_i32 s10, s10, 0x88fffff
	s_lshr_b32 s15, s10, 21
	s_mov_b64 s[12:13], 0
	s_mov_b64 s[10:11], -1
	s_branch .LBB87_565
.LBB87_564:
	s_mov_b64 s[12:13], -1
	s_mov_b64 s[10:11], 0
                                        ; implicit-def: $sgpr15
.LBB87_565:
	s_andn2_b64 vcc, exec, s[12:13]
	v_mov_b32_e32 v1, s15
                                        ; implicit-def: $sgpr12
	s_cbranch_vccnz .LBB87_567
; %bb.566:
	v_mov_b32_e32 v1, 0x42800000
	v_add_f32_e64 v1, |s14|, v1
	v_and_b32_e32 v1, 0xff, v1
	s_mov_b32 s12, 0
	v_cmp_ne_u32_e64 s[10:11], 0, v1
.LBB87_567:
	s_andn2_b64 vcc, exec, s[10:11]
	v_mov_b32_e32 v3, s12
	s_cbranch_vccnz .LBB87_569
; %bb.568:
	s_lshr_b32 s10, s14, 24
	s_and_b32 s10, s10, 0x80
	v_or_b32_e32 v3, s10, v1
.LBB87_569:
	s_mov_b64 s[10:11], 0
	global_store_byte v[6:7], v3, off
.LBB87_570:
	s_and_b64 vcc, exec, s[10:11]
	s_cbranch_vccz .LBB87_582
; %bb.571:
	s_lshl_b32 s12, s2, 16
	s_and_b32 s13, s12, 0x7fffffff
	s_cmp_lt_u32 s13, 0x43f00000
	s_cbranch_scc0 .LBB87_574
; %bb.572:
	s_cmp_gt_u32 s13, 0x3c7fffff
	s_cbranch_scc0 .LBB87_575
; %bb.573:
	s_bfe_u32 s10, s12, 0x10014
	s_add_i32 s10, s12, s10
	s_add_i32 s10, s10, 0x407ffff
	s_lshr_b32 s11, s10, 20
	s_and_b32 s10, s10, 0xff00000
	s_cmp_lg_u32 s10, 0x7f00000
	s_cselect_b32 s14, s11, 0x7e
	s_mov_b64 s[10:11], 0
	s_branch .LBB87_576
.LBB87_574:
	s_mov_b64 s[10:11], -1
                                        ; implicit-def: $vgpr1
	s_branch .LBB87_579
.LBB87_575:
	s_mov_b64 s[10:11], -1
                                        ; implicit-def: $sgpr14
.LBB87_576:
	s_andn2_b64 vcc, exec, s[10:11]
	v_mov_b32_e32 v1, s14
	s_cbranch_vccnz .LBB87_578
; %bb.577:
	v_mov_b32_e32 v1, 0x46800000
	v_add_f32_e64 v1, |s12|, v1
.LBB87_578:
	s_mov_b64 s[10:11], 0
.LBB87_579:
	s_andn2_b64 vcc, exec, s[10:11]
	s_cbranch_vccnz .LBB87_581
; %bb.580:
	s_cmp_gt_u32 s13, 0x7f800000
	s_movk_i32 s10, 0x7f
	s_cselect_b32 s10, s10, 0x7e
	v_mov_b32_e32 v1, s10
.LBB87_581:
	s_lshr_b32 s10, s12, 24
	s_and_b32 s10, s10, 0x80
	v_or_b32_e32 v1, s10, v1
	global_store_byte v[6:7], v1, off
.LBB87_582:
	s_mov_b64 s[10:11], 0
.LBB87_583:
	s_andn2_b64 vcc, exec, s[10:11]
	s_cbranch_vccnz .LBB87_595
; %bb.584:
	s_lshl_b32 s12, s2, 16
	s_and_b32 s13, s12, 0x7fffffff
	s_cmp_lt_u32 s13, 0x47800000
	s_cbranch_scc0 .LBB87_587
; %bb.585:
	s_cmp_gt_u32 s13, 0x387fffff
	s_cbranch_scc0 .LBB87_588
; %bb.586:
	s_bfe_u32 s10, s12, 0x10015
	s_add_i32 s10, s12, s10
	s_add_i32 s10, s10, 0x80fffff
	s_lshr_b32 s14, s10, 21
	s_mov_b64 s[10:11], 0
	s_branch .LBB87_589
.LBB87_587:
	s_mov_b64 s[10:11], -1
                                        ; implicit-def: $vgpr1
	s_branch .LBB87_592
.LBB87_588:
	s_mov_b64 s[10:11], -1
                                        ; implicit-def: $sgpr14
.LBB87_589:
	s_andn2_b64 vcc, exec, s[10:11]
	v_mov_b32_e32 v1, s14
	s_cbranch_vccnz .LBB87_591
; %bb.590:
	v_mov_b32_e32 v1, 0x43000000
	v_add_f32_e64 v1, |s12|, v1
.LBB87_591:
	s_mov_b64 s[10:11], 0
.LBB87_592:
	s_andn2_b64 vcc, exec, s[10:11]
	s_cbranch_vccnz .LBB87_594
; %bb.593:
	s_cmp_gt_u32 s13, 0x7f800000
	s_movk_i32 s10, 0x7f
	s_cselect_b32 s10, s10, 0x7c
	v_mov_b32_e32 v1, s10
.LBB87_594:
	s_lshr_b32 s10, s12, 24
	s_and_b32 s10, s10, 0x80
	v_or_b32_e32 v1, s10, v1
	global_store_byte v[6:7], v1, off
.LBB87_595:
	s_mov_b64 s[10:11], 0
	s_mov_b64 s[12:13], -1
.LBB87_596:
	s_andn2_b64 vcc, exec, s[10:11]
	s_mov_b64 s[10:11], 0
	s_cbranch_vccnz .LBB87_603
; %bb.597:
	v_cmp_gt_i16_e64 s[10:11], s3, 14
	s_mov_b64 s[14:15], -1
	s_and_b64 vcc, exec, s[10:11]
	s_cbranch_vccz .LBB87_601
; %bb.598:
	v_cmp_eq_u16_e64 s[10:11], s3, 15
	s_mov_b64 s[4:5], -1
	s_and_b64 vcc, exec, s[10:11]
	s_cbranch_vccz .LBB87_600
; %bb.599:
	v_mov_b32_e32 v1, s2
	global_store_short v[6:7], v1, off
	s_mov_b64 s[4:5], 0
	s_mov_b64 s[12:13], -1
.LBB87_600:
	s_mov_b64 s[14:15], 0
.LBB87_601:
	s_mov_b64 s[10:11], 0
	s_and_b64 vcc, exec, s[14:15]
	s_cbranch_vccz .LBB87_603
; %bb.602:
	v_cmp_ne_u16_e64 s[4:5], s3, 11
	s_mov_b64 s[10:11], -1
.LBB87_603:
	s_and_b64 vcc, exec, s[4:5]
	s_mov_b64 s[4:5], s[6:7]
	s_cbranch_vccnz .LBB87_656
; %bb.604:
	s_andn2_b64 vcc, exec, s[10:11]
	s_cbranch_vccnz .LBB87_606
.LBB87_605:
	s_and_b32 s10, s2, 0x7fff7fff
	s_cmp_lg_u32 s10, 0
	s_cselect_b64 s[10:11], -1, 0
	v_cndmask_b32_e64 v1, 0, 1, s[10:11]
	global_store_byte v[6:7], v1, off
	s_mov_b64 s[12:13], -1
.LBB87_606:
	s_branch .LBB87_525
.LBB87_607:
	v_cmp_lt_i16_e64 s[12:13], s3, 5
	s_mov_b64 s[10:11], -1
	s_and_b64 vcc, exec, s[12:13]
	s_cbranch_vccnz .LBB87_628
; %bb.608:
	v_cmp_lt_i16_e64 s[12:13], s3, 8
	s_and_b64 vcc, exec, s[12:13]
	s_cbranch_vccnz .LBB87_618
; %bb.609:
	v_cmp_lt_i16_e64 s[12:13], s3, 9
	s_and_b64 vcc, exec, s[12:13]
	s_cbranch_vccnz .LBB87_615
; %bb.610:
	v_cmp_gt_i16_e64 s[12:13], s3, 9
	s_and_b64 vcc, exec, s[12:13]
	s_cbranch_vccz .LBB87_612
; %bb.611:
	s_and_b32 s10, s2, 0xffff0000
	s_lshl_b32 s11, s2, 16
	v_cvt_f64_f32_e32 v[8:9], s11
	v_cvt_f64_f32_e32 v[10:11], s10
	global_store_dwordx4 v[6:7], v[8:11], off
	s_mov_b64 s[10:11], 0
.LBB87_612:
	s_andn2_b64 vcc, exec, s[10:11]
	s_cbranch_vccnz .LBB87_614
; %bb.613:
	s_and_b32 s10, s2, 0xffff0000
	s_lshl_b32 s11, s2, 16
	v_mov_b32_e32 v8, s11
	v_mov_b32_e32 v9, s10
	global_store_dwordx2 v[6:7], v[8:9], off
.LBB87_614:
	s_mov_b64 s[10:11], 0
.LBB87_615:
	s_andn2_b64 vcc, exec, s[10:11]
	s_cbranch_vccnz .LBB87_617
; %bb.616:
	s_and_b32 s10, s2, 0xffff0000
	s_lshl_b32 s11, s2, 16
	v_cvt_f16_f32_e32 v1, s11
	v_cvt_f16_f32_sdwa v3, s10 dst_sel:WORD_1 dst_unused:UNUSED_PAD src0_sel:DWORD
	v_or_b32_e32 v1, v3, v1
	global_store_dword v[6:7], v1, off
.LBB87_617:
	s_mov_b64 s[10:11], 0
.LBB87_618:
	s_andn2_b64 vcc, exec, s[10:11]
	s_cbranch_vccnz .LBB87_627
; %bb.619:
	v_cmp_lt_i16_e64 s[12:13], s3, 6
	s_mov_b64 s[10:11], -1
	s_and_b64 vcc, exec, s[12:13]
	s_cbranch_vccnz .LBB87_625
; %bb.620:
	v_cmp_gt_i16_e64 s[12:13], s3, 6
	s_and_b64 vcc, exec, s[12:13]
	s_cbranch_vccz .LBB87_622
; %bb.621:
	s_lshl_b32 s10, s2, 16
	v_cvt_f64_f32_e32 v[8:9], s10
	global_store_dwordx2 v[6:7], v[8:9], off
	s_mov_b64 s[10:11], 0
.LBB87_622:
	s_andn2_b64 vcc, exec, s[10:11]
	s_cbranch_vccnz .LBB87_624
; %bb.623:
	s_lshl_b32 s10, s2, 16
	v_mov_b32_e32 v1, s10
	global_store_dword v[6:7], v1, off
.LBB87_624:
	s_mov_b64 s[10:11], 0
.LBB87_625:
	s_andn2_b64 vcc, exec, s[10:11]
	s_cbranch_vccnz .LBB87_627
; %bb.626:
	s_lshl_b32 s10, s2, 16
	v_cvt_f16_f32_e32 v1, s10
	global_store_short v[6:7], v1, off
.LBB87_627:
	s_mov_b64 s[10:11], 0
.LBB87_628:
	s_andn2_b64 vcc, exec, s[10:11]
	s_cbranch_vccnz .LBB87_644
; %bb.629:
	v_cmp_lt_i16_e64 s[12:13], s3, 2
	s_mov_b64 s[10:11], -1
	s_and_b64 vcc, exec, s[12:13]
	s_cbranch_vccnz .LBB87_639
; %bb.630:
	v_cmp_lt_i16_e64 s[12:13], s3, 3
	s_and_b64 vcc, exec, s[12:13]
	s_cbranch_vccnz .LBB87_636
; %bb.631:
	v_cmp_gt_i16_e64 s[12:13], s3, 3
	s_and_b64 vcc, exec, s[12:13]
	s_cbranch_vccz .LBB87_633
; %bb.632:
	s_lshl_b32 s10, s2, 16
	v_trunc_f32_e32 v1, s10
	s_mov_b32 s10, 0x2f800000
	v_mul_f32_e64 v3, |v1|, s10
	v_floor_f32_e32 v3, v3
	s_mov_b32 s10, 0xcf800000
	v_fma_f32 v5, v3, s10, |v1|
	v_cvt_u32_f32_e32 v5, v5
	v_cvt_u32_f32_e32 v3, v3
	v_ashrrev_i32_e32 v1, 31, v1
	s_mov_b64 s[10:11], 0
	v_xor_b32_e32 v5, v5, v1
	v_xor_b32_e32 v3, v3, v1
	v_sub_co_u32_e32 v8, vcc, v5, v1
	v_subb_co_u32_e32 v9, vcc, v3, v1, vcc
	global_store_dwordx2 v[6:7], v[8:9], off
.LBB87_633:
	s_andn2_b64 vcc, exec, s[10:11]
	s_cbranch_vccnz .LBB87_635
; %bb.634:
	s_lshl_b32 s10, s2, 16
	v_cvt_i32_f32_e32 v1, s10
	global_store_dword v[6:7], v1, off
.LBB87_635:
	s_mov_b64 s[10:11], 0
.LBB87_636:
	s_andn2_b64 vcc, exec, s[10:11]
	s_cbranch_vccnz .LBB87_638
; %bb.637:
	s_lshl_b32 s10, s2, 16
	v_cvt_i32_f32_e32 v1, s10
	global_store_short v[6:7], v1, off
.LBB87_638:
	s_mov_b64 s[10:11], 0
.LBB87_639:
	s_andn2_b64 vcc, exec, s[10:11]
	s_cbranch_vccnz .LBB87_644
; %bb.640:
	v_cmp_gt_i16_e64 s[12:13], s3, 0
	s_mov_b64 s[10:11], -1
	s_and_b64 vcc, exec, s[12:13]
	s_cbranch_vccz .LBB87_642
; %bb.641:
	s_lshl_b32 s10, s2, 16
	v_cvt_i32_f32_e32 v1, s10
	s_mov_b64 s[10:11], 0
	global_store_byte v[6:7], v1, off
.LBB87_642:
	s_andn2_b64 vcc, exec, s[10:11]
	s_cbranch_vccnz .LBB87_644
; %bb.643:
	s_lshl_b32 s10, s2, 16
	v_trunc_f32_e32 v1, s10
	s_mov_b32 s10, 0x2f800000
	v_mul_f32_e64 v3, |v1|, s10
	v_floor_f32_e32 v3, v3
	s_mov_b32 s10, 0xcf800000
	v_fma_f32 v3, v3, s10, |v1|
	v_cvt_u32_f32_e32 v3, v3
	v_ashrrev_i32_e32 v1, 31, v1
	v_xor_b32_e32 v3, v3, v1
	v_sub_u32_e32 v1, v3, v1
	global_store_byte v[6:7], v1, off
.LBB87_644:
.LBB87_645:
	v_mov_b32_e32 v1, s1
	v_add_co_u32_e32 v4, vcc, s0, v4
	v_addc_co_u32_e32 v5, vcc, 0, v1, vcc
	s_and_b64 vcc, exec, s[8:9]
	s_cbranch_vccnz .LBB87_652
; %bb.646:
	v_cmp_gt_i16_e64 s[10:11], s3, 25
	s_mov_b64 s[16:17], -1
	s_mov_b64 s[12:13], 0
	s_and_b64 vcc, exec, s[10:11]
	s_mov_b64 s[14:15], 0
	s_mov_b64 s[10:11], 0
	s_cbranch_vccz .LBB87_687
; %bb.647:
	v_cmp_gt_i16_e64 s[10:11], s3, 28
	s_and_b64 vcc, exec, s[10:11]
	s_cbranch_vccz .LBB87_654
; %bb.648:
	v_cmp_gt_i16_e64 s[10:11], s3, 43
	s_and_b64 vcc, exec, s[10:11]
	;; [unrolled: 4-line block ×3, first 2 shown]
	s_cbranch_vccz .LBB87_657
; %bb.650:
	v_cmp_eq_u16_e64 s[14:15], s3, 46
	s_mov_b64 s[10:11], -1
	s_mov_b64 s[16:17], 0
	s_and_b64 vcc, exec, s[14:15]
	s_mov_b64 s[14:15], 0
	s_cbranch_vccz .LBB87_658
; %bb.651:
	v_mov_b32_e32 v1, s2
	global_store_dword v[4:5], v1, off
	s_mov_b64 s[10:11], 0
	s_mov_b64 s[14:15], -1
	s_branch .LBB87_658
.LBB87_652:
	s_mov_b64 s[14:15], 0
	s_cbranch_execnz .LBB87_737
.LBB87_653:
	s_andn2_b64 vcc, exec, s[14:15]
	s_cbranch_vccz .LBB87_775
	s_branch .LBB87_952
.LBB87_654:
	s_mov_b64 s[10:11], 0
	s_branch .LBB87_668
.LBB87_655:
	s_mov_b64 s[10:11], 0
	s_branch .LBB87_664
.LBB87_656:
	s_or_b64 s[4:5], s[6:7], exec
	s_trap 2
	s_cbranch_execz .LBB87_605
	s_branch .LBB87_606
.LBB87_657:
	s_mov_b64 s[10:11], 0
.LBB87_658:
	s_and_b64 vcc, exec, s[16:17]
	s_cbranch_vccz .LBB87_663
; %bb.659:
	v_cmp_eq_u16_e64 s[16:17], s3, 44
	s_mov_b64 s[10:11], -1
	s_and_b64 vcc, exec, s[16:17]
	s_cbranch_vccz .LBB87_663
; %bb.660:
	s_lshl_b32 s10, s2, 16
	s_bfe_u32 s11, s10, 0x80017
	s_cmpk_eq_i32 s11, 0xff
	v_mov_b32_e32 v1, 0xff
	s_cbranch_scc1 .LBB87_662
; %bb.661:
	s_bfe_u32 s16, s2, 0x90007
	s_bitcmp1_b32 s2, 6
	s_cselect_b64 s[14:15], -1, 0
	s_and_b32 s10, s10, 0x3f0000
	s_or_b32 s10, s11, s10
	s_cmp_lg_u32 s10, 0
	s_cselect_b64 s[10:11], -1, 0
	s_and_b64 s[10:11], s[14:15], s[10:11]
	v_cndmask_b32_e64 v1, 0, 1, s[10:11]
	v_add_u32_e32 v1, s16, v1
.LBB87_662:
	s_mov_b64 s[10:11], 0
	s_mov_b64 s[14:15], -1
	global_store_byte v[4:5], v1, off
.LBB87_663:
	s_mov_b64 s[16:17], 0
.LBB87_664:
	s_and_b64 vcc, exec, s[16:17]
	s_cbranch_vccz .LBB87_667
; %bb.665:
	v_cmp_eq_u16_e64 s[16:17], s3, 29
	s_mov_b64 s[10:11], -1
	s_and_b64 vcc, exec, s[16:17]
	s_cbranch_vccz .LBB87_667
; %bb.666:
	s_lshl_b32 s10, s2, 16
	v_trunc_f32_e32 v1, s10
	v_mul_f32_e32 v3, 0x2f800000, v1
	v_floor_f32_e32 v3, v3
	v_fmac_f32_e32 v1, 0xcf800000, v3
	v_cvt_u32_f32_e32 v7, v3
	v_cvt_u32_f32_e32 v6, v1
	s_mov_b64 s[10:11], 0
	s_mov_b64 s[14:15], -1
	s_mov_b64 s[16:17], 0
	global_store_dwordx2 v[4:5], v[6:7], off
	s_branch .LBB87_668
.LBB87_667:
	s_mov_b64 s[16:17], 0
.LBB87_668:
	s_and_b64 vcc, exec, s[16:17]
	s_cbranch_vccz .LBB87_686
; %bb.669:
	v_cmp_lt_i16_e64 s[16:17], s3, 27
	s_mov_b64 s[14:15], -1
	s_and_b64 vcc, exec, s[16:17]
	s_cbranch_vccnz .LBB87_675
; %bb.670:
	v_cmp_gt_i16_e64 s[16:17], s3, 27
	s_and_b64 vcc, exec, s[16:17]
	s_cbranch_vccz .LBB87_672
; %bb.671:
	s_lshl_b32 s14, s2, 16
	v_cvt_u32_f32_e32 v1, s14
	s_mov_b64 s[14:15], 0
	global_store_dword v[4:5], v1, off
.LBB87_672:
	s_andn2_b64 vcc, exec, s[14:15]
	s_cbranch_vccnz .LBB87_674
; %bb.673:
	s_lshl_b32 s14, s2, 16
	v_cvt_u32_f32_e32 v1, s14
	global_store_short v[4:5], v1, off
.LBB87_674:
	s_mov_b64 s[14:15], 0
.LBB87_675:
	s_andn2_b64 vcc, exec, s[14:15]
	s_cbranch_vccnz .LBB87_685
; %bb.676:
	s_lshl_b32 s18, s2, 16
	s_and_b32 s14, s18, 0x7fffffff
	s_cmp_gt_u32 s14, 0x437fffff
	v_mov_b32_e32 v3, 0x80
	s_cbranch_scc1 .LBB87_684
; %bb.677:
	s_cmp_gt_u32 s14, 0x3bffffff
	s_cbranch_scc0 .LBB87_679
; %bb.678:
	s_bfe_u32 s14, s18, 0x10014
	s_add_i32 s14, s18, s14
	s_add_i32 s14, s14, 0x487ffff
	s_lshr_b32 s19, s14, 20
	s_mov_b64 s[16:17], 0
	s_mov_b64 s[14:15], -1
	s_branch .LBB87_680
.LBB87_679:
	s_mov_b64 s[16:17], -1
	s_mov_b64 s[14:15], 0
                                        ; implicit-def: $sgpr19
.LBB87_680:
	s_andn2_b64 vcc, exec, s[16:17]
	v_mov_b32_e32 v1, s19
                                        ; implicit-def: $sgpr16
	s_cbranch_vccnz .LBB87_682
; %bb.681:
	v_mov_b32_e32 v1, 0x46000000
	v_add_f32_e64 v1, |s18|, v1
	v_and_b32_e32 v1, 0xff, v1
	s_mov_b32 s16, 0
	v_cmp_ne_u32_e64 s[14:15], 0, v1
.LBB87_682:
	s_andn2_b64 vcc, exec, s[14:15]
	v_mov_b32_e32 v3, s16
	s_cbranch_vccnz .LBB87_684
; %bb.683:
	s_lshr_b32 s14, s18, 24
	s_and_b32 s14, s14, 0x80
	v_or_b32_e32 v3, s14, v1
.LBB87_684:
	global_store_byte v[4:5], v3, off
.LBB87_685:
	s_mov_b64 s[14:15], -1
.LBB87_686:
	s_mov_b64 s[16:17], 0
.LBB87_687:
	s_and_b64 vcc, exec, s[16:17]
	s_cbranch_vccz .LBB87_733
; %bb.688:
	v_cmp_gt_i16_e64 s[16:17], s3, 22
	s_mov_b64 s[12:13], -1
	s_and_b64 vcc, exec, s[16:17]
	s_cbranch_vccz .LBB87_726
; %bb.689:
	v_cmp_lt_i16_e64 s[14:15], s3, 24
	s_and_b64 vcc, exec, s[14:15]
	s_cbranch_vccnz .LBB87_713
; %bb.690:
	v_cmp_gt_i16_e64 s[14:15], s3, 24
	s_and_b64 vcc, exec, s[14:15]
	s_cbranch_vccz .LBB87_700
; %bb.691:
	s_lshl_b32 s16, s2, 16
	s_and_b32 s12, s16, 0x7fffffff
	s_cmp_gt_u32 s12, 0x477fffff
	v_mov_b32_e32 v3, 0x80
	s_cbranch_scc1 .LBB87_699
; %bb.692:
	s_cmp_gt_u32 s12, 0x37ffffff
	s_cbranch_scc0 .LBB87_694
; %bb.693:
	s_bfe_u32 s12, s16, 0x10015
	s_add_i32 s12, s16, s12
	s_add_i32 s12, s12, 0x88fffff
	s_lshr_b32 s17, s12, 21
	s_mov_b64 s[14:15], 0
	s_mov_b64 s[12:13], -1
	s_branch .LBB87_695
.LBB87_694:
	s_mov_b64 s[14:15], -1
	s_mov_b64 s[12:13], 0
                                        ; implicit-def: $sgpr17
.LBB87_695:
	s_andn2_b64 vcc, exec, s[14:15]
	v_mov_b32_e32 v1, s17
                                        ; implicit-def: $sgpr14
	s_cbranch_vccnz .LBB87_697
; %bb.696:
	v_mov_b32_e32 v1, 0x42800000
	v_add_f32_e64 v1, |s16|, v1
	v_and_b32_e32 v1, 0xff, v1
	s_mov_b32 s14, 0
	v_cmp_ne_u32_e64 s[12:13], 0, v1
.LBB87_697:
	s_andn2_b64 vcc, exec, s[12:13]
	v_mov_b32_e32 v3, s14
	s_cbranch_vccnz .LBB87_699
; %bb.698:
	s_lshr_b32 s12, s16, 24
	s_and_b32 s12, s12, 0x80
	v_or_b32_e32 v3, s12, v1
.LBB87_699:
	s_mov_b64 s[12:13], 0
	global_store_byte v[4:5], v3, off
.LBB87_700:
	s_and_b64 vcc, exec, s[12:13]
	s_cbranch_vccz .LBB87_712
; %bb.701:
	s_lshl_b32 s14, s2, 16
	s_and_b32 s15, s14, 0x7fffffff
	s_cmp_lt_u32 s15, 0x43f00000
	s_cbranch_scc0 .LBB87_704
; %bb.702:
	s_cmp_gt_u32 s15, 0x3c7fffff
	s_cbranch_scc0 .LBB87_705
; %bb.703:
	s_bfe_u32 s12, s14, 0x10014
	s_add_i32 s12, s14, s12
	s_add_i32 s12, s12, 0x407ffff
	s_lshr_b32 s13, s12, 20
	s_and_b32 s12, s12, 0xff00000
	s_cmp_lg_u32 s12, 0x7f00000
	s_cselect_b32 s16, s13, 0x7e
	s_mov_b64 s[12:13], 0
	s_branch .LBB87_706
.LBB87_704:
	s_mov_b64 s[12:13], -1
                                        ; implicit-def: $vgpr1
	s_branch .LBB87_709
.LBB87_705:
	s_mov_b64 s[12:13], -1
                                        ; implicit-def: $sgpr16
.LBB87_706:
	s_andn2_b64 vcc, exec, s[12:13]
	v_mov_b32_e32 v1, s16
	s_cbranch_vccnz .LBB87_708
; %bb.707:
	v_mov_b32_e32 v1, 0x46800000
	v_add_f32_e64 v1, |s14|, v1
.LBB87_708:
	s_mov_b64 s[12:13], 0
.LBB87_709:
	s_andn2_b64 vcc, exec, s[12:13]
	s_cbranch_vccnz .LBB87_711
; %bb.710:
	s_cmp_gt_u32 s15, 0x7f800000
	s_movk_i32 s12, 0x7f
	s_cselect_b32 s12, s12, 0x7e
	v_mov_b32_e32 v1, s12
.LBB87_711:
	s_lshr_b32 s12, s14, 24
	s_and_b32 s12, s12, 0x80
	v_or_b32_e32 v1, s12, v1
	global_store_byte v[4:5], v1, off
.LBB87_712:
	s_mov_b64 s[12:13], 0
.LBB87_713:
	s_andn2_b64 vcc, exec, s[12:13]
	s_cbranch_vccnz .LBB87_725
; %bb.714:
	s_lshl_b32 s14, s2, 16
	s_and_b32 s15, s14, 0x7fffffff
	s_cmp_lt_u32 s15, 0x47800000
	s_cbranch_scc0 .LBB87_717
; %bb.715:
	s_cmp_gt_u32 s15, 0x387fffff
	s_cbranch_scc0 .LBB87_718
; %bb.716:
	s_bfe_u32 s12, s14, 0x10015
	s_add_i32 s12, s14, s12
	s_add_i32 s12, s12, 0x80fffff
	s_lshr_b32 s16, s12, 21
	s_mov_b64 s[12:13], 0
	s_branch .LBB87_719
.LBB87_717:
	s_mov_b64 s[12:13], -1
                                        ; implicit-def: $vgpr1
	s_branch .LBB87_722
.LBB87_718:
	s_mov_b64 s[12:13], -1
                                        ; implicit-def: $sgpr16
.LBB87_719:
	s_andn2_b64 vcc, exec, s[12:13]
	v_mov_b32_e32 v1, s16
	s_cbranch_vccnz .LBB87_721
; %bb.720:
	v_mov_b32_e32 v1, 0x43000000
	v_add_f32_e64 v1, |s14|, v1
.LBB87_721:
	s_mov_b64 s[12:13], 0
.LBB87_722:
	s_andn2_b64 vcc, exec, s[12:13]
	s_cbranch_vccnz .LBB87_724
; %bb.723:
	s_cmp_gt_u32 s15, 0x7f800000
	s_movk_i32 s12, 0x7f
	s_cselect_b32 s12, s12, 0x7c
	v_mov_b32_e32 v1, s12
.LBB87_724:
	s_lshr_b32 s12, s14, 24
	s_and_b32 s12, s12, 0x80
	v_or_b32_e32 v1, s12, v1
	global_store_byte v[4:5], v1, off
.LBB87_725:
	s_mov_b64 s[12:13], 0
	s_mov_b64 s[14:15], -1
.LBB87_726:
	s_andn2_b64 vcc, exec, s[12:13]
	s_mov_b64 s[12:13], 0
	s_cbranch_vccnz .LBB87_733
; %bb.727:
	v_cmp_gt_i16_e64 s[12:13], s3, 14
	s_mov_b64 s[16:17], -1
	s_and_b64 vcc, exec, s[12:13]
	s_cbranch_vccz .LBB87_731
; %bb.728:
	v_cmp_eq_u16_e64 s[12:13], s3, 15
	s_mov_b64 s[10:11], -1
	s_and_b64 vcc, exec, s[12:13]
	s_cbranch_vccz .LBB87_730
; %bb.729:
	v_mov_b32_e32 v1, s2
	global_store_short v[4:5], v1, off
	s_mov_b64 s[10:11], 0
	s_mov_b64 s[14:15], -1
.LBB87_730:
	s_mov_b64 s[16:17], 0
.LBB87_731:
	s_mov_b64 s[12:13], 0
	s_and_b64 vcc, exec, s[16:17]
	s_cbranch_vccz .LBB87_733
; %bb.732:
	v_cmp_ne_u16_e64 s[10:11], s3, 11
	s_mov_b64 s[12:13], -1
.LBB87_733:
	s_and_b64 vcc, exec, s[10:11]
	s_cbranch_vccnz .LBB87_796
; %bb.734:
	s_andn2_b64 vcc, exec, s[12:13]
	s_cbranch_vccnz .LBB87_736
.LBB87_735:
	s_and_b32 s10, s2, 0x7fff7fff
	s_cmp_lg_u32 s10, 0
	s_cselect_b64 s[10:11], -1, 0
	v_cndmask_b32_e64 v1, 0, 1, s[10:11]
	s_mov_b64 s[14:15], -1
	global_store_byte v[4:5], v1, off
.LBB87_736:
	s_branch .LBB87_653
.LBB87_737:
	v_cmp_lt_i16_e64 s[12:13], s3, 5
	s_mov_b64 s[10:11], -1
	s_and_b64 vcc, exec, s[12:13]
	s_cbranch_vccnz .LBB87_758
; %bb.738:
	v_cmp_lt_i16_e64 s[12:13], s3, 8
	s_and_b64 vcc, exec, s[12:13]
	s_cbranch_vccnz .LBB87_748
; %bb.739:
	v_cmp_lt_i16_e64 s[12:13], s3, 9
	s_and_b64 vcc, exec, s[12:13]
	s_cbranch_vccnz .LBB87_745
; %bb.740:
	v_cmp_gt_i16_e64 s[12:13], s3, 9
	s_and_b64 vcc, exec, s[12:13]
	s_cbranch_vccz .LBB87_742
; %bb.741:
	s_and_b32 s10, s2, 0xffff0000
	s_lshl_b32 s11, s2, 16
	v_cvt_f64_f32_e32 v[6:7], s11
	v_cvt_f64_f32_e32 v[8:9], s10
	global_store_dwordx4 v[4:5], v[6:9], off
	s_mov_b64 s[10:11], 0
.LBB87_742:
	s_andn2_b64 vcc, exec, s[10:11]
	s_cbranch_vccnz .LBB87_744
; %bb.743:
	s_and_b32 s10, s2, 0xffff0000
	s_lshl_b32 s11, s2, 16
	v_mov_b32_e32 v6, s11
	v_mov_b32_e32 v7, s10
	global_store_dwordx2 v[4:5], v[6:7], off
.LBB87_744:
	s_mov_b64 s[10:11], 0
.LBB87_745:
	s_andn2_b64 vcc, exec, s[10:11]
	s_cbranch_vccnz .LBB87_747
; %bb.746:
	s_and_b32 s10, s2, 0xffff0000
	s_lshl_b32 s11, s2, 16
	v_cvt_f16_f32_e32 v1, s11
	v_cvt_f16_f32_sdwa v3, s10 dst_sel:WORD_1 dst_unused:UNUSED_PAD src0_sel:DWORD
	v_or_b32_e32 v1, v3, v1
	global_store_dword v[4:5], v1, off
.LBB87_747:
	s_mov_b64 s[10:11], 0
.LBB87_748:
	s_andn2_b64 vcc, exec, s[10:11]
	s_cbranch_vccnz .LBB87_757
; %bb.749:
	v_cmp_lt_i16_e64 s[12:13], s3, 6
	s_mov_b64 s[10:11], -1
	s_and_b64 vcc, exec, s[12:13]
	s_cbranch_vccnz .LBB87_755
; %bb.750:
	v_cmp_gt_i16_e64 s[12:13], s3, 6
	s_and_b64 vcc, exec, s[12:13]
	s_cbranch_vccz .LBB87_752
; %bb.751:
	s_lshl_b32 s10, s2, 16
	v_cvt_f64_f32_e32 v[6:7], s10
	global_store_dwordx2 v[4:5], v[6:7], off
	s_mov_b64 s[10:11], 0
.LBB87_752:
	s_andn2_b64 vcc, exec, s[10:11]
	s_cbranch_vccnz .LBB87_754
; %bb.753:
	s_lshl_b32 s10, s2, 16
	v_mov_b32_e32 v1, s10
	global_store_dword v[4:5], v1, off
.LBB87_754:
	s_mov_b64 s[10:11], 0
.LBB87_755:
	s_andn2_b64 vcc, exec, s[10:11]
	s_cbranch_vccnz .LBB87_757
; %bb.756:
	s_lshl_b32 s10, s2, 16
	v_cvt_f16_f32_e32 v1, s10
	global_store_short v[4:5], v1, off
.LBB87_757:
	s_mov_b64 s[10:11], 0
.LBB87_758:
	s_andn2_b64 vcc, exec, s[10:11]
	s_cbranch_vccnz .LBB87_774
; %bb.759:
	v_cmp_lt_i16_e64 s[12:13], s3, 2
	s_mov_b64 s[10:11], -1
	s_and_b64 vcc, exec, s[12:13]
	s_cbranch_vccnz .LBB87_769
; %bb.760:
	v_cmp_lt_i16_e64 s[12:13], s3, 3
	s_and_b64 vcc, exec, s[12:13]
	s_cbranch_vccnz .LBB87_766
; %bb.761:
	v_cmp_gt_i16_e64 s[12:13], s3, 3
	s_and_b64 vcc, exec, s[12:13]
	s_cbranch_vccz .LBB87_763
; %bb.762:
	s_lshl_b32 s10, s2, 16
	v_trunc_f32_e32 v1, s10
	s_mov_b32 s10, 0x2f800000
	v_mul_f32_e64 v3, |v1|, s10
	v_floor_f32_e32 v3, v3
	s_mov_b32 s10, 0xcf800000
	v_fma_f32 v6, v3, s10, |v1|
	v_cvt_u32_f32_e32 v6, v6
	v_cvt_u32_f32_e32 v3, v3
	v_ashrrev_i32_e32 v1, 31, v1
	s_mov_b64 s[10:11], 0
	v_xor_b32_e32 v6, v6, v1
	v_xor_b32_e32 v3, v3, v1
	v_sub_co_u32_e32 v6, vcc, v6, v1
	v_subb_co_u32_e32 v7, vcc, v3, v1, vcc
	global_store_dwordx2 v[4:5], v[6:7], off
.LBB87_763:
	s_andn2_b64 vcc, exec, s[10:11]
	s_cbranch_vccnz .LBB87_765
; %bb.764:
	s_lshl_b32 s10, s2, 16
	v_cvt_i32_f32_e32 v1, s10
	global_store_dword v[4:5], v1, off
.LBB87_765:
	s_mov_b64 s[10:11], 0
.LBB87_766:
	s_andn2_b64 vcc, exec, s[10:11]
	s_cbranch_vccnz .LBB87_768
; %bb.767:
	s_lshl_b32 s10, s2, 16
	v_cvt_i32_f32_e32 v1, s10
	global_store_short v[4:5], v1, off
.LBB87_768:
	s_mov_b64 s[10:11], 0
.LBB87_769:
	s_andn2_b64 vcc, exec, s[10:11]
	s_cbranch_vccnz .LBB87_774
; %bb.770:
	v_cmp_gt_i16_e64 s[12:13], s3, 0
	s_mov_b64 s[10:11], -1
	s_and_b64 vcc, exec, s[12:13]
	s_cbranch_vccz .LBB87_772
; %bb.771:
	s_lshl_b32 s10, s2, 16
	v_cvt_i32_f32_e32 v1, s10
	s_mov_b64 s[10:11], 0
	global_store_byte v[4:5], v1, off
.LBB87_772:
	s_andn2_b64 vcc, exec, s[10:11]
	s_cbranch_vccnz .LBB87_774
; %bb.773:
	s_lshl_b32 s10, s2, 16
	v_trunc_f32_e32 v1, s10
	s_mov_b32 s10, 0x2f800000
	v_mul_f32_e64 v3, |v1|, s10
	v_floor_f32_e32 v3, v3
	s_mov_b32 s10, 0xcf800000
	v_fma_f32 v3, v3, s10, |v1|
	v_cvt_u32_f32_e32 v3, v3
	v_ashrrev_i32_e32 v1, 31, v1
	v_xor_b32_e32 v3, v3, v1
	v_sub_u32_e32 v1, v3, v1
	global_store_byte v[4:5], v1, off
.LBB87_774:
.LBB87_775:
	v_mov_b32_e32 v1, s1
	v_add_co_u32_e32 v2, vcc, s0, v2
	v_addc_co_u32_e32 v3, vcc, 0, v1, vcc
	s_and_b64 vcc, exec, s[8:9]
	s_cbranch_vccnz .LBB87_782
; %bb.776:
	v_cmp_gt_i16_e64 s[10:11], s3, 25
	s_mov_b64 s[16:17], -1
	s_mov_b64 s[12:13], 0
	s_and_b64 vcc, exec, s[10:11]
	s_mov_b64 s[14:15], 0
	s_mov_b64 s[10:11], 0
	s_cbranch_vccz .LBB87_850
; %bb.777:
	v_cmp_gt_i16_e64 s[10:11], s3, 28
	s_and_b64 vcc, exec, s[10:11]
	s_cbranch_vccz .LBB87_793
; %bb.778:
	v_cmp_gt_i16_e64 s[10:11], s3, 43
	s_and_b64 vcc, exec, s[10:11]
	;; [unrolled: 4-line block ×3, first 2 shown]
	s_cbranch_vccz .LBB87_797
; %bb.780:
	v_cmp_eq_u16_e64 s[14:15], s3, 46
	s_mov_b64 s[10:11], -1
	s_mov_b64 s[16:17], 0
	s_and_b64 vcc, exec, s[14:15]
	s_mov_b64 s[14:15], 0
	s_cbranch_vccz .LBB87_798
; %bb.781:
	v_mov_b32_e32 v1, s2
	global_store_dword v[2:3], v1, off
	s_mov_b64 s[10:11], 0
	s_mov_b64 s[14:15], -1
	s_branch .LBB87_798
.LBB87_782:
	s_mov_b64 s[14:15], 0
	s_cbranch_execnz .LBB87_914
.LBB87_783:
	s_andn2_b64 vcc, exec, s[14:15]
	s_cbranch_vccnz .LBB87_952
.LBB87_784:
	v_mov_b32_e32 v1, s1
	v_add_co_u32_e32 v0, vcc, s0, v0
	v_addc_co_u32_e32 v1, vcc, 0, v1, vcc
	s_and_b64 vcc, exec, s[8:9]
	s_cbranch_vccnz .LBB87_792
; %bb.785:
	v_cmp_gt_i16_e64 s[0:1], s3, 25
	s_mov_b64 s[10:11], -1
	s_mov_b64 s[8:9], 0
	s_and_b64 vcc, exec, s[0:1]
	s_mov_b64 s[0:1], 0
	s_cbranch_vccz .LBB87_864
; %bb.786:
	v_cmp_gt_i16_e64 s[0:1], s3, 28
	s_and_b64 vcc, exec, s[0:1]
	s_cbranch_vccz .LBB87_795
; %bb.787:
	v_cmp_gt_i16_e64 s[0:1], s3, 43
	s_and_b64 vcc, exec, s[0:1]
	;; [unrolled: 4-line block ×3, first 2 shown]
	s_cbranch_vccz .LBB87_820
; %bb.789:
	v_cmp_eq_u16_e64 s[10:11], s3, 46
	s_mov_b64 s[0:1], -1
	s_and_b64 vcc, exec, s[10:11]
	s_cbranch_vccz .LBB87_791
; %bb.790:
	v_mov_b32_e32 v2, s2
	global_store_dword v[0:1], v2, off
	s_mov_b64 s[0:1], 0
.LBB87_791:
	s_mov_b64 s[10:11], 0
	s_branch .LBB87_821
.LBB87_792:
	s_mov_b64 s[8:9], 0
	s_mov_b64 s[0:1], -1
	s_branch .LBB87_953
.LBB87_793:
	s_mov_b64 s[10:11], 0
	s_branch .LBB87_808
.LBB87_794:
	s_mov_b64 s[10:11], 0
	s_branch .LBB87_804
.LBB87_795:
	s_mov_b64 s[0:1], 0
	s_branch .LBB87_831
.LBB87_796:
	s_trap 2
	s_or_b64 s[4:5], s[4:5], exec
	s_cbranch_execz .LBB87_735
	s_branch .LBB87_736
.LBB87_797:
	s_mov_b64 s[10:11], 0
.LBB87_798:
	s_and_b64 vcc, exec, s[16:17]
	s_cbranch_vccz .LBB87_803
; %bb.799:
	v_cmp_eq_u16_e64 s[16:17], s3, 44
	s_mov_b64 s[10:11], -1
	s_and_b64 vcc, exec, s[16:17]
	s_cbranch_vccz .LBB87_803
; %bb.800:
	s_lshl_b32 s10, s2, 16
	s_bfe_u32 s11, s10, 0x80017
	s_cmpk_eq_i32 s11, 0xff
	v_mov_b32_e32 v1, 0xff
	s_cbranch_scc1 .LBB87_802
; %bb.801:
	s_bfe_u32 s16, s2, 0x90007
	s_bitcmp1_b32 s2, 6
	s_cselect_b64 s[14:15], -1, 0
	s_and_b32 s10, s10, 0x3f0000
	s_or_b32 s10, s11, s10
	s_cmp_lg_u32 s10, 0
	s_cselect_b64 s[10:11], -1, 0
	s_and_b64 s[10:11], s[14:15], s[10:11]
	v_cndmask_b32_e64 v1, 0, 1, s[10:11]
	v_add_u32_e32 v1, s16, v1
.LBB87_802:
	s_mov_b64 s[10:11], 0
	s_mov_b64 s[14:15], -1
	global_store_byte v[2:3], v1, off
.LBB87_803:
	s_mov_b64 s[16:17], 0
.LBB87_804:
	s_and_b64 vcc, exec, s[16:17]
	s_cbranch_vccz .LBB87_807
; %bb.805:
	v_cmp_eq_u16_e64 s[16:17], s3, 29
	s_mov_b64 s[10:11], -1
	s_and_b64 vcc, exec, s[16:17]
	s_cbranch_vccz .LBB87_807
; %bb.806:
	s_lshl_b32 s10, s2, 16
	v_trunc_f32_e32 v1, s10
	v_mul_f32_e32 v4, 0x2f800000, v1
	v_floor_f32_e32 v4, v4
	v_fmac_f32_e32 v1, 0xcf800000, v4
	v_cvt_u32_f32_e32 v5, v4
	v_cvt_u32_f32_e32 v4, v1
	s_mov_b64 s[10:11], 0
	s_mov_b64 s[14:15], -1
	s_mov_b64 s[16:17], 0
	global_store_dwordx2 v[2:3], v[4:5], off
	s_branch .LBB87_808
.LBB87_807:
	s_mov_b64 s[16:17], 0
.LBB87_808:
	s_and_b64 vcc, exec, s[16:17]
	s_cbranch_vccz .LBB87_849
; %bb.809:
	v_cmp_lt_i16_e64 s[16:17], s3, 27
	s_mov_b64 s[14:15], -1
	s_and_b64 vcc, exec, s[16:17]
	s_cbranch_vccnz .LBB87_815
; %bb.810:
	v_cmp_gt_i16_e64 s[16:17], s3, 27
	s_and_b64 vcc, exec, s[16:17]
	s_cbranch_vccz .LBB87_812
; %bb.811:
	s_lshl_b32 s14, s2, 16
	v_cvt_u32_f32_e32 v1, s14
	s_mov_b64 s[14:15], 0
	global_store_dword v[2:3], v1, off
.LBB87_812:
	s_andn2_b64 vcc, exec, s[14:15]
	s_cbranch_vccnz .LBB87_814
; %bb.813:
	s_lshl_b32 s14, s2, 16
	v_cvt_u32_f32_e32 v1, s14
	global_store_short v[2:3], v1, off
.LBB87_814:
	s_mov_b64 s[14:15], 0
.LBB87_815:
	s_andn2_b64 vcc, exec, s[14:15]
	s_cbranch_vccnz .LBB87_848
; %bb.816:
	s_lshl_b32 s18, s2, 16
	s_and_b32 s14, s18, 0x7fffffff
	s_cmp_gt_u32 s14, 0x437fffff
	v_mov_b32_e32 v4, 0x80
	s_cbranch_scc1 .LBB87_847
; %bb.817:
	s_cmp_gt_u32 s14, 0x3bffffff
	s_cbranch_scc0 .LBB87_842
; %bb.818:
	s_bfe_u32 s14, s18, 0x10014
	s_add_i32 s14, s18, s14
	s_add_i32 s14, s14, 0x487ffff
	s_lshr_b32 s19, s14, 20
	s_mov_b64 s[16:17], 0
	s_mov_b64 s[14:15], -1
	s_branch .LBB87_843
.LBB87_819:
	s_mov_b64 s[0:1], 0
	s_branch .LBB87_827
.LBB87_820:
	s_mov_b64 s[0:1], 0
.LBB87_821:
	s_and_b64 vcc, exec, s[10:11]
	s_cbranch_vccz .LBB87_826
; %bb.822:
	v_cmp_eq_u16_e64 s[10:11], s3, 44
	s_mov_b64 s[0:1], -1
	s_and_b64 vcc, exec, s[10:11]
	s_cbranch_vccz .LBB87_826
; %bb.823:
	s_lshl_b32 s0, s2, 16
	s_bfe_u32 s1, s0, 0x80017
	s_cmpk_eq_i32 s1, 0xff
	v_mov_b32_e32 v2, 0xff
	s_cbranch_scc1 .LBB87_825
; %bb.824:
	s_bfe_u32 s12, s2, 0x90007
	s_bitcmp1_b32 s2, 6
	s_cselect_b64 s[10:11], -1, 0
	s_and_b32 s0, s0, 0x3f0000
	s_or_b32 s0, s1, s0
	s_cmp_lg_u32 s0, 0
	s_cselect_b64 s[0:1], -1, 0
	s_and_b64 s[0:1], s[10:11], s[0:1]
	v_cndmask_b32_e64 v2, 0, 1, s[0:1]
	v_add_u32_e32 v2, s12, v2
.LBB87_825:
	s_mov_b64 s[0:1], 0
	global_store_byte v[0:1], v2, off
.LBB87_826:
	s_mov_b64 s[10:11], 0
.LBB87_827:
	s_and_b64 vcc, exec, s[10:11]
	s_cbranch_vccz .LBB87_830
; %bb.828:
	v_cmp_eq_u16_e64 s[10:11], s3, 29
	s_mov_b64 s[0:1], -1
	s_and_b64 vcc, exec, s[10:11]
	s_cbranch_vccz .LBB87_830
; %bb.829:
	s_lshl_b32 s0, s2, 16
	v_trunc_f32_e32 v2, s0
	v_mul_f32_e32 v3, 0x2f800000, v2
	v_floor_f32_e32 v3, v3
	v_fmac_f32_e32 v2, 0xcf800000, v3
	v_cvt_u32_f32_e32 v3, v3
	v_cvt_u32_f32_e32 v2, v2
	s_mov_b64 s[0:1], 0
	global_store_dwordx2 v[0:1], v[2:3], off
.LBB87_830:
	s_mov_b64 s[10:11], 0
.LBB87_831:
	s_and_b64 vcc, exec, s[10:11]
	s_cbranch_vccz .LBB87_863
; %bb.832:
	v_cmp_lt_i16_e64 s[12:13], s3, 27
	s_mov_b64 s[10:11], -1
	s_and_b64 vcc, exec, s[12:13]
	s_cbranch_vccnz .LBB87_838
; %bb.833:
	v_cmp_gt_i16_e64 s[12:13], s3, 27
	s_and_b64 vcc, exec, s[12:13]
	s_cbranch_vccz .LBB87_835
; %bb.834:
	s_lshl_b32 s10, s2, 16
	v_cvt_u32_f32_e32 v2, s10
	s_mov_b64 s[10:11], 0
	global_store_dword v[0:1], v2, off
.LBB87_835:
	s_andn2_b64 vcc, exec, s[10:11]
	s_cbranch_vccnz .LBB87_837
; %bb.836:
	s_lshl_b32 s10, s2, 16
	v_cvt_u32_f32_e32 v2, s10
	global_store_short v[0:1], v2, off
.LBB87_837:
	s_mov_b64 s[10:11], 0
.LBB87_838:
	s_andn2_b64 vcc, exec, s[10:11]
	s_cbranch_vccnz .LBB87_863
; %bb.839:
	s_lshl_b32 s14, s2, 16
	s_and_b32 s10, s14, 0x7fffffff
	s_cmp_gt_u32 s10, 0x437fffff
	v_mov_b32_e32 v3, 0x80
	s_cbranch_scc1 .LBB87_862
; %bb.840:
	s_cmp_gt_u32 s10, 0x3bffffff
	s_cbranch_scc0 .LBB87_857
; %bb.841:
	s_bfe_u32 s10, s14, 0x10014
	s_add_i32 s10, s14, s10
	s_add_i32 s10, s10, 0x487ffff
	s_lshr_b32 s15, s10, 20
	s_mov_b64 s[12:13], 0
	s_mov_b64 s[10:11], -1
	s_branch .LBB87_858
.LBB87_842:
	s_mov_b64 s[16:17], -1
	s_mov_b64 s[14:15], 0
                                        ; implicit-def: $sgpr19
.LBB87_843:
	s_andn2_b64 vcc, exec, s[16:17]
	v_mov_b32_e32 v1, s19
                                        ; implicit-def: $sgpr16
	s_cbranch_vccnz .LBB87_845
; %bb.844:
	v_mov_b32_e32 v1, 0x46000000
	v_add_f32_e64 v1, |s18|, v1
	v_and_b32_e32 v1, 0xff, v1
	s_mov_b32 s16, 0
	v_cmp_ne_u32_e64 s[14:15], 0, v1
.LBB87_845:
	s_andn2_b64 vcc, exec, s[14:15]
	v_mov_b32_e32 v4, s16
	s_cbranch_vccnz .LBB87_847
; %bb.846:
	s_lshr_b32 s14, s18, 24
	s_and_b32 s14, s14, 0x80
	v_or_b32_e32 v4, s14, v1
.LBB87_847:
	global_store_byte v[2:3], v4, off
.LBB87_848:
	s_mov_b64 s[14:15], -1
.LBB87_849:
	s_mov_b64 s[16:17], 0
.LBB87_850:
	s_and_b64 vcc, exec, s[16:17]
	s_cbranch_vccz .LBB87_910
; %bb.851:
	v_cmp_gt_i16_e64 s[16:17], s3, 22
	s_mov_b64 s[12:13], -1
	s_and_b64 vcc, exec, s[16:17]
	s_cbranch_vccz .LBB87_903
; %bb.852:
	v_cmp_lt_i16_e64 s[14:15], s3, 24
	s_and_b64 vcc, exec, s[14:15]
	s_cbranch_vccnz .LBB87_890
; %bb.853:
	v_cmp_gt_i16_e64 s[14:15], s3, 24
	s_and_b64 vcc, exec, s[14:15]
	s_cbranch_vccz .LBB87_877
; %bb.854:
	s_lshl_b32 s16, s2, 16
	s_and_b32 s12, s16, 0x7fffffff
	s_cmp_gt_u32 s12, 0x477fffff
	v_mov_b32_e32 v4, 0x80
	s_cbranch_scc1 .LBB87_876
; %bb.855:
	s_cmp_gt_u32 s12, 0x37ffffff
	s_cbranch_scc0 .LBB87_871
; %bb.856:
	s_bfe_u32 s12, s16, 0x10015
	s_add_i32 s12, s16, s12
	s_add_i32 s12, s12, 0x88fffff
	s_lshr_b32 s17, s12, 21
	s_mov_b64 s[14:15], 0
	s_mov_b64 s[12:13], -1
	s_branch .LBB87_872
.LBB87_857:
	s_mov_b64 s[12:13], -1
	s_mov_b64 s[10:11], 0
                                        ; implicit-def: $sgpr15
.LBB87_858:
	s_andn2_b64 vcc, exec, s[12:13]
	v_mov_b32_e32 v2, s15
                                        ; implicit-def: $sgpr12
	s_cbranch_vccnz .LBB87_860
; %bb.859:
	v_mov_b32_e32 v2, 0x46000000
	v_add_f32_e64 v2, |s14|, v2
	v_and_b32_e32 v2, 0xff, v2
	s_mov_b32 s12, 0
	v_cmp_ne_u32_e64 s[10:11], 0, v2
.LBB87_860:
	s_andn2_b64 vcc, exec, s[10:11]
	v_mov_b32_e32 v3, s12
	s_cbranch_vccnz .LBB87_862
; %bb.861:
	s_lshr_b32 s10, s14, 24
	s_and_b32 s10, s10, 0x80
	v_or_b32_e32 v3, s10, v2
.LBB87_862:
	global_store_byte v[0:1], v3, off
.LBB87_863:
	s_mov_b64 s[10:11], 0
.LBB87_864:
	s_and_b64 vcc, exec, s[10:11]
	s_cbranch_vccz .LBB87_1037
; %bb.865:
	v_cmp_gt_i16_e64 s[10:11], s3, 22
	s_mov_b64 s[8:9], -1
	s_and_b64 vcc, exec, s[10:11]
	s_cbranch_vccz .LBB87_1030
; %bb.866:
	v_cmp_lt_i16_e64 s[10:11], s3, 24
	s_and_b64 vcc, exec, s[10:11]
	s_cbranch_vccnz .LBB87_1017
; %bb.867:
	v_cmp_gt_i16_e64 s[10:11], s3, 24
	s_and_b64 vcc, exec, s[10:11]
	s_cbranch_vccz .LBB87_1004
; %bb.868:
	s_lshl_b32 s12, s2, 16
	s_and_b32 s8, s12, 0x7fffffff
	s_cmp_gt_u32 s8, 0x477fffff
	v_mov_b32_e32 v3, 0x80
	s_cbranch_scc1 .LBB87_1003
; %bb.869:
	s_cmp_gt_u32 s8, 0x37ffffff
	s_cbranch_scc0 .LBB87_998
; %bb.870:
	s_bfe_u32 s8, s12, 0x10015
	s_add_i32 s8, s12, s8
	s_add_i32 s8, s8, 0x88fffff
	s_lshr_b32 s13, s8, 21
	s_mov_b64 s[10:11], 0
	s_mov_b64 s[8:9], -1
	s_branch .LBB87_999
.LBB87_871:
	s_mov_b64 s[14:15], -1
	s_mov_b64 s[12:13], 0
                                        ; implicit-def: $sgpr17
.LBB87_872:
	s_andn2_b64 vcc, exec, s[14:15]
	v_mov_b32_e32 v1, s17
                                        ; implicit-def: $sgpr14
	s_cbranch_vccnz .LBB87_874
; %bb.873:
	v_mov_b32_e32 v1, 0x42800000
	v_add_f32_e64 v1, |s16|, v1
	v_and_b32_e32 v1, 0xff, v1
	s_mov_b32 s14, 0
	v_cmp_ne_u32_e64 s[12:13], 0, v1
.LBB87_874:
	s_andn2_b64 vcc, exec, s[12:13]
	v_mov_b32_e32 v4, s14
	s_cbranch_vccnz .LBB87_876
; %bb.875:
	s_lshr_b32 s12, s16, 24
	s_and_b32 s12, s12, 0x80
	v_or_b32_e32 v4, s12, v1
.LBB87_876:
	s_mov_b64 s[12:13], 0
	global_store_byte v[2:3], v4, off
.LBB87_877:
	s_and_b64 vcc, exec, s[12:13]
	s_cbranch_vccz .LBB87_889
; %bb.878:
	s_lshl_b32 s14, s2, 16
	s_and_b32 s15, s14, 0x7fffffff
	s_cmp_lt_u32 s15, 0x43f00000
	s_cbranch_scc0 .LBB87_881
; %bb.879:
	s_cmp_gt_u32 s15, 0x3c7fffff
	s_cbranch_scc0 .LBB87_882
; %bb.880:
	s_bfe_u32 s12, s14, 0x10014
	s_add_i32 s12, s14, s12
	s_add_i32 s12, s12, 0x407ffff
	s_lshr_b32 s13, s12, 20
	s_and_b32 s12, s12, 0xff00000
	s_cmp_lg_u32 s12, 0x7f00000
	s_cselect_b32 s16, s13, 0x7e
	s_mov_b64 s[12:13], 0
	s_branch .LBB87_883
.LBB87_881:
	s_mov_b64 s[12:13], -1
                                        ; implicit-def: $vgpr1
	s_branch .LBB87_886
.LBB87_882:
	s_mov_b64 s[12:13], -1
                                        ; implicit-def: $sgpr16
.LBB87_883:
	s_andn2_b64 vcc, exec, s[12:13]
	v_mov_b32_e32 v1, s16
	s_cbranch_vccnz .LBB87_885
; %bb.884:
	v_mov_b32_e32 v1, 0x46800000
	v_add_f32_e64 v1, |s14|, v1
.LBB87_885:
	s_mov_b64 s[12:13], 0
.LBB87_886:
	s_andn2_b64 vcc, exec, s[12:13]
	s_cbranch_vccnz .LBB87_888
; %bb.887:
	s_cmp_gt_u32 s15, 0x7f800000
	s_movk_i32 s12, 0x7f
	s_cselect_b32 s12, s12, 0x7e
	v_mov_b32_e32 v1, s12
.LBB87_888:
	s_lshr_b32 s12, s14, 24
	s_and_b32 s12, s12, 0x80
	v_or_b32_e32 v1, s12, v1
	global_store_byte v[2:3], v1, off
.LBB87_889:
	s_mov_b64 s[12:13], 0
.LBB87_890:
	s_andn2_b64 vcc, exec, s[12:13]
	s_cbranch_vccnz .LBB87_902
; %bb.891:
	s_lshl_b32 s14, s2, 16
	s_and_b32 s15, s14, 0x7fffffff
	s_cmp_lt_u32 s15, 0x47800000
	s_cbranch_scc0 .LBB87_894
; %bb.892:
	s_cmp_gt_u32 s15, 0x387fffff
	s_cbranch_scc0 .LBB87_895
; %bb.893:
	s_bfe_u32 s12, s14, 0x10015
	s_add_i32 s12, s14, s12
	s_add_i32 s12, s12, 0x80fffff
	s_lshr_b32 s16, s12, 21
	s_mov_b64 s[12:13], 0
	s_branch .LBB87_896
.LBB87_894:
	s_mov_b64 s[12:13], -1
                                        ; implicit-def: $vgpr1
	s_branch .LBB87_899
.LBB87_895:
	s_mov_b64 s[12:13], -1
                                        ; implicit-def: $sgpr16
.LBB87_896:
	s_andn2_b64 vcc, exec, s[12:13]
	v_mov_b32_e32 v1, s16
	s_cbranch_vccnz .LBB87_898
; %bb.897:
	v_mov_b32_e32 v1, 0x43000000
	v_add_f32_e64 v1, |s14|, v1
.LBB87_898:
	s_mov_b64 s[12:13], 0
.LBB87_899:
	s_andn2_b64 vcc, exec, s[12:13]
	s_cbranch_vccnz .LBB87_901
; %bb.900:
	s_cmp_gt_u32 s15, 0x7f800000
	s_movk_i32 s12, 0x7f
	s_cselect_b32 s12, s12, 0x7c
	v_mov_b32_e32 v1, s12
.LBB87_901:
	s_lshr_b32 s12, s14, 24
	s_and_b32 s12, s12, 0x80
	v_or_b32_e32 v1, s12, v1
	global_store_byte v[2:3], v1, off
.LBB87_902:
	s_mov_b64 s[12:13], 0
	s_mov_b64 s[14:15], -1
.LBB87_903:
	s_andn2_b64 vcc, exec, s[12:13]
	s_mov_b64 s[12:13], 0
	s_cbranch_vccnz .LBB87_910
; %bb.904:
	v_cmp_gt_i16_e64 s[12:13], s3, 14
	s_mov_b64 s[16:17], -1
	s_and_b64 vcc, exec, s[12:13]
	s_cbranch_vccz .LBB87_908
; %bb.905:
	v_cmp_eq_u16_e64 s[12:13], s3, 15
	s_mov_b64 s[10:11], -1
	s_and_b64 vcc, exec, s[12:13]
	s_cbranch_vccz .LBB87_907
; %bb.906:
	v_mov_b32_e32 v1, s2
	global_store_short v[2:3], v1, off
	s_mov_b64 s[10:11], 0
	s_mov_b64 s[14:15], -1
.LBB87_907:
	s_mov_b64 s[16:17], 0
.LBB87_908:
	s_mov_b64 s[12:13], 0
	s_and_b64 vcc, exec, s[16:17]
	s_cbranch_vccz .LBB87_910
; %bb.909:
	v_cmp_ne_u16_e64 s[10:11], s3, 11
	s_mov_b64 s[12:13], -1
.LBB87_910:
	s_and_b64 vcc, exec, s[10:11]
	s_cbranch_vccnz .LBB87_997
; %bb.911:
	s_andn2_b64 vcc, exec, s[12:13]
	s_cbranch_vccnz .LBB87_913
.LBB87_912:
	s_and_b32 s10, s2, 0x7fff7fff
	s_cmp_lg_u32 s10, 0
	s_cselect_b64 s[10:11], -1, 0
	v_cndmask_b32_e64 v1, 0, 1, s[10:11]
	s_mov_b64 s[14:15], -1
	global_store_byte v[2:3], v1, off
.LBB87_913:
	s_branch .LBB87_783
.LBB87_914:
	v_cmp_lt_i16_e64 s[12:13], s3, 5
	s_mov_b64 s[10:11], -1
	s_and_b64 vcc, exec, s[12:13]
	s_cbranch_vccnz .LBB87_935
; %bb.915:
	v_cmp_lt_i16_e64 s[12:13], s3, 8
	s_and_b64 vcc, exec, s[12:13]
	s_cbranch_vccnz .LBB87_925
; %bb.916:
	v_cmp_lt_i16_e64 s[12:13], s3, 9
	s_and_b64 vcc, exec, s[12:13]
	s_cbranch_vccnz .LBB87_922
; %bb.917:
	v_cmp_gt_i16_e64 s[12:13], s3, 9
	s_and_b64 vcc, exec, s[12:13]
	s_cbranch_vccz .LBB87_919
; %bb.918:
	s_and_b32 s10, s2, 0xffff0000
	s_lshl_b32 s11, s2, 16
	v_cvt_f64_f32_e32 v[4:5], s11
	v_cvt_f64_f32_e32 v[6:7], s10
	global_store_dwordx4 v[2:3], v[4:7], off
	s_mov_b64 s[10:11], 0
.LBB87_919:
	s_andn2_b64 vcc, exec, s[10:11]
	s_cbranch_vccnz .LBB87_921
; %bb.920:
	s_and_b32 s10, s2, 0xffff0000
	s_lshl_b32 s11, s2, 16
	v_mov_b32_e32 v4, s11
	v_mov_b32_e32 v5, s10
	global_store_dwordx2 v[2:3], v[4:5], off
.LBB87_921:
	s_mov_b64 s[10:11], 0
.LBB87_922:
	s_andn2_b64 vcc, exec, s[10:11]
	s_cbranch_vccnz .LBB87_924
; %bb.923:
	s_and_b32 s10, s2, 0xffff0000
	s_lshl_b32 s11, s2, 16
	v_cvt_f16_f32_e32 v1, s11
	v_cvt_f16_f32_sdwa v4, s10 dst_sel:WORD_1 dst_unused:UNUSED_PAD src0_sel:DWORD
	v_or_b32_e32 v1, v4, v1
	global_store_dword v[2:3], v1, off
.LBB87_924:
	s_mov_b64 s[10:11], 0
.LBB87_925:
	s_andn2_b64 vcc, exec, s[10:11]
	s_cbranch_vccnz .LBB87_934
; %bb.926:
	v_cmp_lt_i16_e64 s[12:13], s3, 6
	s_mov_b64 s[10:11], -1
	s_and_b64 vcc, exec, s[12:13]
	s_cbranch_vccnz .LBB87_932
; %bb.927:
	v_cmp_gt_i16_e64 s[12:13], s3, 6
	s_and_b64 vcc, exec, s[12:13]
	s_cbranch_vccz .LBB87_929
; %bb.928:
	s_lshl_b32 s10, s2, 16
	v_cvt_f64_f32_e32 v[4:5], s10
	global_store_dwordx2 v[2:3], v[4:5], off
	s_mov_b64 s[10:11], 0
.LBB87_929:
	s_andn2_b64 vcc, exec, s[10:11]
	s_cbranch_vccnz .LBB87_931
; %bb.930:
	s_lshl_b32 s10, s2, 16
	v_mov_b32_e32 v1, s10
	global_store_dword v[2:3], v1, off
.LBB87_931:
	s_mov_b64 s[10:11], 0
.LBB87_932:
	s_andn2_b64 vcc, exec, s[10:11]
	s_cbranch_vccnz .LBB87_934
; %bb.933:
	s_lshl_b32 s10, s2, 16
	v_cvt_f16_f32_e32 v1, s10
	global_store_short v[2:3], v1, off
.LBB87_934:
	s_mov_b64 s[10:11], 0
.LBB87_935:
	s_andn2_b64 vcc, exec, s[10:11]
	s_cbranch_vccnz .LBB87_951
; %bb.936:
	v_cmp_lt_i16_e64 s[12:13], s3, 2
	s_mov_b64 s[10:11], -1
	s_and_b64 vcc, exec, s[12:13]
	s_cbranch_vccnz .LBB87_946
; %bb.937:
	v_cmp_lt_i16_e64 s[12:13], s3, 3
	s_and_b64 vcc, exec, s[12:13]
	s_cbranch_vccnz .LBB87_943
; %bb.938:
	v_cmp_gt_i16_e64 s[12:13], s3, 3
	s_and_b64 vcc, exec, s[12:13]
	s_cbranch_vccz .LBB87_940
; %bb.939:
	s_lshl_b32 s10, s2, 16
	v_trunc_f32_e32 v1, s10
	s_mov_b32 s10, 0x2f800000
	v_mul_f32_e64 v4, |v1|, s10
	v_floor_f32_e32 v4, v4
	s_mov_b32 s10, 0xcf800000
	v_fma_f32 v5, v4, s10, |v1|
	v_cvt_u32_f32_e32 v5, v5
	v_cvt_u32_f32_e32 v4, v4
	v_ashrrev_i32_e32 v1, 31, v1
	s_mov_b64 s[10:11], 0
	v_xor_b32_e32 v5, v5, v1
	v_xor_b32_e32 v6, v4, v1
	v_sub_co_u32_e32 v4, vcc, v5, v1
	v_subb_co_u32_e32 v5, vcc, v6, v1, vcc
	global_store_dwordx2 v[2:3], v[4:5], off
.LBB87_940:
	s_andn2_b64 vcc, exec, s[10:11]
	s_cbranch_vccnz .LBB87_942
; %bb.941:
	s_lshl_b32 s10, s2, 16
	v_cvt_i32_f32_e32 v1, s10
	global_store_dword v[2:3], v1, off
.LBB87_942:
	s_mov_b64 s[10:11], 0
.LBB87_943:
	s_andn2_b64 vcc, exec, s[10:11]
	s_cbranch_vccnz .LBB87_945
; %bb.944:
	s_lshl_b32 s10, s2, 16
	v_cvt_i32_f32_e32 v1, s10
	global_store_short v[2:3], v1, off
.LBB87_945:
	s_mov_b64 s[10:11], 0
.LBB87_946:
	s_andn2_b64 vcc, exec, s[10:11]
	s_cbranch_vccnz .LBB87_951
; %bb.947:
	v_cmp_gt_i16_e64 s[12:13], s3, 0
	s_mov_b64 s[10:11], -1
	s_and_b64 vcc, exec, s[12:13]
	s_cbranch_vccz .LBB87_949
; %bb.948:
	s_lshl_b32 s10, s2, 16
	v_cvt_i32_f32_e32 v1, s10
	s_mov_b64 s[10:11], 0
	global_store_byte v[2:3], v1, off
.LBB87_949:
	s_andn2_b64 vcc, exec, s[10:11]
	s_cbranch_vccnz .LBB87_951
; %bb.950:
	s_lshl_b32 s10, s2, 16
	v_trunc_f32_e32 v1, s10
	s_mov_b32 s10, 0x2f800000
	v_mul_f32_e64 v4, |v1|, s10
	v_floor_f32_e32 v4, v4
	s_mov_b32 s10, 0xcf800000
	v_fma_f32 v4, v4, s10, |v1|
	v_cvt_u32_f32_e32 v4, v4
	v_ashrrev_i32_e32 v1, 31, v1
	v_xor_b32_e32 v4, v4, v1
	v_sub_u32_e32 v1, v4, v1
	global_store_byte v[2:3], v1, off
.LBB87_951:
	s_branch .LBB87_784
.LBB87_952:
	s_mov_b64 s[0:1], 0
	s_mov_b64 s[8:9], 0
                                        ; implicit-def: $sgpr3
                                        ; implicit-def: $vgpr0_vgpr1
.LBB87_953:
	s_andn2_b64 s[6:7], s[6:7], exec
	s_and_b64 s[4:5], s[4:5], exec
	s_and_b64 s[0:1], s[0:1], exec
	;; [unrolled: 1-line block ×3, first 2 shown]
	s_or_b64 s[6:7], s[6:7], s[4:5]
.LBB87_954:
	s_or_b64 exec, exec, s[24:25]
	s_and_saveexec_b64 s[4:5], s[6:7]
	s_cbranch_execz .LBB87_957
; %bb.955:
	; divergent unreachable
	s_or_b64 exec, exec, s[4:5]
	s_and_saveexec_b64 s[4:5], s[34:35]
	s_xor_b64 s[4:5], exec, s[4:5]
	s_cbranch_execnz .LBB87_958
.LBB87_956:
	s_or_b64 exec, exec, s[4:5]
	s_and_saveexec_b64 s[4:5], s[0:1]
	s_cbranch_execnz .LBB87_959
	s_branch .LBB87_996
.LBB87_957:
	s_or_b64 exec, exec, s[4:5]
	s_and_saveexec_b64 s[4:5], s[34:35]
	s_xor_b64 s[4:5], exec, s[4:5]
	s_cbranch_execz .LBB87_956
.LBB87_958:
	s_and_b32 s6, s2, 0x7fff7fff
	s_cmp_lg_u32 s6, 0
	s_cselect_b64 s[6:7], -1, 0
	v_cndmask_b32_e64 v2, 0, 1, s[6:7]
	global_store_byte v[0:1], v2, off
	s_or_b64 exec, exec, s[4:5]
	s_and_saveexec_b64 s[4:5], s[0:1]
	s_cbranch_execz .LBB87_996
.LBB87_959:
	v_cmp_lt_i16_e64 s[4:5], s3, 5
	s_mov_b64 s[0:1], -1
	s_and_b64 vcc, exec, s[4:5]
	s_cbranch_vccnz .LBB87_980
; %bb.960:
	v_cmp_lt_i16_e64 s[4:5], s3, 8
	s_and_b64 vcc, exec, s[4:5]
	s_cbranch_vccnz .LBB87_970
; %bb.961:
	v_cmp_lt_i16_e64 s[4:5], s3, 9
	s_and_b64 vcc, exec, s[4:5]
	s_cbranch_vccnz .LBB87_967
; %bb.962:
	v_cmp_gt_i16_e64 s[4:5], s3, 9
	s_and_b64 vcc, exec, s[4:5]
	s_cbranch_vccz .LBB87_964
; %bb.963:
	s_and_b32 s0, s2, 0xffff0000
	s_lshl_b32 s1, s2, 16
	v_cvt_f64_f32_e32 v[2:3], s1
	v_cvt_f64_f32_e32 v[4:5], s0
	global_store_dwordx4 v[0:1], v[2:5], off
	s_mov_b64 s[0:1], 0
.LBB87_964:
	s_andn2_b64 vcc, exec, s[0:1]
	s_cbranch_vccnz .LBB87_966
; %bb.965:
	s_and_b32 s0, s2, 0xffff0000
	s_lshl_b32 s1, s2, 16
	v_mov_b32_e32 v2, s1
	v_mov_b32_e32 v3, s0
	global_store_dwordx2 v[0:1], v[2:3], off
.LBB87_966:
	s_mov_b64 s[0:1], 0
.LBB87_967:
	s_andn2_b64 vcc, exec, s[0:1]
	s_cbranch_vccnz .LBB87_969
; %bb.968:
	s_and_b32 s0, s2, 0xffff0000
	s_lshl_b32 s1, s2, 16
	v_cvt_f16_f32_e32 v2, s1
	v_cvt_f16_f32_sdwa v3, s0 dst_sel:WORD_1 dst_unused:UNUSED_PAD src0_sel:DWORD
	v_or_b32_e32 v2, v3, v2
	global_store_dword v[0:1], v2, off
.LBB87_969:
	s_mov_b64 s[0:1], 0
.LBB87_970:
	s_andn2_b64 vcc, exec, s[0:1]
	s_cbranch_vccnz .LBB87_979
; %bb.971:
	v_cmp_lt_i16_e64 s[4:5], s3, 6
	s_mov_b64 s[0:1], -1
	s_and_b64 vcc, exec, s[4:5]
	s_cbranch_vccnz .LBB87_977
; %bb.972:
	v_cmp_gt_i16_e64 s[4:5], s3, 6
	s_and_b64 vcc, exec, s[4:5]
	s_cbranch_vccz .LBB87_974
; %bb.973:
	s_lshl_b32 s0, s2, 16
	v_cvt_f64_f32_e32 v[2:3], s0
	global_store_dwordx2 v[0:1], v[2:3], off
	s_mov_b64 s[0:1], 0
.LBB87_974:
	s_andn2_b64 vcc, exec, s[0:1]
	s_cbranch_vccnz .LBB87_976
; %bb.975:
	s_lshl_b32 s0, s2, 16
	v_mov_b32_e32 v2, s0
	global_store_dword v[0:1], v2, off
.LBB87_976:
	s_mov_b64 s[0:1], 0
.LBB87_977:
	s_andn2_b64 vcc, exec, s[0:1]
	s_cbranch_vccnz .LBB87_979
; %bb.978:
	s_lshl_b32 s0, s2, 16
	v_cvt_f16_f32_e32 v2, s0
	global_store_short v[0:1], v2, off
.LBB87_979:
	s_mov_b64 s[0:1], 0
.LBB87_980:
	s_andn2_b64 vcc, exec, s[0:1]
	s_cbranch_vccnz .LBB87_996
; %bb.981:
	v_cmp_lt_i16_e64 s[4:5], s3, 2
	s_mov_b64 s[0:1], -1
	s_and_b64 vcc, exec, s[4:5]
	s_cbranch_vccnz .LBB87_991
; %bb.982:
	v_cmp_lt_i16_e64 s[4:5], s3, 3
	s_and_b64 vcc, exec, s[4:5]
	s_cbranch_vccnz .LBB87_988
; %bb.983:
	v_cmp_gt_i16_e64 s[4:5], s3, 3
	s_and_b64 vcc, exec, s[4:5]
	s_cbranch_vccz .LBB87_985
; %bb.984:
	s_lshl_b32 s0, s2, 16
	v_trunc_f32_e32 v2, s0
	s_mov_b32 s0, 0x2f800000
	v_mul_f32_e64 v3, |v2|, s0
	v_floor_f32_e32 v3, v3
	s_mov_b32 s0, 0xcf800000
	v_fma_f32 v4, v3, s0, |v2|
	v_cvt_u32_f32_e32 v4, v4
	v_cvt_u32_f32_e32 v3, v3
	v_ashrrev_i32_e32 v5, 31, v2
	s_mov_b64 s[0:1], 0
	v_xor_b32_e32 v2, v4, v5
	v_xor_b32_e32 v3, v3, v5
	v_sub_co_u32_e32 v2, vcc, v2, v5
	v_subb_co_u32_e32 v3, vcc, v3, v5, vcc
	global_store_dwordx2 v[0:1], v[2:3], off
.LBB87_985:
	s_andn2_b64 vcc, exec, s[0:1]
	s_cbranch_vccnz .LBB87_987
; %bb.986:
	s_lshl_b32 s0, s2, 16
	v_cvt_i32_f32_e32 v2, s0
	global_store_dword v[0:1], v2, off
.LBB87_987:
	s_mov_b64 s[0:1], 0
.LBB87_988:
	s_andn2_b64 vcc, exec, s[0:1]
	s_cbranch_vccnz .LBB87_990
; %bb.989:
	s_lshl_b32 s0, s2, 16
	v_cvt_i32_f32_e32 v2, s0
	global_store_short v[0:1], v2, off
.LBB87_990:
	s_mov_b64 s[0:1], 0
.LBB87_991:
	s_andn2_b64 vcc, exec, s[0:1]
	s_cbranch_vccnz .LBB87_996
; %bb.992:
	v_cmp_gt_i16_e64 s[4:5], s3, 0
	s_mov_b64 s[0:1], -1
	s_and_b64 vcc, exec, s[4:5]
	s_cbranch_vccz .LBB87_994
; %bb.993:
	s_lshl_b32 s0, s2, 16
	v_cvt_i32_f32_e32 v2, s0
	s_mov_b64 s[0:1], 0
	global_store_byte v[0:1], v2, off
.LBB87_994:
	s_andn2_b64 vcc, exec, s[0:1]
	s_cbranch_vccnz .LBB87_996
; %bb.995:
	s_lshl_b32 s0, s2, 16
	v_trunc_f32_e32 v2, s0
	s_mov_b32 s0, 0x2f800000
	v_mul_f32_e64 v3, |v2|, s0
	v_floor_f32_e32 v3, v3
	s_mov_b32 s0, 0xcf800000
	v_fma_f32 v3, v3, s0, |v2|
	v_cvt_u32_f32_e32 v3, v3
	v_ashrrev_i32_e32 v2, 31, v2
	v_xor_b32_e32 v3, v3, v2
	v_sub_u32_e32 v2, v3, v2
	global_store_byte v[0:1], v2, off
	s_endpgm
.LBB87_996:
	s_endpgm
.LBB87_997:
	s_trap 2
	s_or_b64 s[4:5], s[4:5], exec
	s_cbranch_execz .LBB87_912
	s_branch .LBB87_913
.LBB87_998:
	s_mov_b64 s[10:11], -1
	s_mov_b64 s[8:9], 0
                                        ; implicit-def: $sgpr13
.LBB87_999:
	s_andn2_b64 vcc, exec, s[10:11]
	v_mov_b32_e32 v2, s13
                                        ; implicit-def: $sgpr10
	s_cbranch_vccnz .LBB87_1001
; %bb.1000:
	v_mov_b32_e32 v2, 0x42800000
	v_add_f32_e64 v2, |s12|, v2
	v_and_b32_e32 v2, 0xff, v2
	s_mov_b32 s10, 0
	v_cmp_ne_u32_e64 s[8:9], 0, v2
.LBB87_1001:
	s_andn2_b64 vcc, exec, s[8:9]
	v_mov_b32_e32 v3, s10
	s_cbranch_vccnz .LBB87_1003
; %bb.1002:
	s_lshr_b32 s8, s12, 24
	s_and_b32 s8, s8, 0x80
	v_or_b32_e32 v3, s8, v2
.LBB87_1003:
	s_mov_b64 s[8:9], 0
	global_store_byte v[0:1], v3, off
.LBB87_1004:
	s_and_b64 vcc, exec, s[8:9]
	s_cbranch_vccz .LBB87_1016
; %bb.1005:
	s_lshl_b32 s10, s2, 16
	s_and_b32 s11, s10, 0x7fffffff
	s_cmp_lt_u32 s11, 0x43f00000
	s_cbranch_scc0 .LBB87_1008
; %bb.1006:
	s_cmp_gt_u32 s11, 0x3c7fffff
	s_cbranch_scc0 .LBB87_1009
; %bb.1007:
	s_bfe_u32 s8, s10, 0x10014
	s_add_i32 s8, s10, s8
	s_add_i32 s8, s8, 0x407ffff
	s_lshr_b32 s9, s8, 20
	s_and_b32 s8, s8, 0xff00000
	s_cmp_lg_u32 s8, 0x7f00000
	s_cselect_b32 s12, s9, 0x7e
	s_mov_b64 s[8:9], 0
	s_branch .LBB87_1010
.LBB87_1008:
	s_mov_b64 s[8:9], -1
                                        ; implicit-def: $vgpr2
	s_branch .LBB87_1013
.LBB87_1009:
	s_mov_b64 s[8:9], -1
                                        ; implicit-def: $sgpr12
.LBB87_1010:
	s_andn2_b64 vcc, exec, s[8:9]
	v_mov_b32_e32 v2, s12
	s_cbranch_vccnz .LBB87_1012
; %bb.1011:
	v_mov_b32_e32 v2, 0x46800000
	v_add_f32_e64 v2, |s10|, v2
.LBB87_1012:
	s_mov_b64 s[8:9], 0
.LBB87_1013:
	s_andn2_b64 vcc, exec, s[8:9]
	s_cbranch_vccnz .LBB87_1015
; %bb.1014:
	s_cmp_gt_u32 s11, 0x7f800000
	s_movk_i32 s8, 0x7f
	s_cselect_b32 s8, s8, 0x7e
	v_mov_b32_e32 v2, s8
.LBB87_1015:
	s_lshr_b32 s8, s10, 24
	s_and_b32 s8, s8, 0x80
	v_or_b32_e32 v2, s8, v2
	global_store_byte v[0:1], v2, off
.LBB87_1016:
	s_mov_b64 s[8:9], 0
.LBB87_1017:
	s_andn2_b64 vcc, exec, s[8:9]
	s_cbranch_vccnz .LBB87_1029
; %bb.1018:
	s_lshl_b32 s10, s2, 16
	s_and_b32 s11, s10, 0x7fffffff
	s_cmp_lt_u32 s11, 0x47800000
	s_cbranch_scc0 .LBB87_1021
; %bb.1019:
	s_cmp_gt_u32 s11, 0x387fffff
	s_cbranch_scc0 .LBB87_1022
; %bb.1020:
	s_bfe_u32 s8, s10, 0x10015
	s_add_i32 s8, s10, s8
	s_add_i32 s8, s8, 0x80fffff
	s_lshr_b32 s12, s8, 21
	s_mov_b64 s[8:9], 0
	s_branch .LBB87_1023
.LBB87_1021:
	s_mov_b64 s[8:9], -1
                                        ; implicit-def: $vgpr2
	s_branch .LBB87_1026
.LBB87_1022:
	s_mov_b64 s[8:9], -1
                                        ; implicit-def: $sgpr12
.LBB87_1023:
	s_andn2_b64 vcc, exec, s[8:9]
	v_mov_b32_e32 v2, s12
	s_cbranch_vccnz .LBB87_1025
; %bb.1024:
	v_mov_b32_e32 v2, 0x43000000
	v_add_f32_e64 v2, |s10|, v2
.LBB87_1025:
	s_mov_b64 s[8:9], 0
.LBB87_1026:
	s_andn2_b64 vcc, exec, s[8:9]
	s_cbranch_vccnz .LBB87_1028
; %bb.1027:
	s_cmp_gt_u32 s11, 0x7f800000
	s_movk_i32 s8, 0x7f
	s_cselect_b32 s8, s8, 0x7c
	v_mov_b32_e32 v2, s8
.LBB87_1028:
	s_lshr_b32 s8, s10, 24
	s_and_b32 s8, s8, 0x80
	v_or_b32_e32 v2, s8, v2
	global_store_byte v[0:1], v2, off
.LBB87_1029:
	s_mov_b64 s[8:9], 0
.LBB87_1030:
	s_andn2_b64 vcc, exec, s[8:9]
	s_mov_b64 s[8:9], 0
	s_cbranch_vccnz .LBB87_1037
; %bb.1031:
	v_cmp_gt_i16_e64 s[8:9], s3, 14
	s_mov_b64 s[10:11], -1
	s_and_b64 vcc, exec, s[8:9]
	s_cbranch_vccz .LBB87_1035
; %bb.1032:
	v_cmp_eq_u16_e64 s[8:9], s3, 15
	s_mov_b64 s[0:1], -1
	s_and_b64 vcc, exec, s[8:9]
	s_cbranch_vccz .LBB87_1034
; %bb.1033:
	v_mov_b32_e32 v2, s2
	global_store_short v[0:1], v2, off
	s_mov_b64 s[0:1], 0
.LBB87_1034:
	s_mov_b64 s[10:11], 0
.LBB87_1035:
	s_mov_b64 s[8:9], 0
	s_and_b64 vcc, exec, s[10:11]
	s_cbranch_vccz .LBB87_1037
; %bb.1036:
	v_cmp_ne_u16_e64 s[0:1], s3, 11
	s_mov_b64 s[8:9], -1
.LBB87_1037:
	s_and_b64 vcc, exec, s[0:1]
	s_cbranch_vccnz .LBB87_1039
.LBB87_1038:
	s_mov_b64 s[0:1], 0
	s_branch .LBB87_953
.LBB87_1039:
	s_mov_b64 s[8:9], 0
	s_or_b64 s[4:5], s[4:5], exec
	s_trap 2
	s_branch .LBB87_1038
	.section	.rodata,"a",@progbits
	.p2align	6, 0x0
	.amdhsa_kernel _ZN2at6native32elementwise_kernel_manual_unrollILi128ELi4EZNS0_15gpu_kernel_implINS0_11FillFunctorIN3c107complexINS4_8BFloat16EEEEEEEvRNS_18TensorIteratorBaseERKT_EUlibE0_EEviT1_
		.amdhsa_group_segment_fixed_size 0
		.amdhsa_private_segment_fixed_size 0
		.amdhsa_kernarg_size 288
		.amdhsa_user_sgpr_count 6
		.amdhsa_user_sgpr_private_segment_buffer 1
		.amdhsa_user_sgpr_dispatch_ptr 0
		.amdhsa_user_sgpr_queue_ptr 0
		.amdhsa_user_sgpr_kernarg_segment_ptr 1
		.amdhsa_user_sgpr_dispatch_id 0
		.amdhsa_user_sgpr_flat_scratch_init 0
		.amdhsa_user_sgpr_kernarg_preload_length 0
		.amdhsa_user_sgpr_kernarg_preload_offset 0
		.amdhsa_user_sgpr_private_segment_size 0
		.amdhsa_uses_dynamic_stack 0
		.amdhsa_system_sgpr_private_segment_wavefront_offset 0
		.amdhsa_system_sgpr_workgroup_id_x 1
		.amdhsa_system_sgpr_workgroup_id_y 0
		.amdhsa_system_sgpr_workgroup_id_z 0
		.amdhsa_system_sgpr_workgroup_info 0
		.amdhsa_system_vgpr_workitem_id 0
		.amdhsa_next_free_vgpr 21
		.amdhsa_next_free_sgpr 96
		.amdhsa_accum_offset 24
		.amdhsa_reserve_vcc 1
		.amdhsa_reserve_flat_scratch 0
		.amdhsa_float_round_mode_32 0
		.amdhsa_float_round_mode_16_64 0
		.amdhsa_float_denorm_mode_32 3
		.amdhsa_float_denorm_mode_16_64 3
		.amdhsa_dx10_clamp 1
		.amdhsa_ieee_mode 1
		.amdhsa_fp16_overflow 0
		.amdhsa_tg_split 0
		.amdhsa_exception_fp_ieee_invalid_op 0
		.amdhsa_exception_fp_denorm_src 0
		.amdhsa_exception_fp_ieee_div_zero 0
		.amdhsa_exception_fp_ieee_overflow 0
		.amdhsa_exception_fp_ieee_underflow 0
		.amdhsa_exception_fp_ieee_inexact 0
		.amdhsa_exception_int_div_zero 0
	.end_amdhsa_kernel
	.section	.text._ZN2at6native32elementwise_kernel_manual_unrollILi128ELi4EZNS0_15gpu_kernel_implINS0_11FillFunctorIN3c107complexINS4_8BFloat16EEEEEEEvRNS_18TensorIteratorBaseERKT_EUlibE0_EEviT1_,"axG",@progbits,_ZN2at6native32elementwise_kernel_manual_unrollILi128ELi4EZNS0_15gpu_kernel_implINS0_11FillFunctorIN3c107complexINS4_8BFloat16EEEEEEEvRNS_18TensorIteratorBaseERKT_EUlibE0_EEviT1_,comdat
.Lfunc_end87:
	.size	_ZN2at6native32elementwise_kernel_manual_unrollILi128ELi4EZNS0_15gpu_kernel_implINS0_11FillFunctorIN3c107complexINS4_8BFloat16EEEEEEEvRNS_18TensorIteratorBaseERKT_EUlibE0_EEviT1_, .Lfunc_end87-_ZN2at6native32elementwise_kernel_manual_unrollILi128ELi4EZNS0_15gpu_kernel_implINS0_11FillFunctorIN3c107complexINS4_8BFloat16EEEEEEEvRNS_18TensorIteratorBaseERKT_EUlibE0_EEviT1_
                                        ; -- End function
	.section	.AMDGPU.csdata,"",@progbits
; Kernel info:
; codeLenInByte = 19136
; NumSgprs: 100
; NumVgprs: 21
; NumAgprs: 0
; TotalNumVgprs: 21
; ScratchSize: 0
; MemoryBound: 0
; FloatMode: 240
; IeeeMode: 1
; LDSByteSize: 0 bytes/workgroup (compile time only)
; SGPRBlocks: 12
; VGPRBlocks: 2
; NumSGPRsForWavesPerEU: 100
; NumVGPRsForWavesPerEU: 21
; AccumOffset: 24
; Occupancy: 8
; WaveLimiterHint : 1
; COMPUTE_PGM_RSRC2:SCRATCH_EN: 0
; COMPUTE_PGM_RSRC2:USER_SGPR: 6
; COMPUTE_PGM_RSRC2:TRAP_HANDLER: 0
; COMPUTE_PGM_RSRC2:TGID_X_EN: 1
; COMPUTE_PGM_RSRC2:TGID_Y_EN: 0
; COMPUTE_PGM_RSRC2:TGID_Z_EN: 0
; COMPUTE_PGM_RSRC2:TIDIG_COMP_CNT: 0
; COMPUTE_PGM_RSRC3_GFX90A:ACCUM_OFFSET: 5
; COMPUTE_PGM_RSRC3_GFX90A:TG_SPLIT: 0
	.section	.text._ZN2at6native29vectorized_elementwise_kernelILi16ENS0_11FillFunctorIbEESt5arrayIPcLm1EEEEviT0_T1_,"axG",@progbits,_ZN2at6native29vectorized_elementwise_kernelILi16ENS0_11FillFunctorIbEESt5arrayIPcLm1EEEEviT0_T1_,comdat
	.protected	_ZN2at6native29vectorized_elementwise_kernelILi16ENS0_11FillFunctorIbEESt5arrayIPcLm1EEEEviT0_T1_ ; -- Begin function _ZN2at6native29vectorized_elementwise_kernelILi16ENS0_11FillFunctorIbEESt5arrayIPcLm1EEEEviT0_T1_
	.globl	_ZN2at6native29vectorized_elementwise_kernelILi16ENS0_11FillFunctorIbEESt5arrayIPcLm1EEEEviT0_T1_
	.p2align	8
	.type	_ZN2at6native29vectorized_elementwise_kernelILi16ENS0_11FillFunctorIbEESt5arrayIPcLm1EEEEviT0_T1_,@function
_ZN2at6native29vectorized_elementwise_kernelILi16ENS0_11FillFunctorIbEESt5arrayIPcLm1EEEEviT0_T1_: ; @_ZN2at6native29vectorized_elementwise_kernelILi16ENS0_11FillFunctorIbEESt5arrayIPcLm1EEEEviT0_T1_
; %bb.0:
	s_load_dwordx4 s[0:3], s[4:5], 0x0
	s_lshl_b32 s4, s6, 12
	s_waitcnt lgkmcnt(0)
	s_sub_i32 s5, s0, s4
	v_and_b32_e64 v5, s1, 1
	s_cmpk_gt_i32 s5, 0xfff
	s_mov_b64 s[0:1], -1
	v_lshlrev_b16_e32 v1, 8, v5
	s_cbranch_scc0 .LBB88_2
; %bb.1:
	v_or_b32_e32 v3, v5, v1
	s_ashr_i32 s1, s4, 31
	v_lshlrev_b32_e32 v4, 16, v3
	s_add_u32 s0, s2, s4
	v_or_b32_sdwa v6, v3, v4 dst_sel:DWORD dst_unused:UNUSED_PAD src0_sel:WORD_0 src1_sel:DWORD
	s_addc_u32 s1, s3, s1
	v_lshlrev_b32_e32 v2, 4, v0
	v_mov_b32_e32 v7, v6
	v_mov_b32_e32 v8, v6
	;; [unrolled: 1-line block ×3, first 2 shown]
	global_store_dwordx4 v2, v[6:9], s[0:1]
	s_mov_b64 s[0:1], 0
.LBB88_2:
	s_andn2_b64 vcc, exec, s[0:1]
	s_cbranch_vccnz .LBB88_20
; %bb.3:
	v_or_b32_e32 v6, 0x100, v0
	v_or_b32_e32 v2, v5, v1
	v_and_b32_e32 v7, 0xffff, v5
	v_and_b32_e32 v2, 0xffff, v2
	v_cmp_gt_i32_e64 s[0:1], s5, v6
	v_cndmask_b32_e64 v3, v7, v2, s[0:1]
	v_or_b32_e32 v4, 0x200, v0
	v_lshlrev_b32_e32 v8, 16, v5
	v_or_b32_e32 v9, v3, v8
	v_cmp_gt_i32_e64 s[0:1], s5, v4
	v_cndmask_b32_e64 v3, v3, v9, s[0:1]
	s_movk_i32 s7, 0xff
	v_and_b32_sdwa v4, v3, s7 dst_sel:DWORD dst_unused:UNUSED_PAD src0_sel:WORD_1 src1_sel:DWORD
	s_mov_b32 s6, 0xffff
	v_or_b32_e32 v9, 0x300, v0
	v_or_b32_sdwa v4, v4, v1 dst_sel:WORD_1 dst_unused:UNUSED_PAD src0_sel:DWORD src1_sel:DWORD
	v_and_or_b32 v4, v3, s6, v4
	v_cmp_gt_i32_e64 s[0:1], s5, v9
	v_cndmask_b32_e64 v4, v3, v4, s[0:1]
	v_or_b32_e32 v3, 0x400, v0
	v_cmp_gt_i32_e64 s[0:1], s5, v3
	v_cndmask_b32_e64 v3, 0, v7, s[0:1]
	v_or_b32_e32 v9, 0x500, v0
	v_or_b32_sdwa v10, v3, v1 dst_sel:DWORD dst_unused:UNUSED_PAD src0_sel:BYTE_0 src1_sel:DWORD
	v_and_b32_e32 v10, 0xffff, v10
	v_cmp_gt_i32_e64 s[0:1], s5, v9
	s_movk_i32 s8, 0xff00
	v_cndmask_b32_e64 v3, v3, v10, s[0:1]
	v_and_b32_sdwa v9, v3, s8 dst_sel:DWORD dst_unused:UNUSED_PAD src0_sel:WORD_1 src1_sel:DWORD
	v_or_b32_sdwa v9, v5, v9 dst_sel:WORD_1 dst_unused:UNUSED_PAD src0_sel:DWORD src1_sel:DWORD
	v_or_b32_e32 v10, 0x600, v0
	v_and_or_b32 v9, v3, s6, v9
	v_cmp_gt_i32_e64 s[0:1], s5, v10
	v_cndmask_b32_e64 v3, v3, v9, s[0:1]
	v_and_b32_sdwa v9, v3, s7 dst_sel:DWORD dst_unused:UNUSED_PAD src0_sel:WORD_1 src1_sel:DWORD
	v_or_b32_e32 v10, 0x700, v0
	v_or_b32_sdwa v9, v9, v1 dst_sel:WORD_1 dst_unused:UNUSED_PAD src0_sel:DWORD src1_sel:DWORD
	v_and_or_b32 v9, v3, s6, v9
	v_cmp_gt_i32_e64 s[0:1], s5, v10
	v_cndmask_b32_e64 v3, v3, v9, s[0:1]
	v_or_b32_e32 v9, 0x900, v0
	v_cmp_gt_i32_e64 s[0:1], s5, v9
	v_cndmask_b32_e64 v2, v7, v2, s[0:1]
	v_or_b32_e32 v9, 0xa00, v0
	v_or_b32_e32 v8, v2, v8
	v_cmp_gt_i32_e64 s[0:1], s5, v9
	v_cndmask_b32_e64 v2, v2, v8, s[0:1]
	v_and_b32_sdwa v8, v2, s7 dst_sel:DWORD dst_unused:UNUSED_PAD src0_sel:WORD_1 src1_sel:DWORD
	v_or_b32_e32 v9, 0xb00, v0
	v_or_b32_sdwa v8, v8, v1 dst_sel:WORD_1 dst_unused:UNUSED_PAD src0_sel:DWORD src1_sel:DWORD
	v_and_or_b32 v8, v2, s6, v8
	v_cmp_gt_i32_e64 s[0:1], s5, v9
	v_cndmask_b32_e64 v2, v2, v8, s[0:1]
	v_or_b32_e32 v8, 0xc00, v0
	v_cmp_gt_i32_e64 s[0:1], s5, v8
	v_cndmask_b32_e64 v7, 0, v7, s[0:1]
	v_or_b32_e32 v8, 0xd00, v0
	v_or_b32_sdwa v9, v7, v1 dst_sel:DWORD dst_unused:UNUSED_PAD src0_sel:BYTE_0 src1_sel:DWORD
	v_and_b32_e32 v9, 0xffff, v9
	v_cmp_gt_i32_e64 s[0:1], s5, v8
	v_cndmask_b32_e64 v7, v7, v9, s[0:1]
	v_and_b32_sdwa v8, v7, s8 dst_sel:DWORD dst_unused:UNUSED_PAD src0_sel:WORD_1 src1_sel:DWORD
	v_or_b32_sdwa v5, v5, v8 dst_sel:WORD_1 dst_unused:UNUSED_PAD src0_sel:DWORD src1_sel:DWORD
	v_or_b32_e32 v8, 0xe00, v0
	v_and_or_b32 v5, v7, s6, v5
	v_cmp_gt_i32_e64 s[0:1], s5, v8
	v_cndmask_b32_e64 v5, v7, v5, s[0:1]
	v_and_b32_sdwa v7, v5, s7 dst_sel:DWORD dst_unused:UNUSED_PAD src0_sel:WORD_1 src1_sel:DWORD
	v_or_b32_e32 v8, 0xf00, v0
	v_or_b32_sdwa v1, v7, v1 dst_sel:WORD_1 dst_unused:UNUSED_PAD src0_sel:DWORD src1_sel:DWORD
	v_and_or_b32 v1, v5, s6, v1
	v_cmp_gt_i32_e64 s[0:1], s5, v8
	v_cmp_gt_i32_e32 vcc, s5, v0
	v_cndmask_b32_e64 v1, v5, v1, s[0:1]
	s_and_saveexec_b64 s[0:1], vcc
	s_cbranch_execnz .LBB88_21
; %bb.4:
	s_or_b64 exec, exec, s[0:1]
	v_cmp_gt_i32_e32 vcc, s5, v0
	s_and_saveexec_b64 s[0:1], vcc
	s_cbranch_execnz .LBB88_22
.LBB88_5:
	s_or_b64 exec, exec, s[0:1]
	v_cmp_gt_i32_e32 vcc, s5, v0
	s_and_saveexec_b64 s[0:1], vcc
	s_cbranch_execnz .LBB88_23
.LBB88_6:
	s_or_b64 exec, exec, s[0:1]
	v_cmp_gt_i32_e32 vcc, s5, v0
	s_and_saveexec_b64 s[0:1], vcc
	s_cbranch_execnz .LBB88_24
.LBB88_7:
	s_or_b64 exec, exec, s[0:1]
	v_cmp_gt_i32_e32 vcc, s5, v0
	s_and_saveexec_b64 s[0:1], vcc
	s_cbranch_execnz .LBB88_25
.LBB88_8:
	s_or_b64 exec, exec, s[0:1]
	v_cmp_gt_i32_e32 vcc, s5, v0
	s_and_saveexec_b64 s[0:1], vcc
	s_cbranch_execnz .LBB88_26
.LBB88_9:
	s_or_b64 exec, exec, s[0:1]
	v_cmp_gt_i32_e32 vcc, s5, v0
	s_and_saveexec_b64 s[0:1], vcc
	s_cbranch_execnz .LBB88_27
.LBB88_10:
	s_or_b64 exec, exec, s[0:1]
	v_cmp_gt_i32_e32 vcc, s5, v0
	s_and_saveexec_b64 s[0:1], vcc
	s_cbranch_execnz .LBB88_28
.LBB88_11:
	s_or_b64 exec, exec, s[0:1]
	v_cmp_gt_i32_e32 vcc, s5, v0
	s_and_saveexec_b64 s[0:1], vcc
	s_cbranch_execnz .LBB88_29
.LBB88_12:
	s_or_b64 exec, exec, s[0:1]
	v_cmp_gt_i32_e32 vcc, s5, v0
	s_and_saveexec_b64 s[0:1], vcc
	s_cbranch_execnz .LBB88_30
.LBB88_13:
	s_or_b64 exec, exec, s[0:1]
	v_cmp_gt_i32_e32 vcc, s5, v0
	s_and_saveexec_b64 s[0:1], vcc
	s_cbranch_execnz .LBB88_31
.LBB88_14:
	s_or_b64 exec, exec, s[0:1]
	v_cmp_gt_i32_e32 vcc, s5, v0
	s_and_saveexec_b64 s[0:1], vcc
	s_cbranch_execnz .LBB88_32
.LBB88_15:
	s_or_b64 exec, exec, s[0:1]
	v_cmp_gt_i32_e32 vcc, s5, v0
	s_and_saveexec_b64 s[0:1], vcc
	s_cbranch_execnz .LBB88_33
.LBB88_16:
	s_or_b64 exec, exec, s[0:1]
	v_cmp_gt_i32_e32 vcc, s5, v0
	s_and_saveexec_b64 s[0:1], vcc
	s_cbranch_execnz .LBB88_34
.LBB88_17:
	s_or_b64 exec, exec, s[0:1]
	v_cmp_gt_i32_e32 vcc, s5, v0
	s_and_saveexec_b64 s[0:1], vcc
	s_cbranch_execnz .LBB88_35
.LBB88_18:
	s_or_b64 exec, exec, s[0:1]
	v_cmp_gt_i32_e32 vcc, s5, v0
	s_and_saveexec_b64 s[0:1], vcc
	s_cbranch_execz .LBB88_20
.LBB88_19:
	v_lshrrev_b32_e32 v1, 24, v1
	v_add_u32_e32 v0, s4, v0
	global_store_byte v0, v1, s[2:3]
.LBB88_20:
	s_endpgm
.LBB88_21:
	v_or_b32_e32 v0, s4, v0
	global_store_byte v0, v4, s[2:3]
	v_mov_b32_e32 v0, v6
	s_or_b64 exec, exec, s[0:1]
	v_cmp_gt_i32_e32 vcc, s5, v0
	s_and_saveexec_b64 s[0:1], vcc
	s_cbranch_execz .LBB88_5
.LBB88_22:
	v_lshrrev_b32_e32 v5, 8, v4
	v_add_u32_e32 v6, s4, v0
	v_add_u32_e32 v0, 0x100, v0
	global_store_byte v6, v5, s[2:3]
	s_or_b64 exec, exec, s[0:1]
	v_cmp_gt_i32_e32 vcc, s5, v0
	s_and_saveexec_b64 s[0:1], vcc
	s_cbranch_execz .LBB88_6
.LBB88_23:
	v_add_u32_e32 v5, s4, v0
	v_add_u32_e32 v0, 0x100, v0
	global_store_byte_d16_hi v5, v4, s[2:3]
	s_or_b64 exec, exec, s[0:1]
	v_cmp_gt_i32_e32 vcc, s5, v0
	s_and_saveexec_b64 s[0:1], vcc
	s_cbranch_execz .LBB88_7
.LBB88_24:
	v_lshrrev_b32_e32 v4, 24, v4
	v_add_u32_e32 v5, s4, v0
	v_add_u32_e32 v0, 0x100, v0
	global_store_byte v5, v4, s[2:3]
	s_or_b64 exec, exec, s[0:1]
	v_cmp_gt_i32_e32 vcc, s5, v0
	s_and_saveexec_b64 s[0:1], vcc
	s_cbranch_execz .LBB88_8
.LBB88_25:
	v_add_u32_e32 v4, s4, v0
	v_add_u32_e32 v0, 0x100, v0
	global_store_byte v4, v3, s[2:3]
	s_or_b64 exec, exec, s[0:1]
	v_cmp_gt_i32_e32 vcc, s5, v0
	s_and_saveexec_b64 s[0:1], vcc
	s_cbranch_execz .LBB88_9
.LBB88_26:
	v_lshrrev_b32_e32 v4, 8, v3
	v_add_u32_e32 v5, s4, v0
	v_add_u32_e32 v0, 0x100, v0
	global_store_byte v5, v4, s[2:3]
	s_or_b64 exec, exec, s[0:1]
	v_cmp_gt_i32_e32 vcc, s5, v0
	s_and_saveexec_b64 s[0:1], vcc
	s_cbranch_execz .LBB88_10
.LBB88_27:
	v_add_u32_e32 v4, s4, v0
	v_add_u32_e32 v0, 0x100, v0
	global_store_byte_d16_hi v4, v3, s[2:3]
	s_or_b64 exec, exec, s[0:1]
	v_cmp_gt_i32_e32 vcc, s5, v0
	s_and_saveexec_b64 s[0:1], vcc
	s_cbranch_execz .LBB88_11
.LBB88_28:
	v_lshrrev_b32_e32 v3, 24, v3
	v_add_u32_e32 v4, s4, v0
	v_add_u32_e32 v0, 0x100, v0
	global_store_byte v4, v3, s[2:3]
	s_or_b64 exec, exec, s[0:1]
	v_cmp_gt_i32_e32 vcc, s5, v0
	s_and_saveexec_b64 s[0:1], vcc
	s_cbranch_execz .LBB88_12
.LBB88_29:
	v_add_u32_e32 v3, s4, v0
	v_add_u32_e32 v0, 0x100, v0
	global_store_byte v3, v2, s[2:3]
	s_or_b64 exec, exec, s[0:1]
	v_cmp_gt_i32_e32 vcc, s5, v0
	s_and_saveexec_b64 s[0:1], vcc
	s_cbranch_execz .LBB88_13
.LBB88_30:
	v_lshrrev_b32_e32 v3, 8, v2
	v_add_u32_e32 v4, s4, v0
	v_add_u32_e32 v0, 0x100, v0
	global_store_byte v4, v3, s[2:3]
	s_or_b64 exec, exec, s[0:1]
	v_cmp_gt_i32_e32 vcc, s5, v0
	s_and_saveexec_b64 s[0:1], vcc
	s_cbranch_execz .LBB88_14
.LBB88_31:
	v_add_u32_e32 v3, s4, v0
	v_add_u32_e32 v0, 0x100, v0
	global_store_byte_d16_hi v3, v2, s[2:3]
	s_or_b64 exec, exec, s[0:1]
	v_cmp_gt_i32_e32 vcc, s5, v0
	s_and_saveexec_b64 s[0:1], vcc
	s_cbranch_execz .LBB88_15
.LBB88_32:
	v_lshrrev_b32_e32 v2, 24, v2
	v_add_u32_e32 v3, s4, v0
	v_add_u32_e32 v0, 0x100, v0
	global_store_byte v3, v2, s[2:3]
	s_or_b64 exec, exec, s[0:1]
	v_cmp_gt_i32_e32 vcc, s5, v0
	s_and_saveexec_b64 s[0:1], vcc
	s_cbranch_execz .LBB88_16
.LBB88_33:
	v_add_u32_e32 v2, s4, v0
	v_add_u32_e32 v0, 0x100, v0
	global_store_byte v2, v1, s[2:3]
	s_or_b64 exec, exec, s[0:1]
	v_cmp_gt_i32_e32 vcc, s5, v0
	s_and_saveexec_b64 s[0:1], vcc
	s_cbranch_execz .LBB88_17
.LBB88_34:
	v_lshrrev_b32_e32 v2, 8, v1
	v_add_u32_e32 v3, s4, v0
	v_add_u32_e32 v0, 0x100, v0
	global_store_byte v3, v2, s[2:3]
	s_or_b64 exec, exec, s[0:1]
	v_cmp_gt_i32_e32 vcc, s5, v0
	s_and_saveexec_b64 s[0:1], vcc
	s_cbranch_execz .LBB88_18
.LBB88_35:
	v_add_u32_e32 v2, s4, v0
	v_add_u32_e32 v0, 0x100, v0
	global_store_byte_d16_hi v2, v1, s[2:3]
	s_or_b64 exec, exec, s[0:1]
	v_cmp_gt_i32_e32 vcc, s5, v0
	s_and_saveexec_b64 s[0:1], vcc
	s_cbranch_execnz .LBB88_19
	s_branch .LBB88_20
	.section	.rodata,"a",@progbits
	.p2align	6, 0x0
	.amdhsa_kernel _ZN2at6native29vectorized_elementwise_kernelILi16ENS0_11FillFunctorIbEESt5arrayIPcLm1EEEEviT0_T1_
		.amdhsa_group_segment_fixed_size 0
		.amdhsa_private_segment_fixed_size 0
		.amdhsa_kernarg_size 16
		.amdhsa_user_sgpr_count 6
		.amdhsa_user_sgpr_private_segment_buffer 1
		.amdhsa_user_sgpr_dispatch_ptr 0
		.amdhsa_user_sgpr_queue_ptr 0
		.amdhsa_user_sgpr_kernarg_segment_ptr 1
		.amdhsa_user_sgpr_dispatch_id 0
		.amdhsa_user_sgpr_flat_scratch_init 0
		.amdhsa_user_sgpr_kernarg_preload_length 0
		.amdhsa_user_sgpr_kernarg_preload_offset 0
		.amdhsa_user_sgpr_private_segment_size 0
		.amdhsa_uses_dynamic_stack 0
		.amdhsa_system_sgpr_private_segment_wavefront_offset 0
		.amdhsa_system_sgpr_workgroup_id_x 1
		.amdhsa_system_sgpr_workgroup_id_y 0
		.amdhsa_system_sgpr_workgroup_id_z 0
		.amdhsa_system_sgpr_workgroup_info 0
		.amdhsa_system_vgpr_workitem_id 0
		.amdhsa_next_free_vgpr 11
		.amdhsa_next_free_sgpr 9
		.amdhsa_accum_offset 12
		.amdhsa_reserve_vcc 1
		.amdhsa_reserve_flat_scratch 0
		.amdhsa_float_round_mode_32 0
		.amdhsa_float_round_mode_16_64 0
		.amdhsa_float_denorm_mode_32 3
		.amdhsa_float_denorm_mode_16_64 3
		.amdhsa_dx10_clamp 1
		.amdhsa_ieee_mode 1
		.amdhsa_fp16_overflow 0
		.amdhsa_tg_split 0
		.amdhsa_exception_fp_ieee_invalid_op 0
		.amdhsa_exception_fp_denorm_src 0
		.amdhsa_exception_fp_ieee_div_zero 0
		.amdhsa_exception_fp_ieee_overflow 0
		.amdhsa_exception_fp_ieee_underflow 0
		.amdhsa_exception_fp_ieee_inexact 0
		.amdhsa_exception_int_div_zero 0
	.end_amdhsa_kernel
	.section	.text._ZN2at6native29vectorized_elementwise_kernelILi16ENS0_11FillFunctorIbEESt5arrayIPcLm1EEEEviT0_T1_,"axG",@progbits,_ZN2at6native29vectorized_elementwise_kernelILi16ENS0_11FillFunctorIbEESt5arrayIPcLm1EEEEviT0_T1_,comdat
.Lfunc_end88:
	.size	_ZN2at6native29vectorized_elementwise_kernelILi16ENS0_11FillFunctorIbEESt5arrayIPcLm1EEEEviT0_T1_, .Lfunc_end88-_ZN2at6native29vectorized_elementwise_kernelILi16ENS0_11FillFunctorIbEESt5arrayIPcLm1EEEEviT0_T1_
                                        ; -- End function
	.section	.AMDGPU.csdata,"",@progbits
; Kernel info:
; codeLenInByte = 1508
; NumSgprs: 13
; NumVgprs: 11
; NumAgprs: 0
; TotalNumVgprs: 11
; ScratchSize: 0
; MemoryBound: 0
; FloatMode: 240
; IeeeMode: 1
; LDSByteSize: 0 bytes/workgroup (compile time only)
; SGPRBlocks: 1
; VGPRBlocks: 1
; NumSGPRsForWavesPerEU: 13
; NumVGPRsForWavesPerEU: 11
; AccumOffset: 12
; Occupancy: 8
; WaveLimiterHint : 0
; COMPUTE_PGM_RSRC2:SCRATCH_EN: 0
; COMPUTE_PGM_RSRC2:USER_SGPR: 6
; COMPUTE_PGM_RSRC2:TRAP_HANDLER: 0
; COMPUTE_PGM_RSRC2:TGID_X_EN: 1
; COMPUTE_PGM_RSRC2:TGID_Y_EN: 0
; COMPUTE_PGM_RSRC2:TGID_Z_EN: 0
; COMPUTE_PGM_RSRC2:TIDIG_COMP_CNT: 0
; COMPUTE_PGM_RSRC3_GFX90A:ACCUM_OFFSET: 2
; COMPUTE_PGM_RSRC3_GFX90A:TG_SPLIT: 0
	.section	.text._ZN2at6native29vectorized_elementwise_kernelILi8ENS0_11FillFunctorIbEESt5arrayIPcLm1EEEEviT0_T1_,"axG",@progbits,_ZN2at6native29vectorized_elementwise_kernelILi8ENS0_11FillFunctorIbEESt5arrayIPcLm1EEEEviT0_T1_,comdat
	.protected	_ZN2at6native29vectorized_elementwise_kernelILi8ENS0_11FillFunctorIbEESt5arrayIPcLm1EEEEviT0_T1_ ; -- Begin function _ZN2at6native29vectorized_elementwise_kernelILi8ENS0_11FillFunctorIbEESt5arrayIPcLm1EEEEviT0_T1_
	.globl	_ZN2at6native29vectorized_elementwise_kernelILi8ENS0_11FillFunctorIbEESt5arrayIPcLm1EEEEviT0_T1_
	.p2align	8
	.type	_ZN2at6native29vectorized_elementwise_kernelILi8ENS0_11FillFunctorIbEESt5arrayIPcLm1EEEEviT0_T1_,@function
_ZN2at6native29vectorized_elementwise_kernelILi8ENS0_11FillFunctorIbEESt5arrayIPcLm1EEEEviT0_T1_: ; @_ZN2at6native29vectorized_elementwise_kernelILi8ENS0_11FillFunctorIbEESt5arrayIPcLm1EEEEviT0_T1_
; %bb.0:
	s_load_dwordx4 s[0:3], s[4:5], 0x0
	s_waitcnt lgkmcnt(0)
	s_bitcmp1_b32 s1, 0
	s_cselect_b64 s[4:5], -1, 0
	s_lshl_b32 s6, s6, 12
	s_sub_i32 s7, s0, s6
	s_mov_b64 s[0:1], -1
	s_cmpk_gt_i32 s7, 0xfff
	v_cndmask_b32_e64 v2, 0, 1, s[4:5]
	s_cbranch_scc0 .LBB89_2
; %bb.1:
	s_ashr_i32 s1, s6, 31
	s_add_u32 s0, s2, s6
	s_addc_u32 s1, s3, s1
	s_and_b64 s[4:5], s[4:5], exec
	s_cselect_b32 s4, 0x1010101, 0
	s_cselect_b32 s5, 0x1010100, 0
	v_lshlrev_b32_e32 v1, 3, v0
	v_or_b32_e32 v4, s5, v2
	v_or_b32_e64 v5, s4, 0
	global_store_dwordx2 v1, v[4:5], s[0:1]
	global_store_dwordx2 v1, v[4:5], s[0:1] offset:2048
	s_mov_b64 s[0:1], 0
.LBB89_2:
	s_andn2_b64 vcc, exec, s[0:1]
	s_cbranch_vccnz .LBB89_20
; %bb.3:
	v_lshlrev_b16_e32 v1, 8, v2
	v_or_b32_e32 v6, 0x100, v0
	v_or_b32_e32 v3, v2, v1
	v_and_b32_e32 v3, 0xffff, v3
	v_cmp_gt_i32_e64 s[0:1], s7, v6
	v_cndmask_b32_e64 v4, v2, v3, s[0:1]
	v_or_b32_e32 v5, 0x200, v0
	v_lshlrev_b32_e32 v7, 16, v2
	v_or_b32_e32 v8, v4, v7
	v_cmp_gt_i32_e64 s[0:1], s7, v5
	v_cndmask_b32_e64 v4, v4, v8, s[0:1]
	s_movk_i32 s5, 0xff
	v_and_b32_sdwa v5, v4, s5 dst_sel:DWORD dst_unused:UNUSED_PAD src0_sel:WORD_1 src1_sel:DWORD
	s_mov_b32 s4, 0xffff
	v_or_b32_e32 v8, 0x300, v0
	v_or_b32_sdwa v5, v5, v1 dst_sel:WORD_1 dst_unused:UNUSED_PAD src0_sel:DWORD src1_sel:DWORD
	v_and_or_b32 v5, v4, s4, v5
	v_cmp_gt_i32_e64 s[0:1], s7, v8
	v_cndmask_b32_e64 v5, v4, v5, s[0:1]
	v_or_b32_e32 v4, 0x400, v0
	v_and_b32_e32 v8, 0xffff, v2
	v_cmp_gt_i32_e64 s[0:1], s7, v4
	v_cndmask_b32_e64 v4, 0, v8, s[0:1]
	v_or_b32_e32 v9, 0x500, v0
	v_or_b32_sdwa v10, v4, v1 dst_sel:DWORD dst_unused:UNUSED_PAD src0_sel:BYTE_0 src1_sel:DWORD
	v_and_b32_e32 v10, 0xffff, v10
	v_cmp_gt_i32_e64 s[0:1], s7, v9
	s_movk_i32 s8, 0xff00
	v_cndmask_b32_e64 v4, v4, v10, s[0:1]
	v_and_b32_sdwa v9, v4, s8 dst_sel:DWORD dst_unused:UNUSED_PAD src0_sel:WORD_1 src1_sel:DWORD
	v_or_b32_sdwa v9, v2, v9 dst_sel:WORD_1 dst_unused:UNUSED_PAD src0_sel:DWORD src1_sel:DWORD
	v_or_b32_e32 v10, 0x600, v0
	v_and_or_b32 v9, v4, s4, v9
	v_cmp_gt_i32_e64 s[0:1], s7, v10
	v_cndmask_b32_e64 v4, v4, v9, s[0:1]
	v_and_b32_sdwa v9, v4, s5 dst_sel:DWORD dst_unused:UNUSED_PAD src0_sel:WORD_1 src1_sel:DWORD
	v_or_b32_e32 v10, 0x700, v0
	v_or_b32_sdwa v9, v9, v1 dst_sel:WORD_1 dst_unused:UNUSED_PAD src0_sel:DWORD src1_sel:DWORD
	v_and_or_b32 v9, v4, s4, v9
	v_cmp_gt_i32_e64 s[0:1], s7, v10
	v_cndmask_b32_e64 v4, v4, v9, s[0:1]
	v_or_b32_e32 v9, 0x900, v0
	v_cmp_gt_i32_e64 s[0:1], s7, v9
	v_cndmask_b32_e64 v3, v2, v3, s[0:1]
	v_or_b32_e32 v9, 0xa00, v0
	v_or_b32_e32 v7, v3, v7
	v_cmp_gt_i32_e64 s[0:1], s7, v9
	v_cndmask_b32_e64 v3, v3, v7, s[0:1]
	v_and_b32_sdwa v7, v3, s5 dst_sel:DWORD dst_unused:UNUSED_PAD src0_sel:WORD_1 src1_sel:DWORD
	v_or_b32_e32 v9, 0xb00, v0
	v_or_b32_sdwa v7, v7, v1 dst_sel:WORD_1 dst_unused:UNUSED_PAD src0_sel:DWORD src1_sel:DWORD
	v_and_or_b32 v7, v3, s4, v7
	v_cmp_gt_i32_e64 s[0:1], s7, v9
	v_cndmask_b32_e64 v3, v3, v7, s[0:1]
	v_or_b32_e32 v7, 0xc00, v0
	v_cmp_gt_i32_e64 s[0:1], s7, v7
	v_cndmask_b32_e64 v7, 0, v8, s[0:1]
	v_or_b32_e32 v8, 0xd00, v0
	v_or_b32_sdwa v9, v7, v1 dst_sel:DWORD dst_unused:UNUSED_PAD src0_sel:BYTE_0 src1_sel:DWORD
	v_and_b32_e32 v9, 0xffff, v9
	v_cmp_gt_i32_e64 s[0:1], s7, v8
	v_cndmask_b32_e64 v7, v7, v9, s[0:1]
	v_and_b32_sdwa v8, v7, s8 dst_sel:DWORD dst_unused:UNUSED_PAD src0_sel:WORD_1 src1_sel:DWORD
	v_or_b32_sdwa v2, v2, v8 dst_sel:WORD_1 dst_unused:UNUSED_PAD src0_sel:DWORD src1_sel:DWORD
	v_or_b32_e32 v8, 0xe00, v0
	v_and_or_b32 v2, v7, s4, v2
	v_cmp_gt_i32_e64 s[0:1], s7, v8
	v_cndmask_b32_e64 v2, v7, v2, s[0:1]
	v_and_b32_sdwa v7, v2, s5 dst_sel:DWORD dst_unused:UNUSED_PAD src0_sel:WORD_1 src1_sel:DWORD
	v_or_b32_e32 v8, 0xf00, v0
	v_or_b32_sdwa v1, v7, v1 dst_sel:WORD_1 dst_unused:UNUSED_PAD src0_sel:DWORD src1_sel:DWORD
	v_and_or_b32 v1, v2, s4, v1
	v_cmp_gt_i32_e64 s[0:1], s7, v8
	v_cmp_gt_i32_e32 vcc, s7, v0
	v_cndmask_b32_e64 v1, v2, v1, s[0:1]
	s_and_saveexec_b64 s[0:1], vcc
	s_cbranch_execnz .LBB89_21
; %bb.4:
	s_or_b64 exec, exec, s[0:1]
	v_cmp_gt_i32_e32 vcc, s7, v0
	s_and_saveexec_b64 s[0:1], vcc
	s_cbranch_execnz .LBB89_22
.LBB89_5:
	s_or_b64 exec, exec, s[0:1]
	v_cmp_gt_i32_e32 vcc, s7, v0
	s_and_saveexec_b64 s[0:1], vcc
	s_cbranch_execnz .LBB89_23
.LBB89_6:
	s_or_b64 exec, exec, s[0:1]
	v_cmp_gt_i32_e32 vcc, s7, v0
	s_and_saveexec_b64 s[0:1], vcc
	s_cbranch_execnz .LBB89_24
.LBB89_7:
	s_or_b64 exec, exec, s[0:1]
	v_cmp_gt_i32_e32 vcc, s7, v0
	s_and_saveexec_b64 s[0:1], vcc
	s_cbranch_execnz .LBB89_25
.LBB89_8:
	s_or_b64 exec, exec, s[0:1]
	v_cmp_gt_i32_e32 vcc, s7, v0
	s_and_saveexec_b64 s[0:1], vcc
	s_cbranch_execnz .LBB89_26
.LBB89_9:
	s_or_b64 exec, exec, s[0:1]
	v_cmp_gt_i32_e32 vcc, s7, v0
	s_and_saveexec_b64 s[0:1], vcc
	s_cbranch_execnz .LBB89_27
.LBB89_10:
	s_or_b64 exec, exec, s[0:1]
	v_cmp_gt_i32_e32 vcc, s7, v0
	s_and_saveexec_b64 s[0:1], vcc
	s_cbranch_execnz .LBB89_28
.LBB89_11:
	s_or_b64 exec, exec, s[0:1]
	v_cmp_gt_i32_e32 vcc, s7, v0
	s_and_saveexec_b64 s[0:1], vcc
	s_cbranch_execnz .LBB89_29
.LBB89_12:
	s_or_b64 exec, exec, s[0:1]
	v_cmp_gt_i32_e32 vcc, s7, v0
	s_and_saveexec_b64 s[0:1], vcc
	s_cbranch_execnz .LBB89_30
.LBB89_13:
	s_or_b64 exec, exec, s[0:1]
	v_cmp_gt_i32_e32 vcc, s7, v0
	s_and_saveexec_b64 s[0:1], vcc
	s_cbranch_execnz .LBB89_31
.LBB89_14:
	s_or_b64 exec, exec, s[0:1]
	v_cmp_gt_i32_e32 vcc, s7, v0
	s_and_saveexec_b64 s[0:1], vcc
	s_cbranch_execnz .LBB89_32
.LBB89_15:
	s_or_b64 exec, exec, s[0:1]
	v_cmp_gt_i32_e32 vcc, s7, v0
	s_and_saveexec_b64 s[0:1], vcc
	s_cbranch_execnz .LBB89_33
.LBB89_16:
	s_or_b64 exec, exec, s[0:1]
	v_cmp_gt_i32_e32 vcc, s7, v0
	s_and_saveexec_b64 s[0:1], vcc
	s_cbranch_execnz .LBB89_34
.LBB89_17:
	s_or_b64 exec, exec, s[0:1]
	v_cmp_gt_i32_e32 vcc, s7, v0
	s_and_saveexec_b64 s[0:1], vcc
	s_cbranch_execnz .LBB89_35
.LBB89_18:
	s_or_b64 exec, exec, s[0:1]
	v_cmp_gt_i32_e32 vcc, s7, v0
	s_and_saveexec_b64 s[0:1], vcc
	s_cbranch_execz .LBB89_20
.LBB89_19:
	v_lshrrev_b32_e32 v1, 24, v1
	v_add_u32_e32 v0, s6, v0
	global_store_byte v0, v1, s[2:3]
.LBB89_20:
	s_endpgm
.LBB89_21:
	v_or_b32_e32 v0, s6, v0
	global_store_byte v0, v5, s[2:3]
	v_mov_b32_e32 v0, v6
	s_or_b64 exec, exec, s[0:1]
	v_cmp_gt_i32_e32 vcc, s7, v0
	s_and_saveexec_b64 s[0:1], vcc
	s_cbranch_execz .LBB89_5
.LBB89_22:
	v_lshrrev_b32_e32 v2, 8, v5
	v_add_u32_e32 v6, s6, v0
	v_add_u32_e32 v0, 0x100, v0
	global_store_byte v6, v2, s[2:3]
	s_or_b64 exec, exec, s[0:1]
	v_cmp_gt_i32_e32 vcc, s7, v0
	s_and_saveexec_b64 s[0:1], vcc
	s_cbranch_execz .LBB89_6
.LBB89_23:
	v_add_u32_e32 v2, s6, v0
	v_add_u32_e32 v0, 0x100, v0
	global_store_byte_d16_hi v2, v5, s[2:3]
	s_or_b64 exec, exec, s[0:1]
	v_cmp_gt_i32_e32 vcc, s7, v0
	s_and_saveexec_b64 s[0:1], vcc
	s_cbranch_execz .LBB89_7
.LBB89_24:
	v_lshrrev_b32_e32 v2, 24, v5
	v_add_u32_e32 v5, s6, v0
	v_add_u32_e32 v0, 0x100, v0
	global_store_byte v5, v2, s[2:3]
	s_or_b64 exec, exec, s[0:1]
	v_cmp_gt_i32_e32 vcc, s7, v0
	s_and_saveexec_b64 s[0:1], vcc
	s_cbranch_execz .LBB89_8
.LBB89_25:
	v_add_u32_e32 v2, s6, v0
	v_add_u32_e32 v0, 0x100, v0
	global_store_byte v2, v4, s[2:3]
	s_or_b64 exec, exec, s[0:1]
	v_cmp_gt_i32_e32 vcc, s7, v0
	s_and_saveexec_b64 s[0:1], vcc
	s_cbranch_execz .LBB89_9
.LBB89_26:
	v_lshrrev_b32_e32 v2, 8, v4
	v_add_u32_e32 v5, s6, v0
	v_add_u32_e32 v0, 0x100, v0
	global_store_byte v5, v2, s[2:3]
	s_or_b64 exec, exec, s[0:1]
	v_cmp_gt_i32_e32 vcc, s7, v0
	s_and_saveexec_b64 s[0:1], vcc
	s_cbranch_execz .LBB89_10
.LBB89_27:
	v_add_u32_e32 v2, s6, v0
	v_add_u32_e32 v0, 0x100, v0
	global_store_byte_d16_hi v2, v4, s[2:3]
	s_or_b64 exec, exec, s[0:1]
	v_cmp_gt_i32_e32 vcc, s7, v0
	s_and_saveexec_b64 s[0:1], vcc
	s_cbranch_execz .LBB89_11
.LBB89_28:
	v_lshrrev_b32_e32 v2, 24, v4
	v_add_u32_e32 v4, s6, v0
	v_add_u32_e32 v0, 0x100, v0
	global_store_byte v4, v2, s[2:3]
	s_or_b64 exec, exec, s[0:1]
	v_cmp_gt_i32_e32 vcc, s7, v0
	s_and_saveexec_b64 s[0:1], vcc
	s_cbranch_execz .LBB89_12
.LBB89_29:
	v_add_u32_e32 v2, s6, v0
	v_add_u32_e32 v0, 0x100, v0
	global_store_byte v2, v3, s[2:3]
	s_or_b64 exec, exec, s[0:1]
	v_cmp_gt_i32_e32 vcc, s7, v0
	s_and_saveexec_b64 s[0:1], vcc
	s_cbranch_execz .LBB89_13
.LBB89_30:
	v_lshrrev_b32_e32 v2, 8, v3
	v_add_u32_e32 v4, s6, v0
	v_add_u32_e32 v0, 0x100, v0
	global_store_byte v4, v2, s[2:3]
	s_or_b64 exec, exec, s[0:1]
	v_cmp_gt_i32_e32 vcc, s7, v0
	s_and_saveexec_b64 s[0:1], vcc
	s_cbranch_execz .LBB89_14
.LBB89_31:
	v_add_u32_e32 v2, s6, v0
	v_add_u32_e32 v0, 0x100, v0
	global_store_byte_d16_hi v2, v3, s[2:3]
	s_or_b64 exec, exec, s[0:1]
	v_cmp_gt_i32_e32 vcc, s7, v0
	s_and_saveexec_b64 s[0:1], vcc
	s_cbranch_execz .LBB89_15
.LBB89_32:
	v_lshrrev_b32_e32 v2, 24, v3
	v_add_u32_e32 v3, s6, v0
	v_add_u32_e32 v0, 0x100, v0
	global_store_byte v3, v2, s[2:3]
	s_or_b64 exec, exec, s[0:1]
	v_cmp_gt_i32_e32 vcc, s7, v0
	s_and_saveexec_b64 s[0:1], vcc
	s_cbranch_execz .LBB89_16
.LBB89_33:
	v_add_u32_e32 v2, s6, v0
	v_add_u32_e32 v0, 0x100, v0
	global_store_byte v2, v1, s[2:3]
	s_or_b64 exec, exec, s[0:1]
	v_cmp_gt_i32_e32 vcc, s7, v0
	s_and_saveexec_b64 s[0:1], vcc
	s_cbranch_execz .LBB89_17
.LBB89_34:
	v_lshrrev_b32_e32 v2, 8, v1
	v_add_u32_e32 v3, s6, v0
	v_add_u32_e32 v0, 0x100, v0
	global_store_byte v3, v2, s[2:3]
	s_or_b64 exec, exec, s[0:1]
	v_cmp_gt_i32_e32 vcc, s7, v0
	s_and_saveexec_b64 s[0:1], vcc
	s_cbranch_execz .LBB89_18
.LBB89_35:
	v_add_u32_e32 v2, s6, v0
	v_add_u32_e32 v0, 0x100, v0
	global_store_byte_d16_hi v2, v1, s[2:3]
	s_or_b64 exec, exec, s[0:1]
	v_cmp_gt_i32_e32 vcc, s7, v0
	s_and_saveexec_b64 s[0:1], vcc
	s_cbranch_execnz .LBB89_19
	s_branch .LBB89_20
	.section	.rodata,"a",@progbits
	.p2align	6, 0x0
	.amdhsa_kernel _ZN2at6native29vectorized_elementwise_kernelILi8ENS0_11FillFunctorIbEESt5arrayIPcLm1EEEEviT0_T1_
		.amdhsa_group_segment_fixed_size 0
		.amdhsa_private_segment_fixed_size 0
		.amdhsa_kernarg_size 16
		.amdhsa_user_sgpr_count 6
		.amdhsa_user_sgpr_private_segment_buffer 1
		.amdhsa_user_sgpr_dispatch_ptr 0
		.amdhsa_user_sgpr_queue_ptr 0
		.amdhsa_user_sgpr_kernarg_segment_ptr 1
		.amdhsa_user_sgpr_dispatch_id 0
		.amdhsa_user_sgpr_flat_scratch_init 0
		.amdhsa_user_sgpr_kernarg_preload_length 0
		.amdhsa_user_sgpr_kernarg_preload_offset 0
		.amdhsa_user_sgpr_private_segment_size 0
		.amdhsa_uses_dynamic_stack 0
		.amdhsa_system_sgpr_private_segment_wavefront_offset 0
		.amdhsa_system_sgpr_workgroup_id_x 1
		.amdhsa_system_sgpr_workgroup_id_y 0
		.amdhsa_system_sgpr_workgroup_id_z 0
		.amdhsa_system_sgpr_workgroup_info 0
		.amdhsa_system_vgpr_workitem_id 0
		.amdhsa_next_free_vgpr 11
		.amdhsa_next_free_sgpr 9
		.amdhsa_accum_offset 12
		.amdhsa_reserve_vcc 1
		.amdhsa_reserve_flat_scratch 0
		.amdhsa_float_round_mode_32 0
		.amdhsa_float_round_mode_16_64 0
		.amdhsa_float_denorm_mode_32 3
		.amdhsa_float_denorm_mode_16_64 3
		.amdhsa_dx10_clamp 1
		.amdhsa_ieee_mode 1
		.amdhsa_fp16_overflow 0
		.amdhsa_tg_split 0
		.amdhsa_exception_fp_ieee_invalid_op 0
		.amdhsa_exception_fp_denorm_src 0
		.amdhsa_exception_fp_ieee_div_zero 0
		.amdhsa_exception_fp_ieee_overflow 0
		.amdhsa_exception_fp_ieee_underflow 0
		.amdhsa_exception_fp_ieee_inexact 0
		.amdhsa_exception_int_div_zero 0
	.end_amdhsa_kernel
	.section	.text._ZN2at6native29vectorized_elementwise_kernelILi8ENS0_11FillFunctorIbEESt5arrayIPcLm1EEEEviT0_T1_,"axG",@progbits,_ZN2at6native29vectorized_elementwise_kernelILi8ENS0_11FillFunctorIbEESt5arrayIPcLm1EEEEviT0_T1_,comdat
.Lfunc_end89:
	.size	_ZN2at6native29vectorized_elementwise_kernelILi8ENS0_11FillFunctorIbEESt5arrayIPcLm1EEEEviT0_T1_, .Lfunc_end89-_ZN2at6native29vectorized_elementwise_kernelILi8ENS0_11FillFunctorIbEESt5arrayIPcLm1EEEEviT0_T1_
                                        ; -- End function
	.section	.AMDGPU.csdata,"",@progbits
; Kernel info:
; codeLenInByte = 1528
; NumSgprs: 13
; NumVgprs: 11
; NumAgprs: 0
; TotalNumVgprs: 11
; ScratchSize: 0
; MemoryBound: 0
; FloatMode: 240
; IeeeMode: 1
; LDSByteSize: 0 bytes/workgroup (compile time only)
; SGPRBlocks: 1
; VGPRBlocks: 1
; NumSGPRsForWavesPerEU: 13
; NumVGPRsForWavesPerEU: 11
; AccumOffset: 12
; Occupancy: 8
; WaveLimiterHint : 1
; COMPUTE_PGM_RSRC2:SCRATCH_EN: 0
; COMPUTE_PGM_RSRC2:USER_SGPR: 6
; COMPUTE_PGM_RSRC2:TRAP_HANDLER: 0
; COMPUTE_PGM_RSRC2:TGID_X_EN: 1
; COMPUTE_PGM_RSRC2:TGID_Y_EN: 0
; COMPUTE_PGM_RSRC2:TGID_Z_EN: 0
; COMPUTE_PGM_RSRC2:TIDIG_COMP_CNT: 0
; COMPUTE_PGM_RSRC3_GFX90A:ACCUM_OFFSET: 2
; COMPUTE_PGM_RSRC3_GFX90A:TG_SPLIT: 0
	.section	.text._ZN2at6native29vectorized_elementwise_kernelILi4ENS0_11FillFunctorIbEESt5arrayIPcLm1EEEEviT0_T1_,"axG",@progbits,_ZN2at6native29vectorized_elementwise_kernelILi4ENS0_11FillFunctorIbEESt5arrayIPcLm1EEEEviT0_T1_,comdat
	.protected	_ZN2at6native29vectorized_elementwise_kernelILi4ENS0_11FillFunctorIbEESt5arrayIPcLm1EEEEviT0_T1_ ; -- Begin function _ZN2at6native29vectorized_elementwise_kernelILi4ENS0_11FillFunctorIbEESt5arrayIPcLm1EEEEviT0_T1_
	.globl	_ZN2at6native29vectorized_elementwise_kernelILi4ENS0_11FillFunctorIbEESt5arrayIPcLm1EEEEviT0_T1_
	.p2align	8
	.type	_ZN2at6native29vectorized_elementwise_kernelILi4ENS0_11FillFunctorIbEESt5arrayIPcLm1EEEEviT0_T1_,@function
_ZN2at6native29vectorized_elementwise_kernelILi4ENS0_11FillFunctorIbEESt5arrayIPcLm1EEEEviT0_T1_: ; @_ZN2at6native29vectorized_elementwise_kernelILi4ENS0_11FillFunctorIbEESt5arrayIPcLm1EEEEviT0_T1_
; %bb.0:
	s_load_dwordx4 s[0:3], s[4:5], 0x0
	s_waitcnt lgkmcnt(0)
	s_bitcmp1_b32 s1, 0
	s_cselect_b64 s[4:5], -1, 0
	s_lshl_b32 s6, s6, 12
	s_sub_i32 s7, s0, s6
	s_mov_b64 s[0:1], -1
	s_cmpk_gt_i32 s7, 0xfff
	v_cndmask_b32_e64 v1, 0, 1, s[4:5]
	s_cbranch_scc0 .LBB90_2
; %bb.1:
	s_ashr_i32 s1, s6, 31
	s_add_u32 s0, s2, s6
	s_addc_u32 s1, s3, s1
	s_and_b64 s[4:5], s[4:5], exec
	s_cselect_b32 s4, 0x1010100, 0
	v_lshlrev_b32_e32 v2, 2, v0
	v_or_b32_e32 v3, s4, v1
	global_store_dword v2, v3, s[0:1]
	global_store_dword v2, v3, s[0:1] offset:1024
	global_store_dword v2, v3, s[0:1] offset:2048
	;; [unrolled: 1-line block ×3, first 2 shown]
	s_mov_b64 s[0:1], 0
.LBB90_2:
	s_andn2_b64 vcc, exec, s[0:1]
	s_cbranch_vccnz .LBB90_20
; %bb.3:
	v_lshlrev_b16_e32 v6, 8, v1
	v_or_b32_e32 v5, 0x100, v0
	v_or_b32_e32 v2, v1, v6
	v_and_b32_e32 v2, 0xffff, v2
	v_cmp_gt_i32_e64 s[0:1], s7, v5
	v_cndmask_b32_e64 v3, v1, v2, s[0:1]
	v_or_b32_e32 v4, 0x200, v0
	v_lshlrev_b32_e32 v7, 16, v1
	v_or_b32_e32 v8, v3, v7
	v_cmp_gt_i32_e64 s[0:1], s7, v4
	v_cndmask_b32_e64 v3, v3, v8, s[0:1]
	s_movk_i32 s5, 0xff
	v_and_b32_sdwa v4, v3, s5 dst_sel:DWORD dst_unused:UNUSED_PAD src0_sel:WORD_1 src1_sel:DWORD
	s_mov_b32 s4, 0xffff
	v_or_b32_e32 v8, 0x300, v0
	v_or_b32_sdwa v4, v4, v6 dst_sel:WORD_1 dst_unused:UNUSED_PAD src0_sel:DWORD src1_sel:DWORD
	v_and_or_b32 v4, v3, s4, v4
	v_cmp_gt_i32_e64 s[0:1], s7, v8
	v_cndmask_b32_e64 v4, v3, v4, s[0:1]
	v_or_b32_e32 v3, 0x400, v0
	v_and_b32_e32 v8, 0xffff, v1
	v_cmp_gt_i32_e64 s[0:1], s7, v3
	v_cndmask_b32_e64 v3, 0, v8, s[0:1]
	v_or_b32_e32 v9, 0x500, v0
	v_or_b32_sdwa v10, v3, v6 dst_sel:DWORD dst_unused:UNUSED_PAD src0_sel:BYTE_0 src1_sel:DWORD
	v_and_b32_e32 v10, 0xffff, v10
	v_cmp_gt_i32_e64 s[0:1], s7, v9
	s_movk_i32 s8, 0xff00
	v_cndmask_b32_e64 v3, v3, v10, s[0:1]
	v_and_b32_sdwa v9, v3, s8 dst_sel:DWORD dst_unused:UNUSED_PAD src0_sel:WORD_1 src1_sel:DWORD
	v_or_b32_sdwa v9, v1, v9 dst_sel:WORD_1 dst_unused:UNUSED_PAD src0_sel:DWORD src1_sel:DWORD
	v_or_b32_e32 v10, 0x600, v0
	v_and_or_b32 v9, v3, s4, v9
	v_cmp_gt_i32_e64 s[0:1], s7, v10
	v_cndmask_b32_e64 v3, v3, v9, s[0:1]
	v_and_b32_sdwa v9, v3, s5 dst_sel:DWORD dst_unused:UNUSED_PAD src0_sel:WORD_1 src1_sel:DWORD
	v_or_b32_e32 v10, 0x700, v0
	v_or_b32_sdwa v9, v9, v6 dst_sel:WORD_1 dst_unused:UNUSED_PAD src0_sel:DWORD src1_sel:DWORD
	v_and_or_b32 v9, v3, s4, v9
	v_cmp_gt_i32_e64 s[0:1], s7, v10
	v_cndmask_b32_e64 v3, v3, v9, s[0:1]
	v_or_b32_e32 v9, 0x900, v0
	v_cmp_gt_i32_e64 s[0:1], s7, v9
	v_cndmask_b32_e64 v2, v1, v2, s[0:1]
	v_or_b32_e32 v9, 0xa00, v0
	v_or_b32_e32 v7, v2, v7
	v_cmp_gt_i32_e64 s[0:1], s7, v9
	v_cndmask_b32_e64 v2, v2, v7, s[0:1]
	v_and_b32_sdwa v7, v2, s5 dst_sel:DWORD dst_unused:UNUSED_PAD src0_sel:WORD_1 src1_sel:DWORD
	v_or_b32_e32 v9, 0xb00, v0
	v_or_b32_sdwa v7, v7, v6 dst_sel:WORD_1 dst_unused:UNUSED_PAD src0_sel:DWORD src1_sel:DWORD
	v_and_or_b32 v7, v2, s4, v7
	v_cmp_gt_i32_e64 s[0:1], s7, v9
	v_cndmask_b32_e64 v2, v2, v7, s[0:1]
	v_or_b32_e32 v7, 0xc00, v0
	v_cmp_gt_i32_e64 s[0:1], s7, v7
	v_cndmask_b32_e64 v7, 0, v8, s[0:1]
	v_or_b32_e32 v8, 0xd00, v0
	v_or_b32_sdwa v9, v7, v6 dst_sel:DWORD dst_unused:UNUSED_PAD src0_sel:BYTE_0 src1_sel:DWORD
	v_and_b32_e32 v9, 0xffff, v9
	v_cmp_gt_i32_e64 s[0:1], s7, v8
	v_cndmask_b32_e64 v7, v7, v9, s[0:1]
	v_and_b32_sdwa v8, v7, s8 dst_sel:DWORD dst_unused:UNUSED_PAD src0_sel:WORD_1 src1_sel:DWORD
	v_or_b32_sdwa v1, v1, v8 dst_sel:WORD_1 dst_unused:UNUSED_PAD src0_sel:DWORD src1_sel:DWORD
	v_or_b32_e32 v8, 0xe00, v0
	v_and_or_b32 v1, v7, s4, v1
	v_cmp_gt_i32_e64 s[0:1], s7, v8
	v_cndmask_b32_e64 v1, v7, v1, s[0:1]
	v_and_b32_sdwa v7, v1, s5 dst_sel:DWORD dst_unused:UNUSED_PAD src0_sel:WORD_1 src1_sel:DWORD
	v_or_b32_e32 v8, 0xf00, v0
	v_or_b32_sdwa v6, v7, v6 dst_sel:WORD_1 dst_unused:UNUSED_PAD src0_sel:DWORD src1_sel:DWORD
	v_and_or_b32 v6, v1, s4, v6
	v_cmp_gt_i32_e64 s[0:1], s7, v8
	v_cmp_gt_i32_e32 vcc, s7, v0
	v_cndmask_b32_e64 v1, v1, v6, s[0:1]
	s_and_saveexec_b64 s[0:1], vcc
	s_cbranch_execnz .LBB90_21
; %bb.4:
	s_or_b64 exec, exec, s[0:1]
	v_cmp_gt_i32_e32 vcc, s7, v0
	s_and_saveexec_b64 s[0:1], vcc
	s_cbranch_execnz .LBB90_22
.LBB90_5:
	s_or_b64 exec, exec, s[0:1]
	v_cmp_gt_i32_e32 vcc, s7, v0
	s_and_saveexec_b64 s[0:1], vcc
	s_cbranch_execnz .LBB90_23
.LBB90_6:
	s_or_b64 exec, exec, s[0:1]
	v_cmp_gt_i32_e32 vcc, s7, v0
	s_and_saveexec_b64 s[0:1], vcc
	s_cbranch_execnz .LBB90_24
.LBB90_7:
	s_or_b64 exec, exec, s[0:1]
	v_cmp_gt_i32_e32 vcc, s7, v0
	s_and_saveexec_b64 s[0:1], vcc
	s_cbranch_execnz .LBB90_25
.LBB90_8:
	s_or_b64 exec, exec, s[0:1]
	v_cmp_gt_i32_e32 vcc, s7, v0
	s_and_saveexec_b64 s[0:1], vcc
	s_cbranch_execnz .LBB90_26
.LBB90_9:
	s_or_b64 exec, exec, s[0:1]
	v_cmp_gt_i32_e32 vcc, s7, v0
	s_and_saveexec_b64 s[0:1], vcc
	s_cbranch_execnz .LBB90_27
.LBB90_10:
	s_or_b64 exec, exec, s[0:1]
	v_cmp_gt_i32_e32 vcc, s7, v0
	s_and_saveexec_b64 s[0:1], vcc
	s_cbranch_execnz .LBB90_28
.LBB90_11:
	s_or_b64 exec, exec, s[0:1]
	v_cmp_gt_i32_e32 vcc, s7, v0
	s_and_saveexec_b64 s[0:1], vcc
	s_cbranch_execnz .LBB90_29
.LBB90_12:
	s_or_b64 exec, exec, s[0:1]
	v_cmp_gt_i32_e32 vcc, s7, v0
	s_and_saveexec_b64 s[0:1], vcc
	s_cbranch_execnz .LBB90_30
.LBB90_13:
	s_or_b64 exec, exec, s[0:1]
	v_cmp_gt_i32_e32 vcc, s7, v0
	s_and_saveexec_b64 s[0:1], vcc
	s_cbranch_execnz .LBB90_31
.LBB90_14:
	s_or_b64 exec, exec, s[0:1]
	v_cmp_gt_i32_e32 vcc, s7, v0
	s_and_saveexec_b64 s[0:1], vcc
	s_cbranch_execnz .LBB90_32
.LBB90_15:
	s_or_b64 exec, exec, s[0:1]
	v_cmp_gt_i32_e32 vcc, s7, v0
	s_and_saveexec_b64 s[0:1], vcc
	s_cbranch_execnz .LBB90_33
.LBB90_16:
	s_or_b64 exec, exec, s[0:1]
	v_cmp_gt_i32_e32 vcc, s7, v0
	s_and_saveexec_b64 s[0:1], vcc
	s_cbranch_execnz .LBB90_34
.LBB90_17:
	s_or_b64 exec, exec, s[0:1]
	v_cmp_gt_i32_e32 vcc, s7, v0
	s_and_saveexec_b64 s[0:1], vcc
	s_cbranch_execnz .LBB90_35
.LBB90_18:
	s_or_b64 exec, exec, s[0:1]
	v_cmp_gt_i32_e32 vcc, s7, v0
	s_and_saveexec_b64 s[0:1], vcc
	s_cbranch_execz .LBB90_20
.LBB90_19:
	v_lshrrev_b32_e32 v1, 24, v1
	v_add_u32_e32 v0, s6, v0
	global_store_byte v0, v1, s[2:3]
.LBB90_20:
	s_endpgm
.LBB90_21:
	v_or_b32_e32 v0, s6, v0
	global_store_byte v0, v4, s[2:3]
	v_mov_b32_e32 v0, v5
	s_or_b64 exec, exec, s[0:1]
	v_cmp_gt_i32_e32 vcc, s7, v0
	s_and_saveexec_b64 s[0:1], vcc
	s_cbranch_execz .LBB90_5
.LBB90_22:
	v_lshrrev_b32_e32 v5, 8, v4
	v_add_u32_e32 v6, s6, v0
	v_add_u32_e32 v0, 0x100, v0
	global_store_byte v6, v5, s[2:3]
	s_or_b64 exec, exec, s[0:1]
	v_cmp_gt_i32_e32 vcc, s7, v0
	s_and_saveexec_b64 s[0:1], vcc
	s_cbranch_execz .LBB90_6
.LBB90_23:
	v_add_u32_e32 v5, s6, v0
	v_add_u32_e32 v0, 0x100, v0
	global_store_byte_d16_hi v5, v4, s[2:3]
	s_or_b64 exec, exec, s[0:1]
	v_cmp_gt_i32_e32 vcc, s7, v0
	s_and_saveexec_b64 s[0:1], vcc
	s_cbranch_execz .LBB90_7
.LBB90_24:
	v_lshrrev_b32_e32 v4, 24, v4
	v_add_u32_e32 v5, s6, v0
	v_add_u32_e32 v0, 0x100, v0
	global_store_byte v5, v4, s[2:3]
	s_or_b64 exec, exec, s[0:1]
	v_cmp_gt_i32_e32 vcc, s7, v0
	s_and_saveexec_b64 s[0:1], vcc
	s_cbranch_execz .LBB90_8
.LBB90_25:
	v_add_u32_e32 v4, s6, v0
	v_add_u32_e32 v0, 0x100, v0
	global_store_byte v4, v3, s[2:3]
	s_or_b64 exec, exec, s[0:1]
	v_cmp_gt_i32_e32 vcc, s7, v0
	s_and_saveexec_b64 s[0:1], vcc
	s_cbranch_execz .LBB90_9
.LBB90_26:
	v_lshrrev_b32_e32 v4, 8, v3
	v_add_u32_e32 v5, s6, v0
	v_add_u32_e32 v0, 0x100, v0
	global_store_byte v5, v4, s[2:3]
	s_or_b64 exec, exec, s[0:1]
	v_cmp_gt_i32_e32 vcc, s7, v0
	s_and_saveexec_b64 s[0:1], vcc
	s_cbranch_execz .LBB90_10
.LBB90_27:
	v_add_u32_e32 v4, s6, v0
	v_add_u32_e32 v0, 0x100, v0
	global_store_byte_d16_hi v4, v3, s[2:3]
	s_or_b64 exec, exec, s[0:1]
	v_cmp_gt_i32_e32 vcc, s7, v0
	s_and_saveexec_b64 s[0:1], vcc
	s_cbranch_execz .LBB90_11
.LBB90_28:
	v_lshrrev_b32_e32 v3, 24, v3
	v_add_u32_e32 v4, s6, v0
	v_add_u32_e32 v0, 0x100, v0
	global_store_byte v4, v3, s[2:3]
	s_or_b64 exec, exec, s[0:1]
	v_cmp_gt_i32_e32 vcc, s7, v0
	s_and_saveexec_b64 s[0:1], vcc
	s_cbranch_execz .LBB90_12
.LBB90_29:
	v_add_u32_e32 v3, s6, v0
	v_add_u32_e32 v0, 0x100, v0
	global_store_byte v3, v2, s[2:3]
	s_or_b64 exec, exec, s[0:1]
	v_cmp_gt_i32_e32 vcc, s7, v0
	s_and_saveexec_b64 s[0:1], vcc
	s_cbranch_execz .LBB90_13
.LBB90_30:
	v_lshrrev_b32_e32 v3, 8, v2
	v_add_u32_e32 v4, s6, v0
	v_add_u32_e32 v0, 0x100, v0
	global_store_byte v4, v3, s[2:3]
	s_or_b64 exec, exec, s[0:1]
	v_cmp_gt_i32_e32 vcc, s7, v0
	s_and_saveexec_b64 s[0:1], vcc
	s_cbranch_execz .LBB90_14
.LBB90_31:
	v_add_u32_e32 v3, s6, v0
	v_add_u32_e32 v0, 0x100, v0
	global_store_byte_d16_hi v3, v2, s[2:3]
	s_or_b64 exec, exec, s[0:1]
	v_cmp_gt_i32_e32 vcc, s7, v0
	s_and_saveexec_b64 s[0:1], vcc
	s_cbranch_execz .LBB90_15
.LBB90_32:
	v_lshrrev_b32_e32 v2, 24, v2
	v_add_u32_e32 v3, s6, v0
	v_add_u32_e32 v0, 0x100, v0
	global_store_byte v3, v2, s[2:3]
	s_or_b64 exec, exec, s[0:1]
	v_cmp_gt_i32_e32 vcc, s7, v0
	s_and_saveexec_b64 s[0:1], vcc
	s_cbranch_execz .LBB90_16
.LBB90_33:
	v_add_u32_e32 v2, s6, v0
	v_add_u32_e32 v0, 0x100, v0
	global_store_byte v2, v1, s[2:3]
	s_or_b64 exec, exec, s[0:1]
	v_cmp_gt_i32_e32 vcc, s7, v0
	s_and_saveexec_b64 s[0:1], vcc
	s_cbranch_execz .LBB90_17
.LBB90_34:
	v_lshrrev_b32_e32 v2, 8, v1
	v_add_u32_e32 v3, s6, v0
	v_add_u32_e32 v0, 0x100, v0
	global_store_byte v3, v2, s[2:3]
	s_or_b64 exec, exec, s[0:1]
	v_cmp_gt_i32_e32 vcc, s7, v0
	s_and_saveexec_b64 s[0:1], vcc
	s_cbranch_execz .LBB90_18
.LBB90_35:
	v_add_u32_e32 v2, s6, v0
	v_add_u32_e32 v0, 0x100, v0
	global_store_byte_d16_hi v2, v1, s[2:3]
	s_or_b64 exec, exec, s[0:1]
	v_cmp_gt_i32_e32 vcc, s7, v0
	s_and_saveexec_b64 s[0:1], vcc
	s_cbranch_execnz .LBB90_19
	s_branch .LBB90_20
	.section	.rodata,"a",@progbits
	.p2align	6, 0x0
	.amdhsa_kernel _ZN2at6native29vectorized_elementwise_kernelILi4ENS0_11FillFunctorIbEESt5arrayIPcLm1EEEEviT0_T1_
		.amdhsa_group_segment_fixed_size 0
		.amdhsa_private_segment_fixed_size 0
		.amdhsa_kernarg_size 16
		.amdhsa_user_sgpr_count 6
		.amdhsa_user_sgpr_private_segment_buffer 1
		.amdhsa_user_sgpr_dispatch_ptr 0
		.amdhsa_user_sgpr_queue_ptr 0
		.amdhsa_user_sgpr_kernarg_segment_ptr 1
		.amdhsa_user_sgpr_dispatch_id 0
		.amdhsa_user_sgpr_flat_scratch_init 0
		.amdhsa_user_sgpr_kernarg_preload_length 0
		.amdhsa_user_sgpr_kernarg_preload_offset 0
		.amdhsa_user_sgpr_private_segment_size 0
		.amdhsa_uses_dynamic_stack 0
		.amdhsa_system_sgpr_private_segment_wavefront_offset 0
		.amdhsa_system_sgpr_workgroup_id_x 1
		.amdhsa_system_sgpr_workgroup_id_y 0
		.amdhsa_system_sgpr_workgroup_id_z 0
		.amdhsa_system_sgpr_workgroup_info 0
		.amdhsa_system_vgpr_workitem_id 0
		.amdhsa_next_free_vgpr 11
		.amdhsa_next_free_sgpr 9
		.amdhsa_accum_offset 12
		.amdhsa_reserve_vcc 1
		.amdhsa_reserve_flat_scratch 0
		.amdhsa_float_round_mode_32 0
		.amdhsa_float_round_mode_16_64 0
		.amdhsa_float_denorm_mode_32 3
		.amdhsa_float_denorm_mode_16_64 3
		.amdhsa_dx10_clamp 1
		.amdhsa_ieee_mode 1
		.amdhsa_fp16_overflow 0
		.amdhsa_tg_split 0
		.amdhsa_exception_fp_ieee_invalid_op 0
		.amdhsa_exception_fp_denorm_src 0
		.amdhsa_exception_fp_ieee_div_zero 0
		.amdhsa_exception_fp_ieee_overflow 0
		.amdhsa_exception_fp_ieee_underflow 0
		.amdhsa_exception_fp_ieee_inexact 0
		.amdhsa_exception_int_div_zero 0
	.end_amdhsa_kernel
	.section	.text._ZN2at6native29vectorized_elementwise_kernelILi4ENS0_11FillFunctorIbEESt5arrayIPcLm1EEEEviT0_T1_,"axG",@progbits,_ZN2at6native29vectorized_elementwise_kernelILi4ENS0_11FillFunctorIbEESt5arrayIPcLm1EEEEviT0_T1_,comdat
.Lfunc_end90:
	.size	_ZN2at6native29vectorized_elementwise_kernelILi4ENS0_11FillFunctorIbEESt5arrayIPcLm1EEEEviT0_T1_, .Lfunc_end90-_ZN2at6native29vectorized_elementwise_kernelILi4ENS0_11FillFunctorIbEESt5arrayIPcLm1EEEEviT0_T1_
                                        ; -- End function
	.section	.AMDGPU.csdata,"",@progbits
; Kernel info:
; codeLenInByte = 1528
; NumSgprs: 13
; NumVgprs: 11
; NumAgprs: 0
; TotalNumVgprs: 11
; ScratchSize: 0
; MemoryBound: 0
; FloatMode: 240
; IeeeMode: 1
; LDSByteSize: 0 bytes/workgroup (compile time only)
; SGPRBlocks: 1
; VGPRBlocks: 1
; NumSGPRsForWavesPerEU: 13
; NumVGPRsForWavesPerEU: 11
; AccumOffset: 12
; Occupancy: 8
; WaveLimiterHint : 1
; COMPUTE_PGM_RSRC2:SCRATCH_EN: 0
; COMPUTE_PGM_RSRC2:USER_SGPR: 6
; COMPUTE_PGM_RSRC2:TRAP_HANDLER: 0
; COMPUTE_PGM_RSRC2:TGID_X_EN: 1
; COMPUTE_PGM_RSRC2:TGID_Y_EN: 0
; COMPUTE_PGM_RSRC2:TGID_Z_EN: 0
; COMPUTE_PGM_RSRC2:TIDIG_COMP_CNT: 0
; COMPUTE_PGM_RSRC3_GFX90A:ACCUM_OFFSET: 2
; COMPUTE_PGM_RSRC3_GFX90A:TG_SPLIT: 0
	.section	.text._ZN2at6native29vectorized_elementwise_kernelILi2ENS0_11FillFunctorIbEESt5arrayIPcLm1EEEEviT0_T1_,"axG",@progbits,_ZN2at6native29vectorized_elementwise_kernelILi2ENS0_11FillFunctorIbEESt5arrayIPcLm1EEEEviT0_T1_,comdat
	.protected	_ZN2at6native29vectorized_elementwise_kernelILi2ENS0_11FillFunctorIbEESt5arrayIPcLm1EEEEviT0_T1_ ; -- Begin function _ZN2at6native29vectorized_elementwise_kernelILi2ENS0_11FillFunctorIbEESt5arrayIPcLm1EEEEviT0_T1_
	.globl	_ZN2at6native29vectorized_elementwise_kernelILi2ENS0_11FillFunctorIbEESt5arrayIPcLm1EEEEviT0_T1_
	.p2align	8
	.type	_ZN2at6native29vectorized_elementwise_kernelILi2ENS0_11FillFunctorIbEESt5arrayIPcLm1EEEEviT0_T1_,@function
_ZN2at6native29vectorized_elementwise_kernelILi2ENS0_11FillFunctorIbEESt5arrayIPcLm1EEEEviT0_T1_: ; @_ZN2at6native29vectorized_elementwise_kernelILi2ENS0_11FillFunctorIbEESt5arrayIPcLm1EEEEviT0_T1_
; %bb.0:
	s_load_dwordx4 s[0:3], s[4:5], 0x0
	s_waitcnt lgkmcnt(0)
	s_bitcmp1_b32 s1, 0
	s_cselect_b64 s[4:5], -1, 0
	s_lshl_b32 s6, s6, 12
	s_sub_i32 s7, s0, s6
	s_mov_b64 s[0:1], -1
	s_cmpk_gt_i32 s7, 0xfff
	v_cndmask_b32_e64 v1, 0, 1, s[4:5]
	s_cbranch_scc0 .LBB91_2
; %bb.1:
	s_ashr_i32 s1, s6, 31
	s_add_u32 s0, s2, s6
	s_addc_u32 s1, s3, s1
	s_and_b64 s[4:5], s[4:5], exec
	s_cselect_b32 s4, 0x100, 0
	v_lshlrev_b32_e32 v2, 1, v0
	v_or_b32_e32 v3, s4, v1
	global_store_short v2, v3, s[0:1]
	global_store_short v2, v3, s[0:1] offset:512
	global_store_short v2, v3, s[0:1] offset:1024
	;; [unrolled: 1-line block ×7, first 2 shown]
	s_mov_b64 s[0:1], 0
.LBB91_2:
	s_andn2_b64 vcc, exec, s[0:1]
	s_cbranch_vccnz .LBB91_20
; %bb.3:
	v_lshlrev_b16_e32 v6, 8, v1
	v_or_b32_e32 v5, 0x100, v0
	v_or_b32_e32 v2, v1, v6
	v_and_b32_e32 v2, 0xffff, v2
	v_cmp_gt_i32_e64 s[0:1], s7, v5
	v_cndmask_b32_e64 v3, v1, v2, s[0:1]
	v_or_b32_e32 v4, 0x200, v0
	v_lshlrev_b32_e32 v7, 16, v1
	v_or_b32_e32 v8, v3, v7
	v_cmp_gt_i32_e64 s[0:1], s7, v4
	v_cndmask_b32_e64 v3, v3, v8, s[0:1]
	s_movk_i32 s5, 0xff
	v_and_b32_sdwa v4, v3, s5 dst_sel:DWORD dst_unused:UNUSED_PAD src0_sel:WORD_1 src1_sel:DWORD
	s_mov_b32 s4, 0xffff
	v_or_b32_e32 v8, 0x300, v0
	v_or_b32_sdwa v4, v4, v6 dst_sel:WORD_1 dst_unused:UNUSED_PAD src0_sel:DWORD src1_sel:DWORD
	v_and_or_b32 v4, v3, s4, v4
	v_cmp_gt_i32_e64 s[0:1], s7, v8
	v_cndmask_b32_e64 v4, v3, v4, s[0:1]
	v_or_b32_e32 v3, 0x400, v0
	v_and_b32_e32 v8, 0xffff, v1
	v_cmp_gt_i32_e64 s[0:1], s7, v3
	v_cndmask_b32_e64 v3, 0, v8, s[0:1]
	v_or_b32_e32 v9, 0x500, v0
	v_or_b32_sdwa v10, v3, v6 dst_sel:DWORD dst_unused:UNUSED_PAD src0_sel:BYTE_0 src1_sel:DWORD
	v_and_b32_e32 v10, 0xffff, v10
	v_cmp_gt_i32_e64 s[0:1], s7, v9
	s_movk_i32 s8, 0xff00
	v_cndmask_b32_e64 v3, v3, v10, s[0:1]
	v_and_b32_sdwa v9, v3, s8 dst_sel:DWORD dst_unused:UNUSED_PAD src0_sel:WORD_1 src1_sel:DWORD
	v_or_b32_sdwa v9, v1, v9 dst_sel:WORD_1 dst_unused:UNUSED_PAD src0_sel:DWORD src1_sel:DWORD
	v_or_b32_e32 v10, 0x600, v0
	v_and_or_b32 v9, v3, s4, v9
	v_cmp_gt_i32_e64 s[0:1], s7, v10
	v_cndmask_b32_e64 v3, v3, v9, s[0:1]
	v_and_b32_sdwa v9, v3, s5 dst_sel:DWORD dst_unused:UNUSED_PAD src0_sel:WORD_1 src1_sel:DWORD
	v_or_b32_e32 v10, 0x700, v0
	v_or_b32_sdwa v9, v9, v6 dst_sel:WORD_1 dst_unused:UNUSED_PAD src0_sel:DWORD src1_sel:DWORD
	v_and_or_b32 v9, v3, s4, v9
	v_cmp_gt_i32_e64 s[0:1], s7, v10
	v_cndmask_b32_e64 v3, v3, v9, s[0:1]
	v_or_b32_e32 v9, 0x900, v0
	v_cmp_gt_i32_e64 s[0:1], s7, v9
	v_cndmask_b32_e64 v2, v1, v2, s[0:1]
	v_or_b32_e32 v9, 0xa00, v0
	v_or_b32_e32 v7, v2, v7
	v_cmp_gt_i32_e64 s[0:1], s7, v9
	v_cndmask_b32_e64 v2, v2, v7, s[0:1]
	v_and_b32_sdwa v7, v2, s5 dst_sel:DWORD dst_unused:UNUSED_PAD src0_sel:WORD_1 src1_sel:DWORD
	v_or_b32_e32 v9, 0xb00, v0
	v_or_b32_sdwa v7, v7, v6 dst_sel:WORD_1 dst_unused:UNUSED_PAD src0_sel:DWORD src1_sel:DWORD
	v_and_or_b32 v7, v2, s4, v7
	v_cmp_gt_i32_e64 s[0:1], s7, v9
	v_cndmask_b32_e64 v2, v2, v7, s[0:1]
	v_or_b32_e32 v7, 0xc00, v0
	v_cmp_gt_i32_e64 s[0:1], s7, v7
	v_cndmask_b32_e64 v7, 0, v8, s[0:1]
	v_or_b32_e32 v8, 0xd00, v0
	v_or_b32_sdwa v9, v7, v6 dst_sel:DWORD dst_unused:UNUSED_PAD src0_sel:BYTE_0 src1_sel:DWORD
	v_and_b32_e32 v9, 0xffff, v9
	v_cmp_gt_i32_e64 s[0:1], s7, v8
	v_cndmask_b32_e64 v7, v7, v9, s[0:1]
	v_and_b32_sdwa v8, v7, s8 dst_sel:DWORD dst_unused:UNUSED_PAD src0_sel:WORD_1 src1_sel:DWORD
	v_or_b32_sdwa v1, v1, v8 dst_sel:WORD_1 dst_unused:UNUSED_PAD src0_sel:DWORD src1_sel:DWORD
	v_or_b32_e32 v8, 0xe00, v0
	v_and_or_b32 v1, v7, s4, v1
	v_cmp_gt_i32_e64 s[0:1], s7, v8
	v_cndmask_b32_e64 v1, v7, v1, s[0:1]
	v_and_b32_sdwa v7, v1, s5 dst_sel:DWORD dst_unused:UNUSED_PAD src0_sel:WORD_1 src1_sel:DWORD
	v_or_b32_e32 v8, 0xf00, v0
	v_or_b32_sdwa v6, v7, v6 dst_sel:WORD_1 dst_unused:UNUSED_PAD src0_sel:DWORD src1_sel:DWORD
	v_and_or_b32 v6, v1, s4, v6
	v_cmp_gt_i32_e64 s[0:1], s7, v8
	v_cmp_gt_i32_e32 vcc, s7, v0
	v_cndmask_b32_e64 v1, v1, v6, s[0:1]
	s_and_saveexec_b64 s[0:1], vcc
	s_cbranch_execnz .LBB91_21
; %bb.4:
	s_or_b64 exec, exec, s[0:1]
	v_cmp_gt_i32_e32 vcc, s7, v0
	s_and_saveexec_b64 s[0:1], vcc
	s_cbranch_execnz .LBB91_22
.LBB91_5:
	s_or_b64 exec, exec, s[0:1]
	v_cmp_gt_i32_e32 vcc, s7, v0
	s_and_saveexec_b64 s[0:1], vcc
	s_cbranch_execnz .LBB91_23
.LBB91_6:
	s_or_b64 exec, exec, s[0:1]
	v_cmp_gt_i32_e32 vcc, s7, v0
	s_and_saveexec_b64 s[0:1], vcc
	s_cbranch_execnz .LBB91_24
.LBB91_7:
	s_or_b64 exec, exec, s[0:1]
	v_cmp_gt_i32_e32 vcc, s7, v0
	s_and_saveexec_b64 s[0:1], vcc
	s_cbranch_execnz .LBB91_25
.LBB91_8:
	s_or_b64 exec, exec, s[0:1]
	v_cmp_gt_i32_e32 vcc, s7, v0
	s_and_saveexec_b64 s[0:1], vcc
	s_cbranch_execnz .LBB91_26
.LBB91_9:
	s_or_b64 exec, exec, s[0:1]
	v_cmp_gt_i32_e32 vcc, s7, v0
	s_and_saveexec_b64 s[0:1], vcc
	s_cbranch_execnz .LBB91_27
.LBB91_10:
	s_or_b64 exec, exec, s[0:1]
	v_cmp_gt_i32_e32 vcc, s7, v0
	s_and_saveexec_b64 s[0:1], vcc
	s_cbranch_execnz .LBB91_28
.LBB91_11:
	s_or_b64 exec, exec, s[0:1]
	v_cmp_gt_i32_e32 vcc, s7, v0
	s_and_saveexec_b64 s[0:1], vcc
	s_cbranch_execnz .LBB91_29
.LBB91_12:
	s_or_b64 exec, exec, s[0:1]
	v_cmp_gt_i32_e32 vcc, s7, v0
	s_and_saveexec_b64 s[0:1], vcc
	s_cbranch_execnz .LBB91_30
.LBB91_13:
	s_or_b64 exec, exec, s[0:1]
	v_cmp_gt_i32_e32 vcc, s7, v0
	s_and_saveexec_b64 s[0:1], vcc
	s_cbranch_execnz .LBB91_31
.LBB91_14:
	s_or_b64 exec, exec, s[0:1]
	v_cmp_gt_i32_e32 vcc, s7, v0
	s_and_saveexec_b64 s[0:1], vcc
	s_cbranch_execnz .LBB91_32
.LBB91_15:
	s_or_b64 exec, exec, s[0:1]
	v_cmp_gt_i32_e32 vcc, s7, v0
	s_and_saveexec_b64 s[0:1], vcc
	s_cbranch_execnz .LBB91_33
.LBB91_16:
	s_or_b64 exec, exec, s[0:1]
	v_cmp_gt_i32_e32 vcc, s7, v0
	s_and_saveexec_b64 s[0:1], vcc
	s_cbranch_execnz .LBB91_34
.LBB91_17:
	s_or_b64 exec, exec, s[0:1]
	v_cmp_gt_i32_e32 vcc, s7, v0
	s_and_saveexec_b64 s[0:1], vcc
	s_cbranch_execnz .LBB91_35
.LBB91_18:
	s_or_b64 exec, exec, s[0:1]
	v_cmp_gt_i32_e32 vcc, s7, v0
	s_and_saveexec_b64 s[0:1], vcc
	s_cbranch_execz .LBB91_20
.LBB91_19:
	v_lshrrev_b32_e32 v1, 24, v1
	v_add_u32_e32 v0, s6, v0
	global_store_byte v0, v1, s[2:3]
.LBB91_20:
	s_endpgm
.LBB91_21:
	v_or_b32_e32 v0, s6, v0
	global_store_byte v0, v4, s[2:3]
	v_mov_b32_e32 v0, v5
	s_or_b64 exec, exec, s[0:1]
	v_cmp_gt_i32_e32 vcc, s7, v0
	s_and_saveexec_b64 s[0:1], vcc
	s_cbranch_execz .LBB91_5
.LBB91_22:
	v_lshrrev_b32_e32 v5, 8, v4
	v_add_u32_e32 v6, s6, v0
	v_add_u32_e32 v0, 0x100, v0
	global_store_byte v6, v5, s[2:3]
	s_or_b64 exec, exec, s[0:1]
	v_cmp_gt_i32_e32 vcc, s7, v0
	s_and_saveexec_b64 s[0:1], vcc
	s_cbranch_execz .LBB91_6
.LBB91_23:
	v_add_u32_e32 v5, s6, v0
	v_add_u32_e32 v0, 0x100, v0
	global_store_byte_d16_hi v5, v4, s[2:3]
	s_or_b64 exec, exec, s[0:1]
	v_cmp_gt_i32_e32 vcc, s7, v0
	s_and_saveexec_b64 s[0:1], vcc
	s_cbranch_execz .LBB91_7
.LBB91_24:
	v_lshrrev_b32_e32 v4, 24, v4
	v_add_u32_e32 v5, s6, v0
	v_add_u32_e32 v0, 0x100, v0
	global_store_byte v5, v4, s[2:3]
	s_or_b64 exec, exec, s[0:1]
	v_cmp_gt_i32_e32 vcc, s7, v0
	s_and_saveexec_b64 s[0:1], vcc
	s_cbranch_execz .LBB91_8
.LBB91_25:
	v_add_u32_e32 v4, s6, v0
	v_add_u32_e32 v0, 0x100, v0
	global_store_byte v4, v3, s[2:3]
	s_or_b64 exec, exec, s[0:1]
	v_cmp_gt_i32_e32 vcc, s7, v0
	s_and_saveexec_b64 s[0:1], vcc
	s_cbranch_execz .LBB91_9
.LBB91_26:
	v_lshrrev_b32_e32 v4, 8, v3
	v_add_u32_e32 v5, s6, v0
	v_add_u32_e32 v0, 0x100, v0
	global_store_byte v5, v4, s[2:3]
	s_or_b64 exec, exec, s[0:1]
	v_cmp_gt_i32_e32 vcc, s7, v0
	s_and_saveexec_b64 s[0:1], vcc
	s_cbranch_execz .LBB91_10
.LBB91_27:
	v_add_u32_e32 v4, s6, v0
	v_add_u32_e32 v0, 0x100, v0
	global_store_byte_d16_hi v4, v3, s[2:3]
	s_or_b64 exec, exec, s[0:1]
	v_cmp_gt_i32_e32 vcc, s7, v0
	s_and_saveexec_b64 s[0:1], vcc
	s_cbranch_execz .LBB91_11
.LBB91_28:
	v_lshrrev_b32_e32 v3, 24, v3
	v_add_u32_e32 v4, s6, v0
	v_add_u32_e32 v0, 0x100, v0
	global_store_byte v4, v3, s[2:3]
	s_or_b64 exec, exec, s[0:1]
	v_cmp_gt_i32_e32 vcc, s7, v0
	s_and_saveexec_b64 s[0:1], vcc
	s_cbranch_execz .LBB91_12
.LBB91_29:
	v_add_u32_e32 v3, s6, v0
	v_add_u32_e32 v0, 0x100, v0
	global_store_byte v3, v2, s[2:3]
	s_or_b64 exec, exec, s[0:1]
	v_cmp_gt_i32_e32 vcc, s7, v0
	s_and_saveexec_b64 s[0:1], vcc
	s_cbranch_execz .LBB91_13
.LBB91_30:
	v_lshrrev_b32_e32 v3, 8, v2
	v_add_u32_e32 v4, s6, v0
	v_add_u32_e32 v0, 0x100, v0
	global_store_byte v4, v3, s[2:3]
	s_or_b64 exec, exec, s[0:1]
	v_cmp_gt_i32_e32 vcc, s7, v0
	s_and_saveexec_b64 s[0:1], vcc
	s_cbranch_execz .LBB91_14
.LBB91_31:
	v_add_u32_e32 v3, s6, v0
	v_add_u32_e32 v0, 0x100, v0
	global_store_byte_d16_hi v3, v2, s[2:3]
	s_or_b64 exec, exec, s[0:1]
	v_cmp_gt_i32_e32 vcc, s7, v0
	s_and_saveexec_b64 s[0:1], vcc
	s_cbranch_execz .LBB91_15
.LBB91_32:
	v_lshrrev_b32_e32 v2, 24, v2
	v_add_u32_e32 v3, s6, v0
	v_add_u32_e32 v0, 0x100, v0
	global_store_byte v3, v2, s[2:3]
	s_or_b64 exec, exec, s[0:1]
	v_cmp_gt_i32_e32 vcc, s7, v0
	s_and_saveexec_b64 s[0:1], vcc
	s_cbranch_execz .LBB91_16
.LBB91_33:
	v_add_u32_e32 v2, s6, v0
	v_add_u32_e32 v0, 0x100, v0
	global_store_byte v2, v1, s[2:3]
	s_or_b64 exec, exec, s[0:1]
	v_cmp_gt_i32_e32 vcc, s7, v0
	s_and_saveexec_b64 s[0:1], vcc
	s_cbranch_execz .LBB91_17
.LBB91_34:
	v_lshrrev_b32_e32 v2, 8, v1
	v_add_u32_e32 v3, s6, v0
	v_add_u32_e32 v0, 0x100, v0
	global_store_byte v3, v2, s[2:3]
	s_or_b64 exec, exec, s[0:1]
	v_cmp_gt_i32_e32 vcc, s7, v0
	s_and_saveexec_b64 s[0:1], vcc
	s_cbranch_execz .LBB91_18
.LBB91_35:
	v_add_u32_e32 v2, s6, v0
	v_add_u32_e32 v0, 0x100, v0
	global_store_byte_d16_hi v2, v1, s[2:3]
	s_or_b64 exec, exec, s[0:1]
	v_cmp_gt_i32_e32 vcc, s7, v0
	s_and_saveexec_b64 s[0:1], vcc
	s_cbranch_execnz .LBB91_19
	s_branch .LBB91_20
	.section	.rodata,"a",@progbits
	.p2align	6, 0x0
	.amdhsa_kernel _ZN2at6native29vectorized_elementwise_kernelILi2ENS0_11FillFunctorIbEESt5arrayIPcLm1EEEEviT0_T1_
		.amdhsa_group_segment_fixed_size 0
		.amdhsa_private_segment_fixed_size 0
		.amdhsa_kernarg_size 16
		.amdhsa_user_sgpr_count 6
		.amdhsa_user_sgpr_private_segment_buffer 1
		.amdhsa_user_sgpr_dispatch_ptr 0
		.amdhsa_user_sgpr_queue_ptr 0
		.amdhsa_user_sgpr_kernarg_segment_ptr 1
		.amdhsa_user_sgpr_dispatch_id 0
		.amdhsa_user_sgpr_flat_scratch_init 0
		.amdhsa_user_sgpr_kernarg_preload_length 0
		.amdhsa_user_sgpr_kernarg_preload_offset 0
		.amdhsa_user_sgpr_private_segment_size 0
		.amdhsa_uses_dynamic_stack 0
		.amdhsa_system_sgpr_private_segment_wavefront_offset 0
		.amdhsa_system_sgpr_workgroup_id_x 1
		.amdhsa_system_sgpr_workgroup_id_y 0
		.amdhsa_system_sgpr_workgroup_id_z 0
		.amdhsa_system_sgpr_workgroup_info 0
		.amdhsa_system_vgpr_workitem_id 0
		.amdhsa_next_free_vgpr 11
		.amdhsa_next_free_sgpr 9
		.amdhsa_accum_offset 12
		.amdhsa_reserve_vcc 1
		.amdhsa_reserve_flat_scratch 0
		.amdhsa_float_round_mode_32 0
		.amdhsa_float_round_mode_16_64 0
		.amdhsa_float_denorm_mode_32 3
		.amdhsa_float_denorm_mode_16_64 3
		.amdhsa_dx10_clamp 1
		.amdhsa_ieee_mode 1
		.amdhsa_fp16_overflow 0
		.amdhsa_tg_split 0
		.amdhsa_exception_fp_ieee_invalid_op 0
		.amdhsa_exception_fp_denorm_src 0
		.amdhsa_exception_fp_ieee_div_zero 0
		.amdhsa_exception_fp_ieee_overflow 0
		.amdhsa_exception_fp_ieee_underflow 0
		.amdhsa_exception_fp_ieee_inexact 0
		.amdhsa_exception_int_div_zero 0
	.end_amdhsa_kernel
	.section	.text._ZN2at6native29vectorized_elementwise_kernelILi2ENS0_11FillFunctorIbEESt5arrayIPcLm1EEEEviT0_T1_,"axG",@progbits,_ZN2at6native29vectorized_elementwise_kernelILi2ENS0_11FillFunctorIbEESt5arrayIPcLm1EEEEviT0_T1_,comdat
.Lfunc_end91:
	.size	_ZN2at6native29vectorized_elementwise_kernelILi2ENS0_11FillFunctorIbEESt5arrayIPcLm1EEEEviT0_T1_, .Lfunc_end91-_ZN2at6native29vectorized_elementwise_kernelILi2ENS0_11FillFunctorIbEESt5arrayIPcLm1EEEEviT0_T1_
                                        ; -- End function
	.section	.AMDGPU.csdata,"",@progbits
; Kernel info:
; codeLenInByte = 1560
; NumSgprs: 13
; NumVgprs: 11
; NumAgprs: 0
; TotalNumVgprs: 11
; ScratchSize: 0
; MemoryBound: 0
; FloatMode: 240
; IeeeMode: 1
; LDSByteSize: 0 bytes/workgroup (compile time only)
; SGPRBlocks: 1
; VGPRBlocks: 1
; NumSGPRsForWavesPerEU: 13
; NumVGPRsForWavesPerEU: 11
; AccumOffset: 12
; Occupancy: 8
; WaveLimiterHint : 1
; COMPUTE_PGM_RSRC2:SCRATCH_EN: 0
; COMPUTE_PGM_RSRC2:USER_SGPR: 6
; COMPUTE_PGM_RSRC2:TRAP_HANDLER: 0
; COMPUTE_PGM_RSRC2:TGID_X_EN: 1
; COMPUTE_PGM_RSRC2:TGID_Y_EN: 0
; COMPUTE_PGM_RSRC2:TGID_Z_EN: 0
; COMPUTE_PGM_RSRC2:TIDIG_COMP_CNT: 0
; COMPUTE_PGM_RSRC3_GFX90A:ACCUM_OFFSET: 2
; COMPUTE_PGM_RSRC3_GFX90A:TG_SPLIT: 0
	.section	.text._ZN2at6native27unrolled_elementwise_kernelINS0_11FillFunctorIbEESt5arrayIPcLm1EELi4E23TrivialOffsetCalculatorILi0EjES7_ILi1EjENS0_6memory15LoadWithoutCastENSA_16StoreWithoutCastEEEviT_T0_T2_T3_T4_T5_,"axG",@progbits,_ZN2at6native27unrolled_elementwise_kernelINS0_11FillFunctorIbEESt5arrayIPcLm1EELi4E23TrivialOffsetCalculatorILi0EjES7_ILi1EjENS0_6memory15LoadWithoutCastENSA_16StoreWithoutCastEEEviT_T0_T2_T3_T4_T5_,comdat
	.protected	_ZN2at6native27unrolled_elementwise_kernelINS0_11FillFunctorIbEESt5arrayIPcLm1EELi4E23TrivialOffsetCalculatorILi0EjES7_ILi1EjENS0_6memory15LoadWithoutCastENSA_16StoreWithoutCastEEEviT_T0_T2_T3_T4_T5_ ; -- Begin function _ZN2at6native27unrolled_elementwise_kernelINS0_11FillFunctorIbEESt5arrayIPcLm1EELi4E23TrivialOffsetCalculatorILi0EjES7_ILi1EjENS0_6memory15LoadWithoutCastENSA_16StoreWithoutCastEEEviT_T0_T2_T3_T4_T5_
	.globl	_ZN2at6native27unrolled_elementwise_kernelINS0_11FillFunctorIbEESt5arrayIPcLm1EELi4E23TrivialOffsetCalculatorILi0EjES7_ILi1EjENS0_6memory15LoadWithoutCastENSA_16StoreWithoutCastEEEviT_T0_T2_T3_T4_T5_
	.p2align	8
	.type	_ZN2at6native27unrolled_elementwise_kernelINS0_11FillFunctorIbEESt5arrayIPcLm1EELi4E23TrivialOffsetCalculatorILi0EjES7_ILi1EjENS0_6memory15LoadWithoutCastENSA_16StoreWithoutCastEEEviT_T0_T2_T3_T4_T5_,@function
_ZN2at6native27unrolled_elementwise_kernelINS0_11FillFunctorIbEESt5arrayIPcLm1EELi4E23TrivialOffsetCalculatorILi0EjES7_ILi1EjENS0_6memory15LoadWithoutCastENSA_16StoreWithoutCastEEEviT_T0_T2_T3_T4_T5_: ; @_ZN2at6native27unrolled_elementwise_kernelINS0_11FillFunctorIbEESt5arrayIPcLm1EELi4E23TrivialOffsetCalculatorILi0EjES7_ILi1EjENS0_6memory15LoadWithoutCastENSA_16StoreWithoutCastEEEviT_T0_T2_T3_T4_T5_
; %bb.0:
	s_load_dwordx4 s[0:3], s[4:5], 0x0
	s_lshl_b32 s4, s6, 10
	v_or_b32_e32 v2, 0x100, v0
	s_waitcnt lgkmcnt(0)
	v_and_b32_e64 v1, s1, 1
	v_lshlrev_b16_e32 v3, 8, v1
	s_sub_i32 s5, s0, s4
	v_or_b32_e32 v1, v1, v3
	s_and_b32 s6, s1, 1
	v_and_b32_e32 v1, 0xffff, v1
	v_mov_b32_e32 v4, s6
	v_cmp_gt_i32_e64 s[0:1], s5, v2
	v_cndmask_b32_e64 v1, v4, v1, s[0:1]
	v_or_b32_e32 v4, 0x200, v0
	v_lshl_or_b32 v5, s6, 16, v1
	v_cmp_gt_i32_e64 s[0:1], s5, v4
	v_cndmask_b32_e64 v1, v1, v5, s[0:1]
	v_or_b32_e32 v4, 0x300, v0
	v_or_b32_sdwa v3, v1, v3 dst_sel:WORD_1 dst_unused:UNUSED_PAD src0_sel:WORD_1 src1_sel:DWORD
	s_mov_b32 s0, 0xff01
	v_and_or_b32 v3, v1, s0, v3
	v_cmp_gt_i32_e64 s[0:1], s5, v4
	v_cmp_gt_i32_e32 vcc, s5, v0
	v_cndmask_b32_e64 v1, v1, v3, s[0:1]
	s_and_saveexec_b64 s[0:1], vcc
	s_cbranch_execnz .LBB92_5
; %bb.1:
	s_or_b64 exec, exec, s[0:1]
	v_cmp_gt_i32_e32 vcc, s5, v0
	s_and_saveexec_b64 s[0:1], vcc
	s_cbranch_execnz .LBB92_6
.LBB92_2:
	s_or_b64 exec, exec, s[0:1]
	v_cmp_gt_i32_e32 vcc, s5, v0
	s_and_saveexec_b64 s[0:1], vcc
	s_cbranch_execnz .LBB92_7
.LBB92_3:
	s_or_b64 exec, exec, s[0:1]
	v_cmp_gt_i32_e32 vcc, s5, v0
	s_and_saveexec_b64 s[0:1], vcc
	s_cbranch_execnz .LBB92_8
.LBB92_4:
	s_endpgm
.LBB92_5:
	v_or_b32_e32 v0, s4, v0
	global_store_byte v0, v1, s[2:3]
	v_mov_b32_e32 v0, v2
	s_or_b64 exec, exec, s[0:1]
	v_cmp_gt_i32_e32 vcc, s5, v0
	s_and_saveexec_b64 s[0:1], vcc
	s_cbranch_execz .LBB92_2
.LBB92_6:
	v_add_u32_e32 v2, 0x100, v0
	v_add_u32_e32 v0, s4, v0
	v_lshrrev_b32_e32 v3, 8, v1
	global_store_byte v0, v3, s[2:3]
	v_mov_b32_e32 v0, v2
	s_or_b64 exec, exec, s[0:1]
	v_cmp_gt_i32_e32 vcc, s5, v0
	s_and_saveexec_b64 s[0:1], vcc
	s_cbranch_execz .LBB92_3
.LBB92_7:
	v_add_u32_e32 v2, 0x100, v0
	v_add_u32_e32 v0, s4, v0
	global_store_byte_d16_hi v0, v1, s[2:3]
	v_mov_b32_e32 v0, v2
	s_or_b64 exec, exec, s[0:1]
	v_cmp_gt_i32_e32 vcc, s5, v0
	s_and_saveexec_b64 s[0:1], vcc
	s_cbranch_execz .LBB92_4
.LBB92_8:
	v_add_u32_e32 v0, s4, v0
	v_lshrrev_b32_e32 v1, 24, v1
	global_store_byte v0, v1, s[2:3]
	s_endpgm
	.section	.rodata,"a",@progbits
	.p2align	6, 0x0
	.amdhsa_kernel _ZN2at6native27unrolled_elementwise_kernelINS0_11FillFunctorIbEESt5arrayIPcLm1EELi4E23TrivialOffsetCalculatorILi0EjES7_ILi1EjENS0_6memory15LoadWithoutCastENSA_16StoreWithoutCastEEEviT_T0_T2_T3_T4_T5_
		.amdhsa_group_segment_fixed_size 0
		.amdhsa_private_segment_fixed_size 0
		.amdhsa_kernarg_size 20
		.amdhsa_user_sgpr_count 6
		.amdhsa_user_sgpr_private_segment_buffer 1
		.amdhsa_user_sgpr_dispatch_ptr 0
		.amdhsa_user_sgpr_queue_ptr 0
		.amdhsa_user_sgpr_kernarg_segment_ptr 1
		.amdhsa_user_sgpr_dispatch_id 0
		.amdhsa_user_sgpr_flat_scratch_init 0
		.amdhsa_user_sgpr_kernarg_preload_length 0
		.amdhsa_user_sgpr_kernarg_preload_offset 0
		.amdhsa_user_sgpr_private_segment_size 0
		.amdhsa_uses_dynamic_stack 0
		.amdhsa_system_sgpr_private_segment_wavefront_offset 0
		.amdhsa_system_sgpr_workgroup_id_x 1
		.amdhsa_system_sgpr_workgroup_id_y 0
		.amdhsa_system_sgpr_workgroup_id_z 0
		.amdhsa_system_sgpr_workgroup_info 0
		.amdhsa_system_vgpr_workitem_id 0
		.amdhsa_next_free_vgpr 6
		.amdhsa_next_free_sgpr 7
		.amdhsa_accum_offset 8
		.amdhsa_reserve_vcc 1
		.amdhsa_reserve_flat_scratch 0
		.amdhsa_float_round_mode_32 0
		.amdhsa_float_round_mode_16_64 0
		.amdhsa_float_denorm_mode_32 3
		.amdhsa_float_denorm_mode_16_64 3
		.amdhsa_dx10_clamp 1
		.amdhsa_ieee_mode 1
		.amdhsa_fp16_overflow 0
		.amdhsa_tg_split 0
		.amdhsa_exception_fp_ieee_invalid_op 0
		.amdhsa_exception_fp_denorm_src 0
		.amdhsa_exception_fp_ieee_div_zero 0
		.amdhsa_exception_fp_ieee_overflow 0
		.amdhsa_exception_fp_ieee_underflow 0
		.amdhsa_exception_fp_ieee_inexact 0
		.amdhsa_exception_int_div_zero 0
	.end_amdhsa_kernel
	.section	.text._ZN2at6native27unrolled_elementwise_kernelINS0_11FillFunctorIbEESt5arrayIPcLm1EELi4E23TrivialOffsetCalculatorILi0EjES7_ILi1EjENS0_6memory15LoadWithoutCastENSA_16StoreWithoutCastEEEviT_T0_T2_T3_T4_T5_,"axG",@progbits,_ZN2at6native27unrolled_elementwise_kernelINS0_11FillFunctorIbEESt5arrayIPcLm1EELi4E23TrivialOffsetCalculatorILi0EjES7_ILi1EjENS0_6memory15LoadWithoutCastENSA_16StoreWithoutCastEEEviT_T0_T2_T3_T4_T5_,comdat
.Lfunc_end92:
	.size	_ZN2at6native27unrolled_elementwise_kernelINS0_11FillFunctorIbEESt5arrayIPcLm1EELi4E23TrivialOffsetCalculatorILi0EjES7_ILi1EjENS0_6memory15LoadWithoutCastENSA_16StoreWithoutCastEEEviT_T0_T2_T3_T4_T5_, .Lfunc_end92-_ZN2at6native27unrolled_elementwise_kernelINS0_11FillFunctorIbEESt5arrayIPcLm1EELi4E23TrivialOffsetCalculatorILi0EjES7_ILi1EjENS0_6memory15LoadWithoutCastENSA_16StoreWithoutCastEEEviT_T0_T2_T3_T4_T5_
                                        ; -- End function
	.section	.AMDGPU.csdata,"",@progbits
; Kernel info:
; codeLenInByte = 356
; NumSgprs: 11
; NumVgprs: 6
; NumAgprs: 0
; TotalNumVgprs: 6
; ScratchSize: 0
; MemoryBound: 0
; FloatMode: 240
; IeeeMode: 1
; LDSByteSize: 0 bytes/workgroup (compile time only)
; SGPRBlocks: 1
; VGPRBlocks: 0
; NumSGPRsForWavesPerEU: 11
; NumVGPRsForWavesPerEU: 6
; AccumOffset: 8
; Occupancy: 8
; WaveLimiterHint : 0
; COMPUTE_PGM_RSRC2:SCRATCH_EN: 0
; COMPUTE_PGM_RSRC2:USER_SGPR: 6
; COMPUTE_PGM_RSRC2:TRAP_HANDLER: 0
; COMPUTE_PGM_RSRC2:TGID_X_EN: 1
; COMPUTE_PGM_RSRC2:TGID_Y_EN: 0
; COMPUTE_PGM_RSRC2:TGID_Z_EN: 0
; COMPUTE_PGM_RSRC2:TIDIG_COMP_CNT: 0
; COMPUTE_PGM_RSRC3_GFX90A:ACCUM_OFFSET: 1
; COMPUTE_PGM_RSRC3_GFX90A:TG_SPLIT: 0
	.section	.text._ZN2at6native32elementwise_kernel_manual_unrollILi128ELi8EZNS0_22gpu_kernel_impl_nocastINS0_11FillFunctorIbEEEEvRNS_18TensorIteratorBaseERKT_EUlibE_EEviT1_,"axG",@progbits,_ZN2at6native32elementwise_kernel_manual_unrollILi128ELi8EZNS0_22gpu_kernel_impl_nocastINS0_11FillFunctorIbEEEEvRNS_18TensorIteratorBaseERKT_EUlibE_EEviT1_,comdat
	.protected	_ZN2at6native32elementwise_kernel_manual_unrollILi128ELi8EZNS0_22gpu_kernel_impl_nocastINS0_11FillFunctorIbEEEEvRNS_18TensorIteratorBaseERKT_EUlibE_EEviT1_ ; -- Begin function _ZN2at6native32elementwise_kernel_manual_unrollILi128ELi8EZNS0_22gpu_kernel_impl_nocastINS0_11FillFunctorIbEEEEvRNS_18TensorIteratorBaseERKT_EUlibE_EEviT1_
	.globl	_ZN2at6native32elementwise_kernel_manual_unrollILi128ELi8EZNS0_22gpu_kernel_impl_nocastINS0_11FillFunctorIbEEEEvRNS_18TensorIteratorBaseERKT_EUlibE_EEviT1_
	.p2align	8
	.type	_ZN2at6native32elementwise_kernel_manual_unrollILi128ELi8EZNS0_22gpu_kernel_impl_nocastINS0_11FillFunctorIbEEEEvRNS_18TensorIteratorBaseERKT_EUlibE_EEviT1_,@function
_ZN2at6native32elementwise_kernel_manual_unrollILi128ELi8EZNS0_22gpu_kernel_impl_nocastINS0_11FillFunctorIbEEEEvRNS_18TensorIteratorBaseERKT_EUlibE_EEviT1_: ; @_ZN2at6native32elementwise_kernel_manual_unrollILi128ELi8EZNS0_22gpu_kernel_impl_nocastINS0_11FillFunctorIbEEEEvRNS_18TensorIteratorBaseERKT_EUlibE_EEviT1_
; %bb.0:
	s_load_dword s48, s[4:5], 0x0
	s_load_dword s33, s[4:5], 0x8
	s_or_b32 s4, s4, 8
	v_lshl_or_b32 v12, s6, 10, v0
	v_or_b32_e32 v16, 0x380, v12
	s_waitcnt lgkmcnt(0)
	v_cmp_le_i32_e32 vcc, s48, v16
	s_add_i32 s46, s33, -1
	s_cmp_gt_u32 s46, 1
	s_cselect_b64 s[6:7], -1, 0
	s_and_saveexec_b64 s[0:1], vcc
	s_xor_b64 s[24:25], exec, s[0:1]
	s_cbranch_execz .LBB93_7
; %bb.1:
	s_load_dwordx4 s[0:3], s[4:5], 0x4
	s_load_dwordx2 s[30:31], s[4:5], 0x14
	s_load_dwordx2 s[28:29], s[4:5], 0xc4
	;; [unrolled: 1-line block ×3, first 2 shown]
	s_load_dword s47, s[4:5], 0x110
	s_cmp_lg_u32 s33, 0
	s_cselect_b64 s[38:39], -1, 0
	s_add_u32 s36, s4, 0xc4
	s_addc_u32 s37, s5, 0
	s_min_u32 s49, s46, 15
	s_cmp_gt_u32 s33, 1
	s_cselect_b64 s[34:35], -1, 0
	v_cmp_gt_i32_e32 vcc, s48, v12
	s_and_saveexec_b64 s[40:41], vcc
	s_cbranch_execz .LBB93_14
; %bb.2:
	s_andn2_b64 vcc, exec, s[6:7]
	s_cbranch_vccnz .LBB93_21
; %bb.3:
	s_andn2_b64 vcc, exec, s[38:39]
	s_cbranch_vccnz .LBB93_121
; %bb.4:
	s_add_i32 s51, s49, 1
	s_mov_b32 s50, 0
	s_cmp_eq_u32 s46, 2
	v_mov_b32_e32 v0, 0
	s_cbranch_scc1 .LBB93_123
; %bb.5:
	s_and_b32 s50, s51, 28
	s_mov_b32 s52, 0
	v_mov_b32_e32 v0, 0
	s_mov_b64 s[42:43], s[4:5]
	s_mov_b64 s[44:45], s[36:37]
	v_mov_b32_e32 v2, v12
.LBB93_6:                               ; =>This Inner Loop Header: Depth=1
	s_load_dwordx8 s[8:15], s[42:43], 0x4
	s_load_dwordx4 s[16:19], s[42:43], 0x24
	s_load_dwordx4 s[20:23], s[44:45], 0x0
	s_add_u32 s42, s42, 48
	s_addc_u32 s43, s43, 0
	s_waitcnt lgkmcnt(0)
	v_mul_hi_u32 v1, s9, v2
	v_add_u32_e32 v1, v2, v1
	v_lshrrev_b32_e32 v1, s10, v1
	v_mul_lo_u32 v3, v1, s8
	v_mul_hi_u32 v4, s12, v1
	v_sub_u32_e32 v2, v2, v3
	v_add_u32_e32 v3, v1, v4
	v_lshrrev_b32_e32 v3, s13, v3
	v_mul_lo_u32 v4, v3, s11
	v_mul_hi_u32 v5, s15, v3
	v_sub_u32_e32 v1, v1, v4
	v_add_u32_e32 v4, v3, v5
	v_mul_lo_u32 v2, v2, s20
	v_mul_lo_u32 v1, v1, s21
	v_lshrrev_b32_e32 v4, s16, v4
	v_add3_u32 v0, v2, v0, v1
	v_mul_hi_u32 v2, s18, v4
	v_add_u32_e32 v2, v4, v2
	v_mul_lo_u32 v1, v4, s14
	v_lshrrev_b32_e32 v2, s19, v2
	s_add_i32 s52, s52, 4
	v_sub_u32_e32 v1, v3, v1
	v_mul_lo_u32 v3, v2, s17
	s_add_u32 s44, s44, 16
	v_sub_u32_e32 v3, v4, v3
	s_addc_u32 s45, s45, 0
	v_mul_lo_u32 v1, v1, s22
	v_mul_lo_u32 v3, v3, s23
	s_cmp_lg_u32 s50, s52
	v_add3_u32 v0, v1, v0, v3
	s_cbranch_scc1 .LBB93_6
	s_branch .LBB93_124
.LBB93_7:
	s_andn2_saveexec_b64 s[0:1], s[24:25]
	s_cbranch_execz .LBB93_213
.LBB93_8:
	v_cndmask_b32_e64 v0, 0, 1, s[6:7]
	v_cmp_ne_u32_e64 s[0:1], 1, v0
	s_andn2_b64 vcc, exec, s[6:7]
	s_cbranch_vccnz .LBB93_20
; %bb.9:
	s_mov_b32 s24, 0
	s_cmp_eq_u32 s33, 0
	v_mov_b32_e32 v0, 0
	s_cbranch_scc1 .LBB93_26
; %bb.10:
	s_min_u32 s25, s46, 15
	s_add_i32 s25, s25, 1
	s_cmp_eq_u32 s46, 2
	v_mov_b32_e32 v0, 0
	s_cbranch_scc1 .LBB93_23
; %bb.11:
	s_add_u32 s2, s4, 0xc4
	s_addc_u32 s3, s5, 0
	s_and_b32 s24, s25, 28
	s_mov_b32 s26, 0
	v_mov_b32_e32 v0, 0
	s_mov_b64 s[6:7], s[4:5]
	v_mov_b32_e32 v2, v12
.LBB93_12:                              ; =>This Inner Loop Header: Depth=1
	s_load_dwordx8 s[8:15], s[6:7], 0x4
	s_load_dwordx4 s[16:19], s[6:7], 0x24
	s_load_dwordx4 s[20:23], s[2:3], 0x0
	s_add_u32 s6, s6, 48
	s_addc_u32 s7, s7, 0
	s_waitcnt lgkmcnt(0)
	v_mul_hi_u32 v1, s9, v2
	v_add_u32_e32 v1, v2, v1
	v_lshrrev_b32_e32 v1, s10, v1
	v_mul_lo_u32 v3, v1, s8
	v_mul_hi_u32 v4, s12, v1
	v_sub_u32_e32 v2, v2, v3
	v_add_u32_e32 v3, v1, v4
	v_lshrrev_b32_e32 v3, s13, v3
	v_mul_lo_u32 v4, v3, s11
	v_mul_hi_u32 v5, s15, v3
	v_sub_u32_e32 v1, v1, v4
	v_add_u32_e32 v4, v3, v5
	v_mul_lo_u32 v2, v2, s20
	v_mul_lo_u32 v1, v1, s21
	v_lshrrev_b32_e32 v4, s16, v4
	v_add3_u32 v0, v2, v0, v1
	v_mul_hi_u32 v2, s18, v4
	v_add_u32_e32 v2, v4, v2
	v_mul_lo_u32 v1, v4, s14
	v_lshrrev_b32_e32 v2, s19, v2
	s_add_i32 s26, s26, 4
	v_sub_u32_e32 v1, v3, v1
	v_mul_lo_u32 v3, v2, s17
	s_add_u32 s2, s2, 16
	v_sub_u32_e32 v3, v4, v3
	s_addc_u32 s3, s3, 0
	v_mul_lo_u32 v1, v1, s22
	v_mul_lo_u32 v3, v3, s23
	s_cmp_lg_u32 s24, s26
	v_add3_u32 v0, v1, v0, v3
	s_cbranch_scc1 .LBB93_12
; %bb.13:
	s_and_b32 s8, s25, 3
	s_cmp_eq_u32 s8, 0
	s_cbranch_scc0 .LBB93_24
	s_branch .LBB93_26
.LBB93_14:
	s_or_b64 exec, exec, s[40:41]
	v_cmp_gt_i32_e32 vcc, s48, v12
	s_and_saveexec_b64 s[40:41], vcc
	s_cbranch_execz .LBB93_131
.LBB93_15:
	s_andn2_b64 vcc, exec, s[6:7]
	s_cbranch_vccnz .LBB93_22
; %bb.16:
	s_andn2_b64 vcc, exec, s[38:39]
	s_cbranch_vccnz .LBB93_122
; %bb.17:
	s_add_i32 s51, s49, 1
	s_mov_b32 s50, 0
	s_cmp_eq_u32 s46, 2
	v_mov_b32_e32 v0, 0
	s_cbranch_scc1 .LBB93_139
; %bb.18:
	s_and_b32 s50, s51, 28
	s_mov_b32 s52, 0
	v_mov_b32_e32 v0, 0
	s_mov_b64 s[42:43], s[4:5]
	s_mov_b64 s[44:45], s[36:37]
	v_mov_b32_e32 v2, v12
.LBB93_19:                              ; =>This Inner Loop Header: Depth=1
	s_load_dwordx8 s[8:15], s[42:43], 0x4
	s_load_dwordx4 s[16:19], s[42:43], 0x24
	s_load_dwordx4 s[20:23], s[44:45], 0x0
	s_add_u32 s42, s42, 48
	s_addc_u32 s43, s43, 0
	s_waitcnt lgkmcnt(0)
	v_mul_hi_u32 v1, s9, v2
	v_add_u32_e32 v1, v2, v1
	v_lshrrev_b32_e32 v1, s10, v1
	v_mul_lo_u32 v3, v1, s8
	v_mul_hi_u32 v4, s12, v1
	v_sub_u32_e32 v2, v2, v3
	v_add_u32_e32 v3, v1, v4
	v_lshrrev_b32_e32 v3, s13, v3
	v_mul_lo_u32 v4, v3, s11
	v_mul_hi_u32 v5, s15, v3
	v_sub_u32_e32 v1, v1, v4
	v_add_u32_e32 v4, v3, v5
	v_mul_lo_u32 v2, v2, s20
	v_mul_lo_u32 v1, v1, s21
	v_lshrrev_b32_e32 v4, s16, v4
	v_add3_u32 v0, v2, v0, v1
	v_mul_hi_u32 v2, s18, v4
	v_add_u32_e32 v2, v4, v2
	v_mul_lo_u32 v1, v4, s14
	v_lshrrev_b32_e32 v2, s19, v2
	s_add_i32 s52, s52, 4
	v_sub_u32_e32 v1, v3, v1
	v_mul_lo_u32 v3, v2, s17
	s_add_u32 s44, s44, 16
	v_sub_u32_e32 v3, v4, v3
	s_addc_u32 s45, s45, 0
	v_mul_lo_u32 v1, v1, s22
	v_mul_lo_u32 v3, v3, s23
	s_cmp_eq_u32 s50, s52
	v_add3_u32 v0, v1, v0, v3
	s_cbranch_scc0 .LBB93_19
	s_branch .LBB93_140
.LBB93_20:
                                        ; implicit-def: $vgpr0
	s_branch .LBB93_27
.LBB93_21:
                                        ; implicit-def: $vgpr0
	s_branch .LBB93_128
.LBB93_22:
                                        ; implicit-def: $vgpr0
	s_branch .LBB93_144
.LBB93_23:
	v_mov_b32_e32 v2, v12
	s_and_b32 s8, s25, 3
	s_cmp_eq_u32 s8, 0
	s_cbranch_scc1 .LBB93_26
.LBB93_24:
	s_lshl_b32 s2, s24, 2
	s_add_u32 s2, s2, s4
	s_addc_u32 s3, 0, s5
	s_add_u32 s2, s2, 0xc4
	s_addc_u32 s3, s3, 0
	s_mul_i32 s6, s24, 12
	s_add_u32 s6, s4, s6
	s_addc_u32 s7, 0, s5
.LBB93_25:                              ; =>This Inner Loop Header: Depth=1
	s_load_dwordx2 s[10:11], s[6:7], 0x4
	s_load_dword s9, s[6:7], 0xc
	s_load_dword s12, s[2:3], 0x0
	s_add_u32 s6, s6, 12
	s_addc_u32 s7, s7, 0
	s_waitcnt lgkmcnt(0)
	v_mul_hi_u32 v1, s11, v2
	v_add_u32_e32 v1, v2, v1
	v_lshrrev_b32_e32 v1, s9, v1
	s_add_u32 s2, s2, 4
	v_mul_lo_u32 v3, v1, s10
	s_addc_u32 s3, s3, 0
	s_add_i32 s8, s8, -1
	v_sub_u32_e32 v3, v2, v3
	s_cmp_lg_u32 s8, 0
	v_mov_b32_e32 v2, v1
	v_mad_u64_u32 v[0:1], s[10:11], v3, s12, v[0:1]
	s_cbranch_scc1 .LBB93_25
.LBB93_26:
	s_cbranch_execnz .LBB93_29
.LBB93_27:
	s_load_dwordx4 s[8:11], s[4:5], 0x4
	s_load_dword s2, s[4:5], 0xc4
	s_cmp_lt_u32 s33, 2
	s_waitcnt lgkmcnt(0)
	v_mul_hi_u32 v0, s9, v12
	v_add_u32_e32 v0, v12, v0
	v_lshrrev_b32_e32 v1, s10, v0
	v_mul_lo_u32 v0, v1, s8
	v_sub_u32_e32 v0, v12, v0
	v_mul_lo_u32 v0, v0, s2
	s_cbranch_scc1 .LBB93_29
; %bb.28:
	s_load_dwordx4 s[8:11], s[4:5], 0x10
	s_load_dword s2, s[4:5], 0xc8
	s_waitcnt lgkmcnt(0)
	v_mul_hi_u32 v2, s9, v1
	v_add_u32_e32 v2, v1, v2
	v_lshrrev_b32_e32 v2, s10, v2
	v_mul_lo_u32 v2, v2, s8
	v_sub_u32_e32 v1, v1, v2
	v_mad_u64_u32 v[0:1], s[2:3], v1, s2, v[0:1]
.LBB93_29:
	s_and_b64 vcc, exec, s[0:1]
	v_add_u32_e32 v1, 0x80, v12
	s_cbranch_vccnz .LBB93_35
; %bb.30:
	s_mov_b32 s24, 0
	s_cmp_eq_u32 s33, 0
	v_mov_b32_e32 v2, 0
	s_cbranch_scc1 .LBB93_39
; %bb.31:
	s_min_u32 s25, s46, 15
	s_add_i32 s25, s25, 1
	s_cmp_eq_u32 s46, 2
	v_mov_b32_e32 v2, 0
	s_cbranch_scc1 .LBB93_36
; %bb.32:
	s_add_u32 s2, s4, 0xc4
	s_addc_u32 s3, s5, 0
	s_and_b32 s24, s25, 28
	s_mov_b32 s26, 0
	v_mov_b32_e32 v2, 0
	s_mov_b64 s[6:7], s[4:5]
	v_mov_b32_e32 v4, v1
.LBB93_33:                              ; =>This Inner Loop Header: Depth=1
	s_load_dwordx8 s[8:15], s[6:7], 0x4
	s_load_dwordx4 s[16:19], s[6:7], 0x24
	s_load_dwordx4 s[20:23], s[2:3], 0x0
	s_add_u32 s6, s6, 48
	s_addc_u32 s7, s7, 0
	s_waitcnt lgkmcnt(0)
	v_mul_hi_u32 v3, s9, v4
	v_add_u32_e32 v3, v4, v3
	v_lshrrev_b32_e32 v3, s10, v3
	v_mul_lo_u32 v5, v3, s8
	v_mul_hi_u32 v6, s12, v3
	v_sub_u32_e32 v4, v4, v5
	v_add_u32_e32 v5, v3, v6
	v_lshrrev_b32_e32 v5, s13, v5
	v_mul_lo_u32 v6, v5, s11
	v_mul_hi_u32 v7, s15, v5
	v_sub_u32_e32 v3, v3, v6
	v_add_u32_e32 v6, v5, v7
	v_mul_lo_u32 v4, v4, s20
	v_mul_lo_u32 v3, v3, s21
	v_lshrrev_b32_e32 v6, s16, v6
	v_add3_u32 v2, v4, v2, v3
	v_mul_hi_u32 v4, s18, v6
	v_add_u32_e32 v4, v6, v4
	v_mul_lo_u32 v3, v6, s14
	v_lshrrev_b32_e32 v4, s19, v4
	s_add_i32 s26, s26, 4
	v_sub_u32_e32 v3, v5, v3
	v_mul_lo_u32 v5, v4, s17
	s_add_u32 s2, s2, 16
	v_sub_u32_e32 v5, v6, v5
	s_addc_u32 s3, s3, 0
	v_mul_lo_u32 v3, v3, s22
	v_mul_lo_u32 v5, v5, s23
	s_cmp_lg_u32 s24, s26
	v_add3_u32 v2, v3, v2, v5
	s_cbranch_scc1 .LBB93_33
; %bb.34:
	s_and_b32 s8, s25, 3
	s_cmp_eq_u32 s8, 0
	s_cbranch_scc0 .LBB93_37
	s_branch .LBB93_39
.LBB93_35:
                                        ; implicit-def: $vgpr2
	s_branch .LBB93_40
.LBB93_36:
	v_mov_b32_e32 v4, v1
	s_and_b32 s8, s25, 3
	s_cmp_eq_u32 s8, 0
	s_cbranch_scc1 .LBB93_39
.LBB93_37:
	s_lshl_b32 s2, s24, 2
	s_add_u32 s2, s2, s4
	s_addc_u32 s3, 0, s5
	s_add_u32 s2, s2, 0xc4
	s_addc_u32 s3, s3, 0
	s_mul_i32 s6, s24, 12
	s_add_u32 s6, s4, s6
	s_addc_u32 s7, 0, s5
.LBB93_38:                              ; =>This Inner Loop Header: Depth=1
	s_load_dwordx2 s[10:11], s[6:7], 0x4
	s_load_dword s9, s[6:7], 0xc
	s_load_dword s12, s[2:3], 0x0
	s_add_u32 s6, s6, 12
	s_addc_u32 s7, s7, 0
	s_waitcnt lgkmcnt(0)
	v_mul_hi_u32 v3, s11, v4
	v_add_u32_e32 v3, v4, v3
	v_lshrrev_b32_e32 v3, s9, v3
	s_add_u32 s2, s2, 4
	v_mul_lo_u32 v5, v3, s10
	s_addc_u32 s3, s3, 0
	s_add_i32 s8, s8, -1
	v_sub_u32_e32 v5, v4, v5
	s_cmp_lg_u32 s8, 0
	v_mov_b32_e32 v4, v3
	v_mad_u64_u32 v[2:3], s[10:11], v5, s12, v[2:3]
	s_cbranch_scc1 .LBB93_38
.LBB93_39:
	s_cbranch_execnz .LBB93_42
.LBB93_40:
	s_load_dwordx4 s[8:11], s[4:5], 0x4
	s_load_dword s2, s[4:5], 0xc4
	s_cmp_lt_u32 s33, 2
	s_waitcnt lgkmcnt(0)
	v_mul_hi_u32 v2, s9, v1
	v_add_u32_e32 v2, v1, v2
	v_lshrrev_b32_e32 v3, s10, v2
	v_mul_lo_u32 v2, v3, s8
	v_sub_u32_e32 v1, v1, v2
	v_mul_lo_u32 v2, v1, s2
	s_cbranch_scc1 .LBB93_42
; %bb.41:
	s_load_dwordx4 s[8:11], s[4:5], 0x10
	s_load_dword s2, s[4:5], 0xc8
	s_waitcnt lgkmcnt(0)
	v_mul_hi_u32 v1, s9, v3
	v_add_u32_e32 v1, v3, v1
	v_lshrrev_b32_e32 v1, s10, v1
	v_mul_lo_u32 v1, v1, s8
	v_sub_u32_e32 v1, v3, v1
	v_mad_u64_u32 v[2:3], s[2:3], v1, s2, v[2:3]
.LBB93_42:
	s_and_b64 vcc, exec, s[0:1]
	v_add_u32_e32 v1, 0x100, v12
	s_cbranch_vccnz .LBB93_48
; %bb.43:
	s_mov_b32 s24, 0
	s_cmp_eq_u32 s33, 0
	v_mov_b32_e32 v4, 0
	s_cbranch_scc1 .LBB93_52
; %bb.44:
	s_min_u32 s25, s46, 15
	s_add_i32 s25, s25, 1
	s_cmp_eq_u32 s46, 2
	v_mov_b32_e32 v4, 0
	s_cbranch_scc1 .LBB93_49
; %bb.45:
	s_add_u32 s2, s4, 0xc4
	s_addc_u32 s3, s5, 0
	s_and_b32 s24, s25, 28
	s_mov_b32 s26, 0
	v_mov_b32_e32 v4, 0
	s_mov_b64 s[6:7], s[4:5]
	v_mov_b32_e32 v3, v1
.LBB93_46:                              ; =>This Inner Loop Header: Depth=1
	s_load_dwordx8 s[8:15], s[6:7], 0x4
	s_load_dwordx4 s[16:19], s[6:7], 0x24
	s_load_dwordx4 s[20:23], s[2:3], 0x0
	s_add_u32 s6, s6, 48
	s_addc_u32 s7, s7, 0
	s_waitcnt lgkmcnt(0)
	v_mul_hi_u32 v5, s9, v3
	v_add_u32_e32 v5, v3, v5
	v_lshrrev_b32_e32 v5, s10, v5
	v_mul_lo_u32 v6, v5, s8
	v_mul_hi_u32 v7, s12, v5
	v_sub_u32_e32 v3, v3, v6
	v_add_u32_e32 v6, v5, v7
	v_lshrrev_b32_e32 v6, s13, v6
	v_mul_lo_u32 v7, v6, s11
	v_mul_hi_u32 v8, s15, v6
	v_sub_u32_e32 v5, v5, v7
	v_add_u32_e32 v7, v6, v8
	v_mul_lo_u32 v3, v3, s20
	v_mul_lo_u32 v5, v5, s21
	v_lshrrev_b32_e32 v7, s16, v7
	v_add3_u32 v4, v3, v4, v5
	v_mul_lo_u32 v3, v7, s14
	v_mul_hi_u32 v5, s18, v7
	v_sub_u32_e32 v3, v6, v3
	v_add_u32_e32 v5, v7, v5
	v_mul_lo_u32 v6, v3, s22
	v_lshrrev_b32_e32 v3, s19, v5
	s_add_i32 s26, s26, 4
	v_mul_lo_u32 v5, v3, s17
	s_add_u32 s2, s2, 16
	v_sub_u32_e32 v5, v7, v5
	s_addc_u32 s3, s3, 0
	v_mul_lo_u32 v5, v5, s23
	s_cmp_lg_u32 s24, s26
	v_add3_u32 v4, v6, v4, v5
	s_cbranch_scc1 .LBB93_46
; %bb.47:
	s_and_b32 s8, s25, 3
	s_cmp_eq_u32 s8, 0
	s_cbranch_scc0 .LBB93_50
	s_branch .LBB93_52
.LBB93_48:
                                        ; implicit-def: $vgpr4
	s_branch .LBB93_53
.LBB93_49:
	v_mov_b32_e32 v3, v1
	s_and_b32 s8, s25, 3
	s_cmp_eq_u32 s8, 0
	s_cbranch_scc1 .LBB93_52
.LBB93_50:
	s_lshl_b32 s2, s24, 2
	s_add_u32 s2, s2, s4
	s_addc_u32 s3, 0, s5
	s_add_u32 s2, s2, 0xc4
	s_addc_u32 s3, s3, 0
	s_mul_i32 s6, s24, 12
	s_add_u32 s6, s4, s6
	s_addc_u32 s7, 0, s5
.LBB93_51:                              ; =>This Inner Loop Header: Depth=1
	s_load_dwordx2 s[10:11], s[6:7], 0x4
	s_load_dword s9, s[6:7], 0xc
	s_load_dword s12, s[2:3], 0x0
	s_add_u32 s6, s6, 12
	s_addc_u32 s7, s7, 0
	s_waitcnt lgkmcnt(0)
	v_mul_hi_u32 v5, s11, v3
	v_add_u32_e32 v5, v3, v5
	v_lshrrev_b32_e32 v5, s9, v5
	s_add_u32 s2, s2, 4
	v_mul_lo_u32 v6, v5, s10
	s_addc_u32 s3, s3, 0
	s_add_i32 s8, s8, -1
	v_sub_u32_e32 v6, v3, v6
	s_cmp_lg_u32 s8, 0
	v_mov_b32_e32 v3, v5
	v_mad_u64_u32 v[4:5], s[10:11], v6, s12, v[4:5]
	s_cbranch_scc1 .LBB93_51
.LBB93_52:
	s_cbranch_execnz .LBB93_55
.LBB93_53:
	s_load_dwordx4 s[8:11], s[4:5], 0x4
	s_load_dword s2, s[4:5], 0xc4
	s_cmp_lt_u32 s33, 2
	s_waitcnt lgkmcnt(0)
	v_mul_hi_u32 v3, s9, v1
	v_add_u32_e32 v3, v1, v3
	v_lshrrev_b32_e32 v3, s10, v3
	v_mul_lo_u32 v4, v3, s8
	v_sub_u32_e32 v1, v1, v4
	v_mul_lo_u32 v4, v1, s2
	s_cbranch_scc1 .LBB93_55
; %bb.54:
	s_load_dwordx4 s[8:11], s[4:5], 0x10
	s_load_dword s2, s[4:5], 0xc8
	s_waitcnt lgkmcnt(0)
	v_mul_hi_u32 v1, s9, v3
	v_add_u32_e32 v1, v3, v1
	v_lshrrev_b32_e32 v1, s10, v1
	v_mul_lo_u32 v1, v1, s8
	v_sub_u32_e32 v1, v3, v1
	v_mad_u64_u32 v[4:5], s[2:3], v1, s2, v[4:5]
.LBB93_55:
	s_and_b64 vcc, exec, s[0:1]
	v_add_u32_e32 v1, 0x180, v12
	s_cbranch_vccnz .LBB93_61
; %bb.56:
	s_mov_b32 s24, 0
	s_cmp_eq_u32 s33, 0
	v_mov_b32_e32 v6, 0
	s_cbranch_scc1 .LBB93_65
; %bb.57:
	s_min_u32 s25, s46, 15
	s_add_i32 s25, s25, 1
	s_cmp_eq_u32 s46, 2
	v_mov_b32_e32 v6, 0
	s_cbranch_scc1 .LBB93_62
; %bb.58:
	s_add_u32 s2, s4, 0xc4
	s_addc_u32 s3, s5, 0
	s_and_b32 s24, s25, 28
	s_mov_b32 s26, 0
	v_mov_b32_e32 v6, 0
	s_mov_b64 s[6:7], s[4:5]
	v_mov_b32_e32 v3, v1
.LBB93_59:                              ; =>This Inner Loop Header: Depth=1
	s_load_dwordx8 s[8:15], s[6:7], 0x4
	s_load_dwordx4 s[16:19], s[6:7], 0x24
	s_load_dwordx4 s[20:23], s[2:3], 0x0
	s_add_u32 s6, s6, 48
	s_addc_u32 s7, s7, 0
	s_waitcnt lgkmcnt(0)
	v_mul_hi_u32 v5, s9, v3
	v_add_u32_e32 v5, v3, v5
	v_lshrrev_b32_e32 v5, s10, v5
	v_mul_lo_u32 v7, v5, s8
	v_mul_hi_u32 v8, s12, v5
	v_sub_u32_e32 v3, v3, v7
	v_add_u32_e32 v7, v5, v8
	v_lshrrev_b32_e32 v7, s13, v7
	v_mul_lo_u32 v8, v7, s11
	v_mul_hi_u32 v9, s15, v7
	v_sub_u32_e32 v5, v5, v8
	v_add_u32_e32 v8, v7, v9
	v_mul_lo_u32 v3, v3, s20
	v_mul_lo_u32 v5, v5, s21
	v_lshrrev_b32_e32 v8, s16, v8
	v_add3_u32 v5, v3, v6, v5
	v_mul_lo_u32 v3, v8, s14
	v_mul_hi_u32 v6, s18, v8
	v_sub_u32_e32 v3, v7, v3
	v_add_u32_e32 v6, v8, v6
	v_mul_lo_u32 v7, v3, s22
	v_lshrrev_b32_e32 v3, s19, v6
	s_add_i32 s26, s26, 4
	v_mul_lo_u32 v6, v3, s17
	s_add_u32 s2, s2, 16
	v_sub_u32_e32 v6, v8, v6
	s_addc_u32 s3, s3, 0
	v_mul_lo_u32 v6, v6, s23
	s_cmp_lg_u32 s24, s26
	v_add3_u32 v6, v7, v5, v6
	s_cbranch_scc1 .LBB93_59
; %bb.60:
	s_and_b32 s8, s25, 3
	s_cmp_eq_u32 s8, 0
	s_cbranch_scc0 .LBB93_63
	s_branch .LBB93_65
.LBB93_61:
                                        ; implicit-def: $vgpr6
	s_branch .LBB93_66
.LBB93_62:
	v_mov_b32_e32 v3, v1
	s_and_b32 s8, s25, 3
	s_cmp_eq_u32 s8, 0
	s_cbranch_scc1 .LBB93_65
.LBB93_63:
	s_lshl_b32 s2, s24, 2
	s_add_u32 s2, s2, s4
	s_addc_u32 s3, 0, s5
	s_add_u32 s2, s2, 0xc4
	s_addc_u32 s3, s3, 0
	s_mul_i32 s6, s24, 12
	s_add_u32 s6, s4, s6
	s_addc_u32 s7, 0, s5
.LBB93_64:                              ; =>This Inner Loop Header: Depth=1
	s_load_dwordx2 s[10:11], s[6:7], 0x4
	s_load_dword s9, s[6:7], 0xc
	s_load_dword s12, s[2:3], 0x0
	s_add_u32 s6, s6, 12
	s_addc_u32 s7, s7, 0
	s_waitcnt lgkmcnt(0)
	v_mul_hi_u32 v5, s11, v3
	v_add_u32_e32 v5, v3, v5
	v_lshrrev_b32_e32 v5, s9, v5
	s_add_u32 s2, s2, 4
	v_mul_lo_u32 v7, v5, s10
	s_addc_u32 s3, s3, 0
	s_add_i32 s8, s8, -1
	v_sub_u32_e32 v7, v3, v7
	s_cmp_lg_u32 s8, 0
	v_mov_b32_e32 v3, v5
	v_mad_u64_u32 v[6:7], s[10:11], v7, s12, v[6:7]
	s_cbranch_scc1 .LBB93_64
.LBB93_65:
	s_cbranch_execnz .LBB93_68
.LBB93_66:
	s_load_dwordx4 s[8:11], s[4:5], 0x4
	s_load_dword s2, s[4:5], 0xc4
	s_cmp_lt_u32 s33, 2
	s_waitcnt lgkmcnt(0)
	v_mul_hi_u32 v3, s9, v1
	v_add_u32_e32 v3, v1, v3
	v_lshrrev_b32_e32 v3, s10, v3
	v_mul_lo_u32 v5, v3, s8
	v_sub_u32_e32 v1, v1, v5
	v_mul_lo_u32 v6, v1, s2
	s_cbranch_scc1 .LBB93_68
; %bb.67:
	s_load_dwordx4 s[8:11], s[4:5], 0x10
	s_load_dword s2, s[4:5], 0xc8
	s_waitcnt lgkmcnt(0)
	v_mul_hi_u32 v1, s9, v3
	v_add_u32_e32 v1, v3, v1
	v_lshrrev_b32_e32 v1, s10, v1
	v_mul_lo_u32 v1, v1, s8
	v_sub_u32_e32 v1, v3, v1
	v_mad_u64_u32 v[6:7], s[2:3], v1, s2, v[6:7]
.LBB93_68:
	s_and_b64 vcc, exec, s[0:1]
	v_add_u32_e32 v1, 0x200, v12
	s_cbranch_vccnz .LBB93_74
; %bb.69:
	s_mov_b32 s24, 0
	s_cmp_eq_u32 s33, 0
	v_mov_b32_e32 v8, 0
	s_cbranch_scc1 .LBB93_78
; %bb.70:
	s_min_u32 s25, s46, 15
	s_add_i32 s25, s25, 1
	s_cmp_eq_u32 s46, 2
	v_mov_b32_e32 v8, 0
	s_cbranch_scc1 .LBB93_75
; %bb.71:
	s_add_u32 s2, s4, 0xc4
	s_addc_u32 s3, s5, 0
	s_and_b32 s24, s25, 28
	s_mov_b32 s26, 0
	v_mov_b32_e32 v8, 0
	s_mov_b64 s[6:7], s[4:5]
	v_mov_b32_e32 v3, v1
.LBB93_72:                              ; =>This Inner Loop Header: Depth=1
	s_load_dwordx8 s[8:15], s[6:7], 0x4
	s_load_dwordx4 s[16:19], s[6:7], 0x24
	s_load_dwordx4 s[20:23], s[2:3], 0x0
	s_add_u32 s6, s6, 48
	s_addc_u32 s7, s7, 0
	s_waitcnt lgkmcnt(0)
	v_mul_hi_u32 v5, s9, v3
	v_add_u32_e32 v5, v3, v5
	v_lshrrev_b32_e32 v5, s10, v5
	v_mul_lo_u32 v7, v5, s8
	v_mul_hi_u32 v9, s12, v5
	v_sub_u32_e32 v3, v3, v7
	v_add_u32_e32 v7, v5, v9
	v_lshrrev_b32_e32 v7, s13, v7
	v_mul_lo_u32 v9, v7, s11
	v_mul_hi_u32 v10, s15, v7
	v_sub_u32_e32 v5, v5, v9
	v_add_u32_e32 v9, v7, v10
	v_mul_lo_u32 v3, v3, s20
	v_mul_lo_u32 v5, v5, s21
	v_lshrrev_b32_e32 v9, s16, v9
	v_add3_u32 v5, v3, v8, v5
	v_mul_lo_u32 v3, v9, s14
	v_mul_hi_u32 v8, s18, v9
	v_sub_u32_e32 v3, v7, v3
	v_add_u32_e32 v7, v9, v8
	v_mul_lo_u32 v8, v3, s22
	v_lshrrev_b32_e32 v3, s19, v7
	s_add_i32 s26, s26, 4
	v_mul_lo_u32 v7, v3, s17
	s_add_u32 s2, s2, 16
	v_sub_u32_e32 v7, v9, v7
	s_addc_u32 s3, s3, 0
	v_mul_lo_u32 v7, v7, s23
	s_cmp_lg_u32 s24, s26
	v_add3_u32 v8, v8, v5, v7
	s_cbranch_scc1 .LBB93_72
; %bb.73:
	s_and_b32 s8, s25, 3
	s_cmp_eq_u32 s8, 0
	s_cbranch_scc0 .LBB93_76
	s_branch .LBB93_78
.LBB93_74:
                                        ; implicit-def: $vgpr8
	s_branch .LBB93_79
.LBB93_75:
	v_mov_b32_e32 v3, v1
	s_and_b32 s8, s25, 3
	s_cmp_eq_u32 s8, 0
	s_cbranch_scc1 .LBB93_78
.LBB93_76:
	s_lshl_b32 s2, s24, 2
	s_add_u32 s2, s2, s4
	s_addc_u32 s3, 0, s5
	s_add_u32 s2, s2, 0xc4
	s_addc_u32 s3, s3, 0
	s_mul_i32 s6, s24, 12
	s_add_u32 s6, s4, s6
	s_addc_u32 s7, 0, s5
.LBB93_77:                              ; =>This Inner Loop Header: Depth=1
	s_load_dwordx2 s[10:11], s[6:7], 0x4
	s_load_dword s9, s[6:7], 0xc
	s_load_dword s12, s[2:3], 0x0
	s_add_u32 s6, s6, 12
	s_addc_u32 s7, s7, 0
	s_waitcnt lgkmcnt(0)
	v_mul_hi_u32 v5, s11, v3
	v_add_u32_e32 v5, v3, v5
	v_lshrrev_b32_e32 v5, s9, v5
	s_add_u32 s2, s2, 4
	v_mul_lo_u32 v7, v5, s10
	s_addc_u32 s3, s3, 0
	s_add_i32 s8, s8, -1
	v_sub_u32_e32 v7, v3, v7
	s_cmp_lg_u32 s8, 0
	v_mov_b32_e32 v3, v5
	v_mad_u64_u32 v[8:9], s[10:11], v7, s12, v[8:9]
	s_cbranch_scc1 .LBB93_77
.LBB93_78:
	s_cbranch_execnz .LBB93_81
.LBB93_79:
	s_load_dwordx4 s[8:11], s[4:5], 0x4
	s_load_dword s2, s[4:5], 0xc4
	s_cmp_lt_u32 s33, 2
	s_waitcnt lgkmcnt(0)
	v_mul_hi_u32 v3, s9, v1
	v_add_u32_e32 v3, v1, v3
	v_lshrrev_b32_e32 v3, s10, v3
	v_mul_lo_u32 v5, v3, s8
	v_sub_u32_e32 v1, v1, v5
	v_mul_lo_u32 v8, v1, s2
	s_cbranch_scc1 .LBB93_81
; %bb.80:
	s_load_dwordx4 s[8:11], s[4:5], 0x10
	s_load_dword s2, s[4:5], 0xc8
	s_waitcnt lgkmcnt(0)
	v_mul_hi_u32 v1, s9, v3
	v_add_u32_e32 v1, v3, v1
	v_lshrrev_b32_e32 v1, s10, v1
	v_mul_lo_u32 v1, v1, s8
	v_sub_u32_e32 v1, v3, v1
	v_mad_u64_u32 v[8:9], s[2:3], v1, s2, v[8:9]
.LBB93_81:
	s_and_b64 vcc, exec, s[0:1]
	v_add_u32_e32 v1, 0x280, v12
	s_cbranch_vccnz .LBB93_87
; %bb.82:
	s_mov_b32 s24, 0
	s_cmp_eq_u32 s33, 0
	v_mov_b32_e32 v10, 0
	s_cbranch_scc1 .LBB93_91
; %bb.83:
	s_min_u32 s25, s46, 15
	s_add_i32 s25, s25, 1
	s_cmp_eq_u32 s46, 2
	v_mov_b32_e32 v10, 0
	s_cbranch_scc1 .LBB93_88
; %bb.84:
	s_add_u32 s2, s4, 0xc4
	s_addc_u32 s3, s5, 0
	s_and_b32 s24, s25, 28
	s_mov_b32 s26, 0
	v_mov_b32_e32 v10, 0
	s_mov_b64 s[6:7], s[4:5]
	v_mov_b32_e32 v3, v1
.LBB93_85:                              ; =>This Inner Loop Header: Depth=1
	s_load_dwordx8 s[8:15], s[6:7], 0x4
	s_load_dwordx4 s[16:19], s[6:7], 0x24
	s_load_dwordx4 s[20:23], s[2:3], 0x0
	s_add_u32 s6, s6, 48
	s_addc_u32 s7, s7, 0
	s_waitcnt lgkmcnt(0)
	v_mul_hi_u32 v5, s9, v3
	v_add_u32_e32 v5, v3, v5
	v_lshrrev_b32_e32 v5, s10, v5
	v_mul_lo_u32 v7, v5, s8
	v_mul_hi_u32 v9, s12, v5
	v_sub_u32_e32 v3, v3, v7
	v_add_u32_e32 v7, v5, v9
	v_lshrrev_b32_e32 v7, s13, v7
	v_mul_lo_u32 v9, v7, s11
	v_mul_hi_u32 v11, s15, v7
	v_sub_u32_e32 v5, v5, v9
	v_add_u32_e32 v9, v7, v11
	v_mul_lo_u32 v3, v3, s20
	v_mul_lo_u32 v5, v5, s21
	v_lshrrev_b32_e32 v9, s16, v9
	v_add3_u32 v5, v3, v10, v5
	v_mul_lo_u32 v3, v9, s14
	v_mul_hi_u32 v10, s18, v9
	v_sub_u32_e32 v3, v7, v3
	v_add_u32_e32 v7, v9, v10
	v_mul_lo_u32 v10, v3, s22
	v_lshrrev_b32_e32 v3, s19, v7
	s_add_i32 s26, s26, 4
	v_mul_lo_u32 v7, v3, s17
	s_add_u32 s2, s2, 16
	v_sub_u32_e32 v7, v9, v7
	s_addc_u32 s3, s3, 0
	v_mul_lo_u32 v7, v7, s23
	s_cmp_lg_u32 s24, s26
	v_add3_u32 v10, v10, v5, v7
	s_cbranch_scc1 .LBB93_85
; %bb.86:
	s_and_b32 s8, s25, 3
	s_cmp_eq_u32 s8, 0
	s_cbranch_scc0 .LBB93_89
	s_branch .LBB93_91
.LBB93_87:
                                        ; implicit-def: $vgpr10
	s_branch .LBB93_92
.LBB93_88:
	v_mov_b32_e32 v3, v1
	s_and_b32 s8, s25, 3
	s_cmp_eq_u32 s8, 0
	s_cbranch_scc1 .LBB93_91
.LBB93_89:
	s_lshl_b32 s2, s24, 2
	s_add_u32 s2, s2, s4
	s_addc_u32 s3, 0, s5
	s_add_u32 s2, s2, 0xc4
	s_addc_u32 s3, s3, 0
	s_mul_i32 s6, s24, 12
	s_add_u32 s6, s4, s6
	s_addc_u32 s7, 0, s5
.LBB93_90:                              ; =>This Inner Loop Header: Depth=1
	s_load_dwordx2 s[10:11], s[6:7], 0x4
	s_load_dword s9, s[6:7], 0xc
	s_load_dword s12, s[2:3], 0x0
	s_add_u32 s6, s6, 12
	s_addc_u32 s7, s7, 0
	s_waitcnt lgkmcnt(0)
	v_mul_hi_u32 v5, s11, v3
	v_add_u32_e32 v5, v3, v5
	v_lshrrev_b32_e32 v5, s9, v5
	s_add_u32 s2, s2, 4
	v_mul_lo_u32 v7, v5, s10
	s_addc_u32 s3, s3, 0
	s_add_i32 s8, s8, -1
	v_sub_u32_e32 v7, v3, v7
	s_cmp_lg_u32 s8, 0
	v_mov_b32_e32 v3, v5
	v_mad_u64_u32 v[10:11], s[10:11], v7, s12, v[10:11]
	s_cbranch_scc1 .LBB93_90
.LBB93_91:
	s_cbranch_execnz .LBB93_94
.LBB93_92:
	s_load_dwordx4 s[8:11], s[4:5], 0x4
	s_load_dword s2, s[4:5], 0xc4
	s_cmp_lt_u32 s33, 2
	s_waitcnt lgkmcnt(0)
	v_mul_hi_u32 v3, s9, v1
	v_add_u32_e32 v3, v1, v3
	v_lshrrev_b32_e32 v3, s10, v3
	v_mul_lo_u32 v5, v3, s8
	v_sub_u32_e32 v1, v1, v5
	v_mul_lo_u32 v10, v1, s2
	s_cbranch_scc1 .LBB93_94
; %bb.93:
	s_load_dwordx4 s[8:11], s[4:5], 0x10
	s_load_dword s2, s[4:5], 0xc8
	s_waitcnt lgkmcnt(0)
	v_mul_hi_u32 v1, s9, v3
	v_add_u32_e32 v1, v3, v1
	v_lshrrev_b32_e32 v1, s10, v1
	v_mul_lo_u32 v1, v1, s8
	v_sub_u32_e32 v1, v3, v1
	v_mad_u64_u32 v[10:11], s[2:3], v1, s2, v[10:11]
.LBB93_94:
	s_and_b64 vcc, exec, s[0:1]
	v_add_u32_e32 v1, 0x300, v12
	s_cbranch_vccnz .LBB93_100
; %bb.95:
	s_mov_b32 s24, 0
	s_cmp_eq_u32 s33, 0
	v_mov_b32_e32 v12, 0
	s_cbranch_scc1 .LBB93_104
; %bb.96:
	s_min_u32 s25, s46, 15
	s_add_i32 s25, s25, 1
	s_cmp_eq_u32 s46, 2
	v_mov_b32_e32 v12, 0
	s_cbranch_scc1 .LBB93_101
; %bb.97:
	s_add_u32 s2, s4, 0xc4
	s_addc_u32 s3, s5, 0
	s_and_b32 s24, s25, 28
	s_mov_b32 s26, 0
	v_mov_b32_e32 v12, 0
	s_mov_b64 s[6:7], s[4:5]
	v_mov_b32_e32 v3, v1
.LBB93_98:                              ; =>This Inner Loop Header: Depth=1
	s_load_dwordx8 s[8:15], s[6:7], 0x4
	s_load_dwordx4 s[16:19], s[6:7], 0x24
	s_load_dwordx4 s[20:23], s[2:3], 0x0
	s_add_u32 s6, s6, 48
	s_addc_u32 s7, s7, 0
	s_waitcnt lgkmcnt(0)
	v_mul_hi_u32 v5, s9, v3
	v_add_u32_e32 v5, v3, v5
	v_lshrrev_b32_e32 v5, s10, v5
	v_mul_lo_u32 v7, v5, s8
	v_mul_hi_u32 v9, s12, v5
	v_sub_u32_e32 v3, v3, v7
	v_add_u32_e32 v7, v5, v9
	v_lshrrev_b32_e32 v7, s13, v7
	v_mul_lo_u32 v9, v7, s11
	v_mul_hi_u32 v11, s15, v7
	v_sub_u32_e32 v5, v5, v9
	v_add_u32_e32 v9, v7, v11
	v_mul_lo_u32 v3, v3, s20
	v_mul_lo_u32 v5, v5, s21
	v_lshrrev_b32_e32 v9, s16, v9
	v_add3_u32 v5, v3, v12, v5
	v_mul_lo_u32 v3, v9, s14
	v_mul_hi_u32 v11, s18, v9
	v_sub_u32_e32 v3, v7, v3
	v_add_u32_e32 v7, v9, v11
	v_mul_lo_u32 v11, v3, s22
	v_lshrrev_b32_e32 v3, s19, v7
	s_add_i32 s26, s26, 4
	v_mul_lo_u32 v7, v3, s17
	s_add_u32 s2, s2, 16
	v_sub_u32_e32 v7, v9, v7
	s_addc_u32 s3, s3, 0
	v_mul_lo_u32 v7, v7, s23
	s_cmp_lg_u32 s24, s26
	v_add3_u32 v12, v11, v5, v7
	s_cbranch_scc1 .LBB93_98
; %bb.99:
	s_and_b32 s8, s25, 3
	s_cmp_eq_u32 s8, 0
	s_cbranch_scc0 .LBB93_102
	s_branch .LBB93_104
.LBB93_100:
                                        ; implicit-def: $vgpr12
	s_branch .LBB93_105
.LBB93_101:
	v_mov_b32_e32 v3, v1
	s_and_b32 s8, s25, 3
	s_cmp_eq_u32 s8, 0
	s_cbranch_scc1 .LBB93_104
.LBB93_102:
	s_lshl_b32 s2, s24, 2
	s_add_u32 s2, s2, s4
	s_addc_u32 s3, 0, s5
	s_add_u32 s2, s2, 0xc4
	s_addc_u32 s3, s3, 0
	s_mul_i32 s6, s24, 12
	s_add_u32 s6, s4, s6
	s_addc_u32 s7, 0, s5
.LBB93_103:                             ; =>This Inner Loop Header: Depth=1
	s_load_dwordx2 s[10:11], s[6:7], 0x4
	s_load_dword s9, s[6:7], 0xc
	s_load_dword s12, s[2:3], 0x0
	s_add_u32 s6, s6, 12
	s_addc_u32 s7, s7, 0
	s_waitcnt lgkmcnt(0)
	v_mul_hi_u32 v5, s11, v3
	v_add_u32_e32 v5, v3, v5
	v_lshrrev_b32_e32 v5, s9, v5
	s_add_u32 s2, s2, 4
	v_mul_lo_u32 v7, v5, s10
	s_addc_u32 s3, s3, 0
	s_add_i32 s8, s8, -1
	v_sub_u32_e32 v7, v3, v7
	s_cmp_lg_u32 s8, 0
	v_mov_b32_e32 v3, v5
	v_mad_u64_u32 v[12:13], s[10:11], v7, s12, v[12:13]
	s_cbranch_scc1 .LBB93_103
.LBB93_104:
	s_cbranch_execnz .LBB93_107
.LBB93_105:
	s_load_dwordx4 s[8:11], s[4:5], 0x4
	s_load_dword s2, s[4:5], 0xc4
	s_cmp_lt_u32 s33, 2
	s_waitcnt lgkmcnt(0)
	v_mul_hi_u32 v3, s9, v1
	v_add_u32_e32 v3, v1, v3
	v_lshrrev_b32_e32 v3, s10, v3
	v_mul_lo_u32 v5, v3, s8
	v_sub_u32_e32 v1, v1, v5
	v_mul_lo_u32 v12, v1, s2
	s_cbranch_scc1 .LBB93_107
; %bb.106:
	s_load_dwordx4 s[8:11], s[4:5], 0x10
	s_load_dword s2, s[4:5], 0xc8
	s_waitcnt lgkmcnt(0)
	v_mul_hi_u32 v1, s9, v3
	v_add_u32_e32 v1, v3, v1
	v_lshrrev_b32_e32 v1, s10, v1
	v_mul_lo_u32 v1, v1, s8
	v_sub_u32_e32 v1, v3, v1
	v_mad_u64_u32 v[12:13], s[2:3], v1, s2, v[12:13]
.LBB93_107:
	s_and_b64 vcc, exec, s[0:1]
	s_cbranch_vccnz .LBB93_113
; %bb.108:
	s_mov_b32 s22, 0
	s_cmp_eq_u32 s33, 0
	v_mov_b32_e32 v14, 0
	s_cbranch_scc1 .LBB93_117
; %bb.109:
	s_min_u32 s23, s46, 15
	s_add_i32 s23, s23, 1
	s_cmp_eq_u32 s46, 2
	v_mov_b32_e32 v14, 0
	s_cbranch_scc1 .LBB93_114
; %bb.110:
	s_add_u32 s6, s4, 0xc4
	s_addc_u32 s7, s5, 0
	s_and_b32 s22, s23, 28
	s_mov_b32 s24, 0
	v_mov_b32_e32 v14, 0
	s_mov_b64 s[20:21], s[4:5]
	v_mov_b32_e32 v1, v16
.LBB93_111:                             ; =>This Inner Loop Header: Depth=1
	s_load_dwordx8 s[8:15], s[20:21], 0x4
	s_load_dwordx4 s[0:3], s[20:21], 0x24
	s_load_dwordx4 s[16:19], s[6:7], 0x0
	s_add_u32 s20, s20, 48
	s_addc_u32 s21, s21, 0
	s_waitcnt lgkmcnt(0)
	v_mul_hi_u32 v3, s9, v1
	v_add_u32_e32 v3, v1, v3
	v_lshrrev_b32_e32 v3, s10, v3
	v_mul_lo_u32 v5, v3, s8
	v_mul_hi_u32 v7, s12, v3
	v_sub_u32_e32 v1, v1, v5
	v_add_u32_e32 v5, v3, v7
	v_lshrrev_b32_e32 v5, s13, v5
	v_mul_lo_u32 v7, v5, s11
	v_mul_hi_u32 v9, s15, v5
	v_sub_u32_e32 v3, v3, v7
	v_add_u32_e32 v7, v5, v9
	v_mul_lo_u32 v1, v1, s16
	v_mul_lo_u32 v3, v3, s17
	v_lshrrev_b32_e32 v7, s0, v7
	v_add3_u32 v3, v1, v14, v3
	v_mul_lo_u32 v1, v7, s14
	v_mul_hi_u32 v9, s2, v7
	v_sub_u32_e32 v1, v5, v1
	v_add_u32_e32 v5, v7, v9
	v_mul_lo_u32 v9, v1, s18
	v_lshrrev_b32_e32 v1, s3, v5
	s_add_i32 s24, s24, 4
	v_mul_lo_u32 v5, v1, s1
	s_add_u32 s6, s6, 16
	v_sub_u32_e32 v5, v7, v5
	s_addc_u32 s7, s7, 0
	v_mul_lo_u32 v5, v5, s19
	s_cmp_lg_u32 s22, s24
	v_add3_u32 v14, v9, v3, v5
	s_cbranch_scc1 .LBB93_111
; %bb.112:
	s_and_b32 s6, s23, 3
	s_cmp_eq_u32 s6, 0
	s_cbranch_scc0 .LBB93_115
	s_branch .LBB93_117
.LBB93_113:
                                        ; implicit-def: $vgpr14
	s_branch .LBB93_118
.LBB93_114:
	v_mov_b32_e32 v1, v16
	s_and_b32 s6, s23, 3
	s_cmp_eq_u32 s6, 0
	s_cbranch_scc1 .LBB93_117
.LBB93_115:
	s_lshl_b32 s0, s22, 2
	s_add_u32 s0, s0, s4
	s_addc_u32 s1, 0, s5
	s_add_u32 s0, s0, 0xc4
	s_addc_u32 s1, s1, 0
	s_mul_i32 s2, s22, 12
	s_add_u32 s2, s4, s2
	s_addc_u32 s3, 0, s5
.LBB93_116:                             ; =>This Inner Loop Header: Depth=1
	s_load_dwordx2 s[8:9], s[2:3], 0x4
	s_load_dword s7, s[2:3], 0xc
	s_load_dword s10, s[0:1], 0x0
	s_add_u32 s2, s2, 12
	s_addc_u32 s3, s3, 0
	s_waitcnt lgkmcnt(0)
	v_mul_hi_u32 v3, s9, v1
	v_add_u32_e32 v3, v1, v3
	v_lshrrev_b32_e32 v3, s7, v3
	s_add_u32 s0, s0, 4
	v_mul_lo_u32 v5, v3, s8
	s_addc_u32 s1, s1, 0
	s_add_i32 s6, s6, -1
	v_sub_u32_e32 v5, v1, v5
	s_cmp_lg_u32 s6, 0
	v_mov_b32_e32 v1, v3
	v_mad_u64_u32 v[14:15], s[8:9], v5, s10, v[14:15]
	s_cbranch_scc1 .LBB93_116
.LBB93_117:
	s_cbranch_execnz .LBB93_120
.LBB93_118:
	s_load_dwordx4 s[0:3], s[4:5], 0x4
	s_waitcnt lgkmcnt(0)
	s_load_dword s3, s[4:5], 0xc4
	s_cmp_lt_u32 s33, 2
	v_mul_hi_u32 v1, s1, v16
	v_add_u32_e32 v1, v16, v1
	v_lshrrev_b32_e32 v1, s2, v1
	v_mul_lo_u32 v3, v1, s0
	v_sub_u32_e32 v3, v16, v3
	s_waitcnt lgkmcnt(0)
	v_mul_lo_u32 v14, v3, s3
	s_cbranch_scc1 .LBB93_120
; %bb.119:
	s_load_dwordx4 s[0:3], s[4:5], 0x10
	s_waitcnt lgkmcnt(0)
	s_load_dword s3, s[4:5], 0xc8
	v_mul_hi_u32 v3, s1, v1
	v_add_u32_e32 v3, v1, v3
	v_lshrrev_b32_e32 v3, s2, v3
	v_mul_lo_u32 v3, v3, s0
	v_sub_u32_e32 v1, v1, v3
	s_waitcnt lgkmcnt(0)
	v_mad_u64_u32 v[14:15], s[0:1], v1, s3, v[14:15]
.LBB93_120:
	s_load_dword s2, s[4:5], 0x110
	s_load_dwordx2 s[0:1], s[4:5], 0x108
	s_waitcnt lgkmcnt(0)
	v_mov_b32_e32 v1, s2
	s_nop 0
	global_store_byte v0, v1, s[0:1]
	global_store_byte v2, v1, s[0:1]
	global_store_byte v4, v1, s[0:1]
	global_store_byte v6, v1, s[0:1]
	global_store_byte v8, v1, s[0:1]
	global_store_byte v10, v1, s[0:1]
	global_store_byte v12, v1, s[0:1]
	global_store_byte v14, v1, s[0:1]
	s_endpgm
.LBB93_121:
	v_mov_b32_e32 v0, 0
	s_branch .LBB93_127
.LBB93_122:
	v_mov_b32_e32 v0, 0
	s_branch .LBB93_143
.LBB93_123:
	v_mov_b32_e32 v2, v12
.LBB93_124:
	s_and_b32 s12, s51, 3
	s_cmp_eq_u32 s12, 0
	s_cbranch_scc1 .LBB93_127
; %bb.125:
	s_lshl_b32 s8, s50, 2
	s_add_u32 s8, s8, s4
	s_addc_u32 s9, s5, 0
	s_add_u32 s8, s8, 0xc4
	s_addc_u32 s9, s9, 0
	s_mul_i32 s10, s50, 12
	s_add_u32 s10, s4, s10
	s_addc_u32 s11, s5, 0
.LBB93_126:                             ; =>This Inner Loop Header: Depth=1
	s_load_dwordx2 s[14:15], s[10:11], 0x4
	s_load_dword s13, s[10:11], 0xc
	s_load_dword s16, s[8:9], 0x0
	s_add_u32 s10, s10, 12
	s_addc_u32 s11, s11, 0
	s_waitcnt lgkmcnt(0)
	v_mul_hi_u32 v1, s15, v2
	v_add_u32_e32 v1, v2, v1
	v_lshrrev_b32_e32 v1, s13, v1
	s_add_u32 s8, s8, 4
	v_mul_lo_u32 v3, v1, s14
	s_addc_u32 s9, s9, 0
	s_add_i32 s12, s12, -1
	v_sub_u32_e32 v3, v2, v3
	s_cmp_lg_u32 s12, 0
	v_mov_b32_e32 v2, v1
	v_mad_u64_u32 v[0:1], s[14:15], v3, s16, v[0:1]
	s_cbranch_scc1 .LBB93_126
.LBB93_127:
	s_cbranch_execnz .LBB93_130
.LBB93_128:
	s_waitcnt lgkmcnt(0)
	v_mul_hi_u32 v0, s1, v12
	v_add_u32_e32 v0, v12, v0
	v_lshrrev_b32_e32 v1, s2, v0
	v_mul_lo_u32 v0, v1, s0
	v_sub_u32_e32 v0, v12, v0
	s_andn2_b64 vcc, exec, s[34:35]
	v_mul_lo_u32 v0, v0, s28
	s_cbranch_vccnz .LBB93_130
; %bb.129:
	v_mul_hi_u32 v2, s30, v1
	v_add_u32_e32 v2, v1, v2
	v_lshrrev_b32_e32 v2, s31, v2
	v_mul_lo_u32 v2, v2, s3
	v_sub_u32_e32 v1, v1, v2
	v_mad_u64_u32 v[0:1], s[8:9], v1, s29, v[0:1]
.LBB93_130:
	s_waitcnt lgkmcnt(0)
	v_mov_b32_e32 v1, s47
	v_add_u32_e32 v12, 0x80, v12
	global_store_byte v0, v1, s[26:27]
	s_or_b64 exec, exec, s[40:41]
	v_cmp_gt_i32_e32 vcc, s48, v12
	s_and_saveexec_b64 s[40:41], vcc
	s_cbranch_execnz .LBB93_15
.LBB93_131:
	s_or_b64 exec, exec, s[40:41]
	v_cmp_gt_i32_e32 vcc, s48, v12
	s_and_saveexec_b64 s[40:41], vcc
	s_cbranch_execz .LBB93_147
.LBB93_132:
	s_andn2_b64 vcc, exec, s[6:7]
	s_cbranch_vccnz .LBB93_137
; %bb.133:
	s_andn2_b64 vcc, exec, s[38:39]
	s_cbranch_vccnz .LBB93_138
; %bb.134:
	s_add_i32 s51, s49, 1
	s_mov_b32 s50, 0
	s_cmp_eq_u32 s46, 2
	v_mov_b32_e32 v0, 0
	s_cbranch_scc1 .LBB93_155
; %bb.135:
	s_and_b32 s50, s51, 28
	s_mov_b32 s52, 0
	v_mov_b32_e32 v0, 0
	s_mov_b64 s[42:43], s[4:5]
	s_mov_b64 s[44:45], s[36:37]
	v_mov_b32_e32 v2, v12
.LBB93_136:                             ; =>This Inner Loop Header: Depth=1
	s_load_dwordx8 s[8:15], s[42:43], 0x4
	s_load_dwordx4 s[16:19], s[42:43], 0x24
	s_load_dwordx4 s[20:23], s[44:45], 0x0
	s_add_u32 s42, s42, 48
	s_addc_u32 s43, s43, 0
	s_waitcnt lgkmcnt(0)
	v_mul_hi_u32 v1, s9, v2
	v_add_u32_e32 v1, v2, v1
	v_lshrrev_b32_e32 v1, s10, v1
	v_mul_lo_u32 v3, v1, s8
	v_mul_hi_u32 v4, s12, v1
	v_sub_u32_e32 v2, v2, v3
	v_add_u32_e32 v3, v1, v4
	v_lshrrev_b32_e32 v3, s13, v3
	v_mul_lo_u32 v4, v3, s11
	v_mul_hi_u32 v5, s15, v3
	v_sub_u32_e32 v1, v1, v4
	v_add_u32_e32 v4, v3, v5
	v_mul_lo_u32 v2, v2, s20
	v_mul_lo_u32 v1, v1, s21
	v_lshrrev_b32_e32 v4, s16, v4
	v_add3_u32 v0, v2, v0, v1
	v_mul_hi_u32 v2, s18, v4
	v_add_u32_e32 v2, v4, v2
	v_mul_lo_u32 v1, v4, s14
	v_lshrrev_b32_e32 v2, s19, v2
	s_add_i32 s52, s52, 4
	v_sub_u32_e32 v1, v3, v1
	v_mul_lo_u32 v3, v2, s17
	s_add_u32 s44, s44, 16
	v_sub_u32_e32 v3, v4, v3
	s_addc_u32 s45, s45, 0
	v_mul_lo_u32 v1, v1, s22
	v_mul_lo_u32 v3, v3, s23
	s_cmp_eq_u32 s50, s52
	v_add3_u32 v0, v1, v0, v3
	s_cbranch_scc0 .LBB93_136
	s_branch .LBB93_156
.LBB93_137:
                                        ; implicit-def: $vgpr0
	s_branch .LBB93_160
.LBB93_138:
	v_mov_b32_e32 v0, 0
	s_branch .LBB93_159
.LBB93_139:
	v_mov_b32_e32 v2, v12
.LBB93_140:
	s_and_b32 s12, s51, 3
	s_cmp_eq_u32 s12, 0
	s_cbranch_scc1 .LBB93_143
; %bb.141:
	s_lshl_b32 s8, s50, 2
	s_add_u32 s8, s8, s4
	s_addc_u32 s9, s5, 0
	s_add_u32 s8, s8, 0xc4
	s_addc_u32 s9, s9, 0
	s_mul_i32 s10, s50, 12
	s_add_u32 s10, s4, s10
	s_addc_u32 s11, s5, 0
.LBB93_142:                             ; =>This Inner Loop Header: Depth=1
	s_load_dwordx2 s[14:15], s[10:11], 0x4
	s_load_dword s13, s[10:11], 0xc
	s_load_dword s16, s[8:9], 0x0
	s_add_u32 s10, s10, 12
	s_addc_u32 s11, s11, 0
	s_waitcnt lgkmcnt(0)
	v_mul_hi_u32 v1, s15, v2
	v_add_u32_e32 v1, v2, v1
	v_lshrrev_b32_e32 v1, s13, v1
	s_add_u32 s8, s8, 4
	v_mul_lo_u32 v3, v1, s14
	s_addc_u32 s9, s9, 0
	s_add_i32 s12, s12, -1
	v_sub_u32_e32 v3, v2, v3
	s_cmp_lg_u32 s12, 0
	v_mov_b32_e32 v2, v1
	v_mad_u64_u32 v[0:1], s[14:15], v3, s16, v[0:1]
	s_cbranch_scc1 .LBB93_142
.LBB93_143:
	s_cbranch_execnz .LBB93_146
.LBB93_144:
	s_waitcnt lgkmcnt(0)
	v_mul_hi_u32 v0, s1, v12
	v_add_u32_e32 v0, v12, v0
	v_lshrrev_b32_e32 v1, s2, v0
	v_mul_lo_u32 v0, v1, s0
	v_sub_u32_e32 v0, v12, v0
	s_andn2_b64 vcc, exec, s[34:35]
	v_mul_lo_u32 v0, v0, s28
	s_cbranch_vccnz .LBB93_146
; %bb.145:
	v_mul_hi_u32 v2, s30, v1
	v_add_u32_e32 v2, v1, v2
	v_lshrrev_b32_e32 v2, s31, v2
	v_mul_lo_u32 v2, v2, s3
	v_sub_u32_e32 v1, v1, v2
	v_mad_u64_u32 v[0:1], s[8:9], v1, s29, v[0:1]
.LBB93_146:
	s_waitcnt lgkmcnt(0)
	v_mov_b32_e32 v1, s47
	v_add_u32_e32 v12, 0x80, v12
	global_store_byte v0, v1, s[26:27]
	s_or_b64 exec, exec, s[40:41]
	v_cmp_gt_i32_e32 vcc, s48, v12
	s_and_saveexec_b64 s[40:41], vcc
	s_cbranch_execnz .LBB93_132
.LBB93_147:
	s_or_b64 exec, exec, s[40:41]
	v_cmp_gt_i32_e32 vcc, s48, v12
	s_and_saveexec_b64 s[40:41], vcc
	s_cbranch_execz .LBB93_163
.LBB93_148:
	s_andn2_b64 vcc, exec, s[6:7]
	s_cbranch_vccnz .LBB93_153
; %bb.149:
	s_andn2_b64 vcc, exec, s[38:39]
	s_cbranch_vccnz .LBB93_154
; %bb.150:
	s_add_i32 s51, s49, 1
	s_mov_b32 s50, 0
	s_cmp_eq_u32 s46, 2
	v_mov_b32_e32 v0, 0
	s_cbranch_scc1 .LBB93_171
; %bb.151:
	s_and_b32 s50, s51, 28
	s_mov_b32 s52, 0
	v_mov_b32_e32 v0, 0
	s_mov_b64 s[42:43], s[4:5]
	s_mov_b64 s[44:45], s[36:37]
	v_mov_b32_e32 v2, v12
.LBB93_152:                             ; =>This Inner Loop Header: Depth=1
	s_load_dwordx8 s[8:15], s[42:43], 0x4
	s_load_dwordx4 s[16:19], s[42:43], 0x24
	s_load_dwordx4 s[20:23], s[44:45], 0x0
	s_add_u32 s42, s42, 48
	s_addc_u32 s43, s43, 0
	s_waitcnt lgkmcnt(0)
	v_mul_hi_u32 v1, s9, v2
	v_add_u32_e32 v1, v2, v1
	v_lshrrev_b32_e32 v1, s10, v1
	v_mul_lo_u32 v3, v1, s8
	v_mul_hi_u32 v4, s12, v1
	v_sub_u32_e32 v2, v2, v3
	v_add_u32_e32 v3, v1, v4
	v_lshrrev_b32_e32 v3, s13, v3
	v_mul_lo_u32 v4, v3, s11
	v_mul_hi_u32 v5, s15, v3
	v_sub_u32_e32 v1, v1, v4
	v_add_u32_e32 v4, v3, v5
	v_mul_lo_u32 v2, v2, s20
	v_mul_lo_u32 v1, v1, s21
	v_lshrrev_b32_e32 v4, s16, v4
	v_add3_u32 v0, v2, v0, v1
	v_mul_hi_u32 v2, s18, v4
	v_add_u32_e32 v2, v4, v2
	v_mul_lo_u32 v1, v4, s14
	v_lshrrev_b32_e32 v2, s19, v2
	s_add_i32 s52, s52, 4
	v_sub_u32_e32 v1, v3, v1
	v_mul_lo_u32 v3, v2, s17
	s_add_u32 s44, s44, 16
	v_sub_u32_e32 v3, v4, v3
	s_addc_u32 s45, s45, 0
	v_mul_lo_u32 v1, v1, s22
	v_mul_lo_u32 v3, v3, s23
	s_cmp_eq_u32 s50, s52
	v_add3_u32 v0, v1, v0, v3
	s_cbranch_scc0 .LBB93_152
	s_branch .LBB93_172
.LBB93_153:
                                        ; implicit-def: $vgpr0
	s_branch .LBB93_176
.LBB93_154:
	v_mov_b32_e32 v0, 0
	s_branch .LBB93_175
.LBB93_155:
	v_mov_b32_e32 v2, v12
.LBB93_156:
	s_and_b32 s12, s51, 3
	s_cmp_eq_u32 s12, 0
	s_cbranch_scc1 .LBB93_159
; %bb.157:
	s_lshl_b32 s8, s50, 2
	s_add_u32 s8, s8, s4
	s_addc_u32 s9, s5, 0
	s_add_u32 s8, s8, 0xc4
	s_addc_u32 s9, s9, 0
	s_mul_i32 s10, s50, 12
	s_add_u32 s10, s4, s10
	s_addc_u32 s11, s5, 0
.LBB93_158:                             ; =>This Inner Loop Header: Depth=1
	s_load_dwordx2 s[14:15], s[10:11], 0x4
	s_load_dword s13, s[10:11], 0xc
	s_load_dword s16, s[8:9], 0x0
	s_add_u32 s10, s10, 12
	s_addc_u32 s11, s11, 0
	s_waitcnt lgkmcnt(0)
	v_mul_hi_u32 v1, s15, v2
	v_add_u32_e32 v1, v2, v1
	v_lshrrev_b32_e32 v1, s13, v1
	s_add_u32 s8, s8, 4
	v_mul_lo_u32 v3, v1, s14
	s_addc_u32 s9, s9, 0
	s_add_i32 s12, s12, -1
	v_sub_u32_e32 v3, v2, v3
	s_cmp_lg_u32 s12, 0
	v_mov_b32_e32 v2, v1
	v_mad_u64_u32 v[0:1], s[14:15], v3, s16, v[0:1]
	s_cbranch_scc1 .LBB93_158
.LBB93_159:
	s_cbranch_execnz .LBB93_162
.LBB93_160:
	s_waitcnt lgkmcnt(0)
	v_mul_hi_u32 v0, s1, v12
	v_add_u32_e32 v0, v12, v0
	v_lshrrev_b32_e32 v1, s2, v0
	v_mul_lo_u32 v0, v1, s0
	v_sub_u32_e32 v0, v12, v0
	s_andn2_b64 vcc, exec, s[34:35]
	v_mul_lo_u32 v0, v0, s28
	s_cbranch_vccnz .LBB93_162
; %bb.161:
	v_mul_hi_u32 v2, s30, v1
	v_add_u32_e32 v2, v1, v2
	v_lshrrev_b32_e32 v2, s31, v2
	v_mul_lo_u32 v2, v2, s3
	v_sub_u32_e32 v1, v1, v2
	v_mad_u64_u32 v[0:1], s[8:9], v1, s29, v[0:1]
.LBB93_162:
	s_waitcnt lgkmcnt(0)
	v_mov_b32_e32 v1, s47
	v_add_u32_e32 v12, 0x80, v12
	global_store_byte v0, v1, s[26:27]
	s_or_b64 exec, exec, s[40:41]
	v_cmp_gt_i32_e32 vcc, s48, v12
	s_and_saveexec_b64 s[40:41], vcc
	s_cbranch_execnz .LBB93_148
.LBB93_163:
	s_or_b64 exec, exec, s[40:41]
	v_cmp_gt_i32_e32 vcc, s48, v12
	s_and_saveexec_b64 s[40:41], vcc
	s_cbranch_execz .LBB93_179
.LBB93_164:
	s_andn2_b64 vcc, exec, s[6:7]
	s_cbranch_vccnz .LBB93_169
; %bb.165:
	s_andn2_b64 vcc, exec, s[38:39]
	s_cbranch_vccnz .LBB93_170
; %bb.166:
	s_add_i32 s51, s49, 1
	s_mov_b32 s50, 0
	s_cmp_eq_u32 s46, 2
	v_mov_b32_e32 v0, 0
	s_cbranch_scc1 .LBB93_187
; %bb.167:
	s_and_b32 s50, s51, 28
	s_mov_b32 s52, 0
	v_mov_b32_e32 v0, 0
	s_mov_b64 s[42:43], s[4:5]
	s_mov_b64 s[44:45], s[36:37]
	v_mov_b32_e32 v2, v12
.LBB93_168:                             ; =>This Inner Loop Header: Depth=1
	s_load_dwordx8 s[8:15], s[42:43], 0x4
	s_load_dwordx4 s[16:19], s[42:43], 0x24
	s_load_dwordx4 s[20:23], s[44:45], 0x0
	s_add_u32 s42, s42, 48
	s_addc_u32 s43, s43, 0
	s_waitcnt lgkmcnt(0)
	v_mul_hi_u32 v1, s9, v2
	v_add_u32_e32 v1, v2, v1
	v_lshrrev_b32_e32 v1, s10, v1
	v_mul_lo_u32 v3, v1, s8
	v_mul_hi_u32 v4, s12, v1
	v_sub_u32_e32 v2, v2, v3
	v_add_u32_e32 v3, v1, v4
	v_lshrrev_b32_e32 v3, s13, v3
	v_mul_lo_u32 v4, v3, s11
	v_mul_hi_u32 v5, s15, v3
	v_sub_u32_e32 v1, v1, v4
	v_add_u32_e32 v4, v3, v5
	v_mul_lo_u32 v2, v2, s20
	v_mul_lo_u32 v1, v1, s21
	v_lshrrev_b32_e32 v4, s16, v4
	v_add3_u32 v0, v2, v0, v1
	v_mul_hi_u32 v2, s18, v4
	v_add_u32_e32 v2, v4, v2
	v_mul_lo_u32 v1, v4, s14
	v_lshrrev_b32_e32 v2, s19, v2
	s_add_i32 s52, s52, 4
	v_sub_u32_e32 v1, v3, v1
	v_mul_lo_u32 v3, v2, s17
	s_add_u32 s44, s44, 16
	v_sub_u32_e32 v3, v4, v3
	s_addc_u32 s45, s45, 0
	v_mul_lo_u32 v1, v1, s22
	v_mul_lo_u32 v3, v3, s23
	s_cmp_eq_u32 s50, s52
	v_add3_u32 v0, v1, v0, v3
	s_cbranch_scc0 .LBB93_168
	s_branch .LBB93_188
.LBB93_169:
                                        ; implicit-def: $vgpr0
	s_branch .LBB93_192
.LBB93_170:
	v_mov_b32_e32 v0, 0
	s_branch .LBB93_191
.LBB93_171:
	v_mov_b32_e32 v2, v12
.LBB93_172:
	s_and_b32 s12, s51, 3
	s_cmp_eq_u32 s12, 0
	s_cbranch_scc1 .LBB93_175
; %bb.173:
	s_lshl_b32 s8, s50, 2
	s_add_u32 s8, s8, s4
	s_addc_u32 s9, s5, 0
	s_add_u32 s8, s8, 0xc4
	s_addc_u32 s9, s9, 0
	s_mul_i32 s10, s50, 12
	s_add_u32 s10, s4, s10
	s_addc_u32 s11, s5, 0
.LBB93_174:                             ; =>This Inner Loop Header: Depth=1
	s_load_dwordx2 s[14:15], s[10:11], 0x4
	s_load_dword s13, s[10:11], 0xc
	s_load_dword s16, s[8:9], 0x0
	s_add_u32 s10, s10, 12
	s_addc_u32 s11, s11, 0
	s_waitcnt lgkmcnt(0)
	v_mul_hi_u32 v1, s15, v2
	v_add_u32_e32 v1, v2, v1
	v_lshrrev_b32_e32 v1, s13, v1
	s_add_u32 s8, s8, 4
	v_mul_lo_u32 v3, v1, s14
	s_addc_u32 s9, s9, 0
	s_add_i32 s12, s12, -1
	v_sub_u32_e32 v3, v2, v3
	s_cmp_lg_u32 s12, 0
	v_mov_b32_e32 v2, v1
	v_mad_u64_u32 v[0:1], s[14:15], v3, s16, v[0:1]
	s_cbranch_scc1 .LBB93_174
.LBB93_175:
	s_cbranch_execnz .LBB93_178
.LBB93_176:
	s_waitcnt lgkmcnt(0)
	v_mul_hi_u32 v0, s1, v12
	v_add_u32_e32 v0, v12, v0
	v_lshrrev_b32_e32 v1, s2, v0
	v_mul_lo_u32 v0, v1, s0
	v_sub_u32_e32 v0, v12, v0
	s_andn2_b64 vcc, exec, s[34:35]
	v_mul_lo_u32 v0, v0, s28
	s_cbranch_vccnz .LBB93_178
; %bb.177:
	v_mul_hi_u32 v2, s30, v1
	v_add_u32_e32 v2, v1, v2
	v_lshrrev_b32_e32 v2, s31, v2
	v_mul_lo_u32 v2, v2, s3
	v_sub_u32_e32 v1, v1, v2
	v_mad_u64_u32 v[0:1], s[8:9], v1, s29, v[0:1]
.LBB93_178:
	s_waitcnt lgkmcnt(0)
	v_mov_b32_e32 v1, s47
	v_add_u32_e32 v12, 0x80, v12
	global_store_byte v0, v1, s[26:27]
	s_or_b64 exec, exec, s[40:41]
	v_cmp_gt_i32_e32 vcc, s48, v12
	s_and_saveexec_b64 s[40:41], vcc
	s_cbranch_execnz .LBB93_164
.LBB93_179:
	s_or_b64 exec, exec, s[40:41]
	v_cmp_gt_i32_e32 vcc, s48, v12
	s_and_saveexec_b64 s[40:41], vcc
	s_cbranch_execz .LBB93_195
.LBB93_180:
	s_andn2_b64 vcc, exec, s[6:7]
	s_cbranch_vccnz .LBB93_185
; %bb.181:
	s_andn2_b64 vcc, exec, s[38:39]
	s_cbranch_vccnz .LBB93_186
; %bb.182:
	s_add_i32 s51, s49, 1
	s_mov_b32 s50, 0
	s_cmp_eq_u32 s46, 2
	v_mov_b32_e32 v0, 0
	s_cbranch_scc1 .LBB93_203
; %bb.183:
	s_and_b32 s50, s51, 28
	s_mov_b32 s52, 0
	v_mov_b32_e32 v0, 0
	s_mov_b64 s[42:43], s[4:5]
	s_mov_b64 s[44:45], s[36:37]
	v_mov_b32_e32 v2, v12
.LBB93_184:                             ; =>This Inner Loop Header: Depth=1
	s_load_dwordx8 s[8:15], s[42:43], 0x4
	s_load_dwordx4 s[16:19], s[42:43], 0x24
	s_load_dwordx4 s[20:23], s[44:45], 0x0
	s_add_u32 s42, s42, 48
	s_addc_u32 s43, s43, 0
	s_waitcnt lgkmcnt(0)
	v_mul_hi_u32 v1, s9, v2
	v_add_u32_e32 v1, v2, v1
	v_lshrrev_b32_e32 v1, s10, v1
	v_mul_lo_u32 v3, v1, s8
	v_mul_hi_u32 v4, s12, v1
	v_sub_u32_e32 v2, v2, v3
	v_add_u32_e32 v3, v1, v4
	v_lshrrev_b32_e32 v3, s13, v3
	v_mul_lo_u32 v4, v3, s11
	v_mul_hi_u32 v5, s15, v3
	v_sub_u32_e32 v1, v1, v4
	v_add_u32_e32 v4, v3, v5
	v_mul_lo_u32 v2, v2, s20
	v_mul_lo_u32 v1, v1, s21
	v_lshrrev_b32_e32 v4, s16, v4
	v_add3_u32 v0, v2, v0, v1
	v_mul_hi_u32 v2, s18, v4
	v_add_u32_e32 v2, v4, v2
	v_mul_lo_u32 v1, v4, s14
	v_lshrrev_b32_e32 v2, s19, v2
	s_add_i32 s52, s52, 4
	v_sub_u32_e32 v1, v3, v1
	v_mul_lo_u32 v3, v2, s17
	s_add_u32 s44, s44, 16
	v_sub_u32_e32 v3, v4, v3
	s_addc_u32 s45, s45, 0
	v_mul_lo_u32 v1, v1, s22
	v_mul_lo_u32 v3, v3, s23
	s_cmp_eq_u32 s50, s52
	v_add3_u32 v0, v1, v0, v3
	s_cbranch_scc0 .LBB93_184
	s_branch .LBB93_204
.LBB93_185:
                                        ; implicit-def: $vgpr0
	s_branch .LBB93_208
.LBB93_186:
	v_mov_b32_e32 v0, 0
	s_branch .LBB93_207
.LBB93_187:
	v_mov_b32_e32 v2, v12
.LBB93_188:
	s_and_b32 s12, s51, 3
	s_cmp_eq_u32 s12, 0
	s_cbranch_scc1 .LBB93_191
; %bb.189:
	s_lshl_b32 s8, s50, 2
	s_add_u32 s8, s8, s4
	s_addc_u32 s9, s5, 0
	s_add_u32 s8, s8, 0xc4
	s_addc_u32 s9, s9, 0
	s_mul_i32 s10, s50, 12
	s_add_u32 s10, s4, s10
	s_addc_u32 s11, s5, 0
.LBB93_190:                             ; =>This Inner Loop Header: Depth=1
	s_load_dwordx2 s[14:15], s[10:11], 0x4
	s_load_dword s13, s[10:11], 0xc
	s_load_dword s16, s[8:9], 0x0
	s_add_u32 s10, s10, 12
	s_addc_u32 s11, s11, 0
	s_waitcnt lgkmcnt(0)
	v_mul_hi_u32 v1, s15, v2
	v_add_u32_e32 v1, v2, v1
	v_lshrrev_b32_e32 v1, s13, v1
	s_add_u32 s8, s8, 4
	v_mul_lo_u32 v3, v1, s14
	s_addc_u32 s9, s9, 0
	s_add_i32 s12, s12, -1
	v_sub_u32_e32 v3, v2, v3
	s_cmp_lg_u32 s12, 0
	v_mov_b32_e32 v2, v1
	v_mad_u64_u32 v[0:1], s[14:15], v3, s16, v[0:1]
	s_cbranch_scc1 .LBB93_190
.LBB93_191:
	s_cbranch_execnz .LBB93_194
.LBB93_192:
	s_waitcnt lgkmcnt(0)
	v_mul_hi_u32 v0, s1, v12
	v_add_u32_e32 v0, v12, v0
	v_lshrrev_b32_e32 v1, s2, v0
	v_mul_lo_u32 v0, v1, s0
	v_sub_u32_e32 v0, v12, v0
	s_andn2_b64 vcc, exec, s[34:35]
	v_mul_lo_u32 v0, v0, s28
	s_cbranch_vccnz .LBB93_194
; %bb.193:
	v_mul_hi_u32 v2, s30, v1
	v_add_u32_e32 v2, v1, v2
	v_lshrrev_b32_e32 v2, s31, v2
	v_mul_lo_u32 v2, v2, s3
	v_sub_u32_e32 v1, v1, v2
	v_mad_u64_u32 v[0:1], s[8:9], v1, s29, v[0:1]
.LBB93_194:
	s_waitcnt lgkmcnt(0)
	v_mov_b32_e32 v1, s47
	v_add_u32_e32 v12, 0x80, v12
	global_store_byte v0, v1, s[26:27]
	s_or_b64 exec, exec, s[40:41]
	v_cmp_gt_i32_e32 vcc, s48, v12
	s_and_saveexec_b64 s[40:41], vcc
	s_cbranch_execnz .LBB93_180
.LBB93_195:
	s_or_b64 exec, exec, s[40:41]
	v_cmp_gt_i32_e32 vcc, s48, v12
	s_and_saveexec_b64 s[40:41], vcc
	s_cbranch_execz .LBB93_211
.LBB93_196:
	s_andn2_b64 vcc, exec, s[6:7]
	s_cbranch_vccnz .LBB93_201
; %bb.197:
	s_andn2_b64 vcc, exec, s[38:39]
	s_cbranch_vccnz .LBB93_202
; %bb.198:
	s_add_i32 s51, s49, 1
	s_mov_b32 s50, 0
	s_cmp_eq_u32 s46, 2
	v_mov_b32_e32 v0, 0
	s_cbranch_scc1 .LBB93_214
; %bb.199:
	s_and_b32 s50, s51, 28
	s_mov_b32 s52, 0
	v_mov_b32_e32 v0, 0
	s_mov_b64 s[42:43], s[4:5]
	s_mov_b64 s[44:45], s[36:37]
	v_mov_b32_e32 v2, v12
.LBB93_200:                             ; =>This Inner Loop Header: Depth=1
	s_load_dwordx8 s[8:15], s[42:43], 0x4
	s_load_dwordx4 s[16:19], s[42:43], 0x24
	s_load_dwordx4 s[20:23], s[44:45], 0x0
	s_add_u32 s42, s42, 48
	s_addc_u32 s43, s43, 0
	s_waitcnt lgkmcnt(0)
	v_mul_hi_u32 v1, s9, v2
	v_add_u32_e32 v1, v2, v1
	v_lshrrev_b32_e32 v1, s10, v1
	v_mul_lo_u32 v3, v1, s8
	v_mul_hi_u32 v4, s12, v1
	v_sub_u32_e32 v2, v2, v3
	v_add_u32_e32 v3, v1, v4
	v_lshrrev_b32_e32 v3, s13, v3
	v_mul_lo_u32 v4, v3, s11
	v_mul_hi_u32 v5, s15, v3
	v_sub_u32_e32 v1, v1, v4
	v_add_u32_e32 v4, v3, v5
	v_mul_lo_u32 v2, v2, s20
	v_mul_lo_u32 v1, v1, s21
	v_lshrrev_b32_e32 v4, s16, v4
	v_add3_u32 v0, v2, v0, v1
	v_mul_hi_u32 v2, s18, v4
	v_add_u32_e32 v2, v4, v2
	v_mul_lo_u32 v1, v4, s14
	v_lshrrev_b32_e32 v2, s19, v2
	s_add_i32 s52, s52, 4
	v_sub_u32_e32 v1, v3, v1
	v_mul_lo_u32 v3, v2, s17
	s_add_u32 s44, s44, 16
	v_sub_u32_e32 v3, v4, v3
	s_addc_u32 s45, s45, 0
	v_mul_lo_u32 v1, v1, s22
	v_mul_lo_u32 v3, v3, s23
	s_cmp_eq_u32 s50, s52
	v_add3_u32 v0, v1, v0, v3
	s_cbranch_scc0 .LBB93_200
	s_branch .LBB93_215
.LBB93_201:
                                        ; implicit-def: $vgpr0
	s_branch .LBB93_219
.LBB93_202:
	v_mov_b32_e32 v0, 0
	s_branch .LBB93_218
.LBB93_203:
	v_mov_b32_e32 v2, v12
.LBB93_204:
	s_and_b32 s12, s51, 3
	s_cmp_eq_u32 s12, 0
	s_cbranch_scc1 .LBB93_207
; %bb.205:
	s_lshl_b32 s8, s50, 2
	s_add_u32 s8, s8, s4
	s_addc_u32 s9, s5, 0
	s_add_u32 s8, s8, 0xc4
	s_addc_u32 s9, s9, 0
	s_mul_i32 s10, s50, 12
	s_add_u32 s10, s4, s10
	s_addc_u32 s11, s5, 0
.LBB93_206:                             ; =>This Inner Loop Header: Depth=1
	s_load_dwordx2 s[14:15], s[10:11], 0x4
	s_load_dword s13, s[10:11], 0xc
	s_load_dword s16, s[8:9], 0x0
	s_add_u32 s10, s10, 12
	s_addc_u32 s11, s11, 0
	s_waitcnt lgkmcnt(0)
	v_mul_hi_u32 v1, s15, v2
	v_add_u32_e32 v1, v2, v1
	v_lshrrev_b32_e32 v1, s13, v1
	s_add_u32 s8, s8, 4
	v_mul_lo_u32 v3, v1, s14
	s_addc_u32 s9, s9, 0
	s_add_i32 s12, s12, -1
	v_sub_u32_e32 v3, v2, v3
	s_cmp_lg_u32 s12, 0
	v_mov_b32_e32 v2, v1
	v_mad_u64_u32 v[0:1], s[14:15], v3, s16, v[0:1]
	s_cbranch_scc1 .LBB93_206
.LBB93_207:
	s_cbranch_execnz .LBB93_210
.LBB93_208:
	s_waitcnt lgkmcnt(0)
	v_mul_hi_u32 v0, s1, v12
	v_add_u32_e32 v0, v12, v0
	v_lshrrev_b32_e32 v1, s2, v0
	v_mul_lo_u32 v0, v1, s0
	v_sub_u32_e32 v0, v12, v0
	s_andn2_b64 vcc, exec, s[34:35]
	v_mul_lo_u32 v0, v0, s28
	s_cbranch_vccnz .LBB93_210
; %bb.209:
	v_mul_hi_u32 v2, s30, v1
	v_add_u32_e32 v2, v1, v2
	v_lshrrev_b32_e32 v2, s31, v2
	v_mul_lo_u32 v2, v2, s3
	v_sub_u32_e32 v1, v1, v2
	v_mad_u64_u32 v[0:1], s[8:9], v1, s29, v[0:1]
.LBB93_210:
	s_waitcnt lgkmcnt(0)
	v_mov_b32_e32 v1, s47
	v_add_u32_e32 v12, 0x80, v12
	global_store_byte v0, v1, s[26:27]
	s_or_b64 exec, exec, s[40:41]
	v_cmp_gt_i32_e32 vcc, s48, v12
	s_and_saveexec_b64 s[40:41], vcc
	s_cbranch_execnz .LBB93_196
.LBB93_211:
	s_or_b64 exec, exec, s[40:41]
	v_cmp_gt_i32_e32 vcc, s48, v12
	s_and_saveexec_b64 s[40:41], vcc
	s_cbranch_execnz .LBB93_222
.LBB93_212:
	s_or_b64 exec, exec, s[40:41]
                                        ; implicit-def: $vgpr16
                                        ; implicit-def: $vgpr12
	s_waitcnt lgkmcnt(0)
	s_andn2_saveexec_b64 s[0:1], s[24:25]
	s_cbranch_execnz .LBB93_8
.LBB93_213:
	s_endpgm
.LBB93_214:
	v_mov_b32_e32 v2, v12
.LBB93_215:
	s_and_b32 s12, s51, 3
	s_cmp_eq_u32 s12, 0
	s_cbranch_scc1 .LBB93_218
; %bb.216:
	s_lshl_b32 s8, s50, 2
	s_add_u32 s8, s8, s4
	s_addc_u32 s9, s5, 0
	s_add_u32 s8, s8, 0xc4
	s_addc_u32 s9, s9, 0
	s_mul_i32 s10, s50, 12
	s_add_u32 s10, s4, s10
	s_addc_u32 s11, s5, 0
.LBB93_217:                             ; =>This Inner Loop Header: Depth=1
	s_load_dwordx2 s[14:15], s[10:11], 0x4
	s_load_dword s13, s[10:11], 0xc
	s_load_dword s16, s[8:9], 0x0
	s_add_u32 s10, s10, 12
	s_addc_u32 s11, s11, 0
	s_waitcnt lgkmcnt(0)
	v_mul_hi_u32 v1, s15, v2
	v_add_u32_e32 v1, v2, v1
	v_lshrrev_b32_e32 v1, s13, v1
	s_add_u32 s8, s8, 4
	v_mul_lo_u32 v3, v1, s14
	s_addc_u32 s9, s9, 0
	s_add_i32 s12, s12, -1
	v_sub_u32_e32 v3, v2, v3
	s_cmp_lg_u32 s12, 0
	v_mov_b32_e32 v2, v1
	v_mad_u64_u32 v[0:1], s[14:15], v3, s16, v[0:1]
	s_cbranch_scc1 .LBB93_217
.LBB93_218:
	s_cbranch_execnz .LBB93_221
.LBB93_219:
	s_waitcnt lgkmcnt(0)
	v_mul_hi_u32 v0, s1, v12
	v_add_u32_e32 v0, v12, v0
	v_lshrrev_b32_e32 v1, s2, v0
	v_mul_lo_u32 v0, v1, s0
	v_sub_u32_e32 v0, v12, v0
	s_andn2_b64 vcc, exec, s[34:35]
	v_mul_lo_u32 v0, v0, s28
	s_cbranch_vccnz .LBB93_221
; %bb.220:
	v_mul_hi_u32 v2, s30, v1
	v_add_u32_e32 v2, v1, v2
	v_lshrrev_b32_e32 v2, s31, v2
	v_mul_lo_u32 v2, v2, s3
	v_sub_u32_e32 v1, v1, v2
	v_mad_u64_u32 v[0:1], s[8:9], v1, s29, v[0:1]
.LBB93_221:
	s_waitcnt lgkmcnt(0)
	v_mov_b32_e32 v1, s47
	v_add_u32_e32 v12, 0x80, v12
	global_store_byte v0, v1, s[26:27]
	s_or_b64 exec, exec, s[40:41]
	v_cmp_gt_i32_e32 vcc, s48, v12
	s_and_saveexec_b64 s[40:41], vcc
	s_cbranch_execz .LBB93_212
.LBB93_222:
	s_andn2_b64 vcc, exec, s[6:7]
	s_cbranch_vccnz .LBB93_227
; %bb.223:
	s_andn2_b64 vcc, exec, s[38:39]
	s_cbranch_vccnz .LBB93_228
; %bb.224:
	s_add_i32 s49, s49, 1
	s_mov_b32 s42, 0
	s_cmp_eq_u32 s46, 2
	v_mov_b32_e32 v0, 0
	s_cbranch_scc1 .LBB93_229
; %bb.225:
	s_and_b32 s42, s49, 28
	s_mov_b32 s43, 0
	v_mov_b32_e32 v0, 0
	s_mov_b64 s[38:39], s[4:5]
	v_mov_b32_e32 v2, v12
.LBB93_226:                             ; =>This Inner Loop Header: Depth=1
	s_load_dwordx8 s[8:15], s[38:39], 0x4
	s_load_dwordx4 s[16:19], s[38:39], 0x24
	s_load_dwordx4 s[20:23], s[36:37], 0x0
	s_add_u32 s38, s38, 48
	s_addc_u32 s39, s39, 0
	s_waitcnt lgkmcnt(0)
	v_mul_hi_u32 v1, s9, v2
	v_add_u32_e32 v1, v2, v1
	v_lshrrev_b32_e32 v1, s10, v1
	v_mul_lo_u32 v3, v1, s8
	v_mul_hi_u32 v4, s12, v1
	v_sub_u32_e32 v2, v2, v3
	v_add_u32_e32 v3, v1, v4
	v_lshrrev_b32_e32 v3, s13, v3
	v_mul_lo_u32 v4, v3, s11
	v_mul_hi_u32 v5, s15, v3
	v_sub_u32_e32 v1, v1, v4
	v_add_u32_e32 v4, v3, v5
	v_mul_lo_u32 v2, v2, s20
	v_mul_lo_u32 v1, v1, s21
	v_lshrrev_b32_e32 v4, s16, v4
	v_add3_u32 v0, v2, v0, v1
	v_mul_hi_u32 v2, s18, v4
	v_add_u32_e32 v2, v4, v2
	v_mul_lo_u32 v1, v4, s14
	v_lshrrev_b32_e32 v2, s19, v2
	s_add_i32 s43, s43, 4
	v_sub_u32_e32 v1, v3, v1
	v_mul_lo_u32 v3, v2, s17
	s_add_u32 s36, s36, 16
	v_sub_u32_e32 v3, v4, v3
	s_addc_u32 s37, s37, 0
	v_mul_lo_u32 v1, v1, s22
	v_mul_lo_u32 v3, v3, s23
	s_cmp_eq_u32 s42, s43
	v_add3_u32 v0, v1, v0, v3
	s_cbranch_scc0 .LBB93_226
	s_branch .LBB93_230
.LBB93_227:
                                        ; implicit-def: $vgpr0
	s_branch .LBB93_234
.LBB93_228:
	v_mov_b32_e32 v0, 0
	s_branch .LBB93_233
.LBB93_229:
	v_mov_b32_e32 v2, v12
.LBB93_230:
	s_and_b32 s12, s49, 3
	s_cmp_eq_u32 s12, 0
	s_cbranch_scc1 .LBB93_233
; %bb.231:
	s_lshl_b32 s8, s42, 2
	s_add_u32 s8, s8, s4
	s_addc_u32 s9, s5, 0
	s_add_u32 s8, s8, 0xc4
	s_addc_u32 s9, s9, 0
	s_mul_i32 s10, s42, 12
	s_add_u32 s10, s4, s10
	s_addc_u32 s11, s5, 0
.LBB93_232:                             ; =>This Inner Loop Header: Depth=1
	s_load_dwordx2 s[14:15], s[10:11], 0x4
	s_load_dword s13, s[10:11], 0xc
	s_load_dword s16, s[8:9], 0x0
	s_add_u32 s10, s10, 12
	s_addc_u32 s11, s11, 0
	s_waitcnt lgkmcnt(0)
	v_mul_hi_u32 v1, s15, v2
	v_add_u32_e32 v1, v2, v1
	v_lshrrev_b32_e32 v1, s13, v1
	s_add_u32 s8, s8, 4
	v_mul_lo_u32 v3, v1, s14
	s_addc_u32 s9, s9, 0
	s_add_i32 s12, s12, -1
	v_sub_u32_e32 v3, v2, v3
	s_cmp_lg_u32 s12, 0
	v_mov_b32_e32 v2, v1
	v_mad_u64_u32 v[0:1], s[14:15], v3, s16, v[0:1]
	s_cbranch_scc1 .LBB93_232
.LBB93_233:
	s_cbranch_execnz .LBB93_236
.LBB93_234:
	s_waitcnt lgkmcnt(0)
	v_mul_hi_u32 v0, s1, v12
	v_add_u32_e32 v0, v12, v0
	v_lshrrev_b32_e32 v1, s2, v0
	v_mul_lo_u32 v0, v1, s0
	v_sub_u32_e32 v0, v12, v0
	s_andn2_b64 vcc, exec, s[34:35]
	v_mul_lo_u32 v0, v0, s28
	s_cbranch_vccnz .LBB93_236
; %bb.235:
	v_mul_hi_u32 v2, s30, v1
	v_add_u32_e32 v2, v1, v2
	v_lshrrev_b32_e32 v2, s31, v2
	v_mul_lo_u32 v2, v2, s3
	v_sub_u32_e32 v1, v1, v2
	v_mad_u64_u32 v[0:1], s[0:1], v1, s29, v[0:1]
.LBB93_236:
	s_waitcnt lgkmcnt(0)
	v_mov_b32_e32 v1, s47
	global_store_byte v0, v1, s[26:27]
	s_or_b64 exec, exec, s[40:41]
                                        ; implicit-def: $vgpr16
                                        ; implicit-def: $vgpr12
	s_andn2_saveexec_b64 s[0:1], s[24:25]
	s_cbranch_execz .LBB93_213
	s_branch .LBB93_8
	.section	.rodata,"a",@progbits
	.p2align	6, 0x0
	.amdhsa_kernel _ZN2at6native32elementwise_kernel_manual_unrollILi128ELi8EZNS0_22gpu_kernel_impl_nocastINS0_11FillFunctorIbEEEEvRNS_18TensorIteratorBaseERKT_EUlibE_EEviT1_
		.amdhsa_group_segment_fixed_size 0
		.amdhsa_private_segment_fixed_size 0
		.amdhsa_kernarg_size 288
		.amdhsa_user_sgpr_count 6
		.amdhsa_user_sgpr_private_segment_buffer 1
		.amdhsa_user_sgpr_dispatch_ptr 0
		.amdhsa_user_sgpr_queue_ptr 0
		.amdhsa_user_sgpr_kernarg_segment_ptr 1
		.amdhsa_user_sgpr_dispatch_id 0
		.amdhsa_user_sgpr_flat_scratch_init 0
		.amdhsa_user_sgpr_kernarg_preload_length 0
		.amdhsa_user_sgpr_kernarg_preload_offset 0
		.amdhsa_user_sgpr_private_segment_size 0
		.amdhsa_uses_dynamic_stack 0
		.amdhsa_system_sgpr_private_segment_wavefront_offset 0
		.amdhsa_system_sgpr_workgroup_id_x 1
		.amdhsa_system_sgpr_workgroup_id_y 0
		.amdhsa_system_sgpr_workgroup_id_z 0
		.amdhsa_system_sgpr_workgroup_info 0
		.amdhsa_system_vgpr_workitem_id 0
		.amdhsa_next_free_vgpr 17
		.amdhsa_next_free_sgpr 53
		.amdhsa_accum_offset 20
		.amdhsa_reserve_vcc 1
		.amdhsa_reserve_flat_scratch 0
		.amdhsa_float_round_mode_32 0
		.amdhsa_float_round_mode_16_64 0
		.amdhsa_float_denorm_mode_32 3
		.amdhsa_float_denorm_mode_16_64 3
		.amdhsa_dx10_clamp 1
		.amdhsa_ieee_mode 1
		.amdhsa_fp16_overflow 0
		.amdhsa_tg_split 0
		.amdhsa_exception_fp_ieee_invalid_op 0
		.amdhsa_exception_fp_denorm_src 0
		.amdhsa_exception_fp_ieee_div_zero 0
		.amdhsa_exception_fp_ieee_overflow 0
		.amdhsa_exception_fp_ieee_underflow 0
		.amdhsa_exception_fp_ieee_inexact 0
		.amdhsa_exception_int_div_zero 0
	.end_amdhsa_kernel
	.section	.text._ZN2at6native32elementwise_kernel_manual_unrollILi128ELi8EZNS0_22gpu_kernel_impl_nocastINS0_11FillFunctorIbEEEEvRNS_18TensorIteratorBaseERKT_EUlibE_EEviT1_,"axG",@progbits,_ZN2at6native32elementwise_kernel_manual_unrollILi128ELi8EZNS0_22gpu_kernel_impl_nocastINS0_11FillFunctorIbEEEEvRNS_18TensorIteratorBaseERKT_EUlibE_EEviT1_,comdat
.Lfunc_end93:
	.size	_ZN2at6native32elementwise_kernel_manual_unrollILi128ELi8EZNS0_22gpu_kernel_impl_nocastINS0_11FillFunctorIbEEEEvRNS_18TensorIteratorBaseERKT_EUlibE_EEviT1_, .Lfunc_end93-_ZN2at6native32elementwise_kernel_manual_unrollILi128ELi8EZNS0_22gpu_kernel_impl_nocastINS0_11FillFunctorIbEEEEvRNS_18TensorIteratorBaseERKT_EUlibE_EEviT1_
                                        ; -- End function
	.section	.AMDGPU.csdata,"",@progbits
; Kernel info:
; codeLenInByte = 9664
; NumSgprs: 57
; NumVgprs: 17
; NumAgprs: 0
; TotalNumVgprs: 17
; ScratchSize: 0
; MemoryBound: 0
; FloatMode: 240
; IeeeMode: 1
; LDSByteSize: 0 bytes/workgroup (compile time only)
; SGPRBlocks: 7
; VGPRBlocks: 2
; NumSGPRsForWavesPerEU: 57
; NumVGPRsForWavesPerEU: 17
; AccumOffset: 20
; Occupancy: 8
; WaveLimiterHint : 1
; COMPUTE_PGM_RSRC2:SCRATCH_EN: 0
; COMPUTE_PGM_RSRC2:USER_SGPR: 6
; COMPUTE_PGM_RSRC2:TRAP_HANDLER: 0
; COMPUTE_PGM_RSRC2:TGID_X_EN: 1
; COMPUTE_PGM_RSRC2:TGID_Y_EN: 0
; COMPUTE_PGM_RSRC2:TGID_Z_EN: 0
; COMPUTE_PGM_RSRC2:TIDIG_COMP_CNT: 0
; COMPUTE_PGM_RSRC3_GFX90A:ACCUM_OFFSET: 4
; COMPUTE_PGM_RSRC3_GFX90A:TG_SPLIT: 0
	.section	.text._ZN2at6native32elementwise_kernel_manual_unrollILi128ELi4EZNS0_15gpu_kernel_implINS0_11FillFunctorIbEEEEvRNS_18TensorIteratorBaseERKT_EUlibE_EEviT1_,"axG",@progbits,_ZN2at6native32elementwise_kernel_manual_unrollILi128ELi4EZNS0_15gpu_kernel_implINS0_11FillFunctorIbEEEEvRNS_18TensorIteratorBaseERKT_EUlibE_EEviT1_,comdat
	.protected	_ZN2at6native32elementwise_kernel_manual_unrollILi128ELi4EZNS0_15gpu_kernel_implINS0_11FillFunctorIbEEEEvRNS_18TensorIteratorBaseERKT_EUlibE_EEviT1_ ; -- Begin function _ZN2at6native32elementwise_kernel_manual_unrollILi128ELi4EZNS0_15gpu_kernel_implINS0_11FillFunctorIbEEEEvRNS_18TensorIteratorBaseERKT_EUlibE_EEviT1_
	.globl	_ZN2at6native32elementwise_kernel_manual_unrollILi128ELi4EZNS0_15gpu_kernel_implINS0_11FillFunctorIbEEEEvRNS_18TensorIteratorBaseERKT_EUlibE_EEviT1_
	.p2align	8
	.type	_ZN2at6native32elementwise_kernel_manual_unrollILi128ELi4EZNS0_15gpu_kernel_implINS0_11FillFunctorIbEEEEvRNS_18TensorIteratorBaseERKT_EUlibE_EEviT1_,@function
_ZN2at6native32elementwise_kernel_manual_unrollILi128ELi4EZNS0_15gpu_kernel_implINS0_11FillFunctorIbEEEEvRNS_18TensorIteratorBaseERKT_EUlibE_EEviT1_: ; @_ZN2at6native32elementwise_kernel_manual_unrollILi128ELi4EZNS0_15gpu_kernel_implINS0_11FillFunctorIbEEEEvRNS_18TensorIteratorBaseERKT_EUlibE_EEviT1_
; %bb.0:
	s_load_dwordx4 s[20:23], s[4:5], 0x8
	s_load_dword s33, s[4:5], 0x0
	v_lshl_or_b32 v23, s6, 9, v0
	v_or_b32_e32 v0, 0x180, v23
	s_mov_b64 s[18:19], 0
	s_waitcnt lgkmcnt(0)
	v_lshrrev_b16_e64 v8, 8, s23
	v_cmp_le_i32_e32 vcc, s33, v0
	s_mov_b64 s[4:5], 0
	s_and_saveexec_b64 s[0:1], vcc
	s_xor_b64 s[24:25], exec, s[0:1]
	s_cbranch_execz .LBB94_404
; %bb.1:
	s_and_b32 s26, s23, 0xff
	s_bitcmp1_b32 s23, 0
	s_cselect_b64 s[34:35], -1, 0
	v_cndmask_b32_e64 v4, 0, 1.0, s[34:35]
	v_mov_b32_e32 v0, 0xff
	v_and_b32_e32 v1, 0x400000, v4
	v_and_b32_e32 v9, s23, v0
	v_lshrrev_b32_e32 v0, 23, v4
	v_cmp_ne_u32_e32 vcc, 0, v1
	v_and_b32_e32 v1, 0x3fffff, v4
	s_movk_i32 s0, 0xff
	v_or_b32_e32 v1, v0, v1
	v_cmp_eq_u32_e64 s[16:17], s0, v0
	v_cmp_ne_u32_e64 s[0:1], 0, v1
	s_and_b64 s[0:1], vcc, s[0:1]
	v_cndmask_b32_e64 v1, 0, 1, s[0:1]
	s_mov_b32 s0, 0x43800000
	v_cmp_gt_u32_e64 s[14:15], s0, v4
	s_mov_b32 s0, 0x3bffffff
	v_add_f32_e32 v21, 0x46000000, v4
	v_add_u32_e32 v22, v0, v1
	v_cmp_lt_u32_e64 s[12:13], s0, v4
	v_bfe_u32 v0, v4, 20, 1
	v_readfirstlane_b32 s0, v21
	s_mov_b32 s2, 0x47800000
	v_add_u32_e32 v0, v4, v0
	s_and_b32 s0, s0, 0xff
	v_cmp_gt_u32_e64 s[10:11], s2, v4
	s_mov_b32 s2, 0x37ffffff
	v_add_f32_e32 v18, 0x42800000, v4
	v_add_u32_e32 v1, 0x487ffff, v0
	s_cmp_lg_u32 s0, 0
	v_cmp_lt_u32_e64 s[8:9], s2, v4
	v_readfirstlane_b32 s2, v18
	v_lshrrev_b32_e32 v20, 20, v1
	s_cselect_b64 s[30:31], -1, 0
	v_bfe_u32 v1, v4, 21, 1
	s_and_b32 s2, s2, 0xff
	v_add_u32_e32 v1, v4, v1
	s_cmp_lg_u32 s2, 0
	s_mov_b32 s2, 0x43efffff
	v_add_u32_e32 v2, 0x88fffff, v1
	v_cmp_lt_u32_e64 s[4:5], s2, v4
	s_mov_b32 s2, 0x3c800000
	v_add_u32_e32 v0, 0x407ffff, v0
	v_lshrrev_b32_e32 v17, 21, v2
	v_cmp_gt_u32_e64 s[6:7], s2, v4
	v_lshrrev_b32_e32 v2, 20, v0
	v_and_b32_e32 v0, 0xff00000, v0
	s_mov_b32 s2, 0x7f00000
	v_mov_b32_e32 v3, 0x7e
	v_cmp_ne_u32_e32 vcc, s2, v0
	v_add_u32_e32 v0, 0x80fffff, v1
	s_mov_b32 s36, 0x7f800000
	v_cndmask_b32_e32 v15, v3, v2, vcc
	v_lshrrev_b32_e32 v12, 21, v0
	v_mov_b32_e32 v0, 0x7f
	v_cmp_lt_u32_e32 vcc, s36, v4
	v_mov_b32_e32 v1, 0x7c
	v_cndmask_b32_e32 v19, v3, v0, vcc
	v_cndmask_b32_e32 v14, v1, v0, vcc
	v_bfe_u32 v0, v4, 16, 1
	v_add_u32_e32 v0, v4, v0
	v_cvt_f16_f32_e32 v10, v4
	v_add_u32_e32 v0, 0x7fff, v0
	s_mov_b32 s0, 0x477fffff
	s_mov_b32 s2, 0x38800000
	v_lshrrev_b32_e32 v11, 16, v0
	v_cndmask_b32_e64 v0, 0, 1, s[34:35]
	s_mov_b32 s27, 0
	v_cmp_lt_u32_e64 s[0:1], s0, v4
	s_cselect_b64 s[28:29], -1, 0
	v_add_f32_e32 v16, 0x46800000, v4
	v_cmp_gt_u32_e64 s[2:3], s2, v4
	v_add_f32_e32 v13, 0x43000000, v4
	v_cvt_f64_u32_e32 v[0:1], v0
	v_cmp_gt_i32_e32 vcc, s33, v23
	s_mov_b64 s[38:39], -1
	s_mov_b64 s[40:41], 0
	s_mov_b64 s[34:35], 0
	s_and_saveexec_b64 s[36:37], vcc
	s_cbranch_execz .LBB94_100
; %bb.2:
	v_mul_lo_u32 v2, v23, s22
	v_ashrrev_i32_e32 v3, 31, v2
	v_mov_b32_e32 v5, s21
	v_add_co_u32_e32 v6, vcc, s20, v2
	v_addc_co_u32_e32 v7, vcc, v5, v3, vcc
	v_cmp_gt_i16_e32 vcc, 11, v8
	s_cbranch_vccnz .LBB94_9
; %bb.3:
	v_cmp_lt_i16_e32 vcc, 25, v8
	s_cbranch_vccz .LBB94_12
; %bb.4:
	v_cmp_lt_i16_e32 vcc, 28, v8
	s_cbranch_vccz .LBB94_13
; %bb.5:
	v_cmp_lt_i16_e32 vcc, 43, v8
	s_cbranch_vccz .LBB94_14
; %bb.6:
	v_cmp_lt_i16_e32 vcc, 45, v8
	s_cbranch_vccz .LBB94_15
; %bb.7:
	v_cmp_eq_u16_e32 vcc, 46, v8
	s_mov_b64 s[42:43], 0
	s_mov_b64 s[34:35], -1
	s_mov_b64 s[38:39], 0
	s_cbranch_vccz .LBB94_16
; %bb.8:
	global_store_dword v[6:7], v11, off
	s_mov_b64 s[38:39], -1
	s_mov_b64 s[34:35], 0
	s_branch .LBB94_16
.LBB94_9:
	s_mov_b64 s[38:39], 0
	s_cbranch_execnz .LBB94_60
.LBB94_10:
	s_andn2_b64 vcc, exec, s[38:39]
	s_cbranch_vccnz .LBB94_98
.LBB94_11:
	v_add_u32_e32 v23, 0x80, v23
	s_mov_b64 s[38:39], -1
	s_branch .LBB94_99
.LBB94_12:
	s_mov_b64 s[38:39], 0
	s_cbranch_execnz .LBB94_38
	s_branch .LBB94_59
.LBB94_13:
	s_mov_b64 s[42:43], -1
	s_mov_b64 s[38:39], 0
	s_branch .LBB94_24
.LBB94_14:
	s_mov_b64 s[42:43], -1
	s_mov_b64 s[38:39], 0
	s_branch .LBB94_20
.LBB94_15:
	s_mov_b64 s[42:43], -1
	s_mov_b64 s[38:39], 0
.LBB94_16:
	s_and_b64 vcc, exec, s[42:43]
	s_cbranch_vccz .LBB94_19
; %bb.17:
	v_cmp_eq_u16_e32 vcc, 44, v8
	s_mov_b64 s[34:35], -1
	s_cbranch_vccz .LBB94_19
; %bb.18:
	v_mov_b32_e32 v2, 0xff
	v_cndmask_b32_e64 v2, v22, v2, s[16:17]
	global_store_byte v[6:7], v2, off
	s_mov_b64 s[38:39], -1
	s_mov_b64 s[34:35], 0
.LBB94_19:
	s_mov_b64 s[42:43], 0
.LBB94_20:
	s_and_b64 vcc, exec, s[42:43]
	s_cbranch_vccz .LBB94_23
; %bb.21:
	v_cmp_eq_u16_e32 vcc, 29, v8
	s_mov_b64 s[34:35], -1
	s_cbranch_vccz .LBB94_23
; %bb.22:
	v_pk_mov_b32 v[2:3], s[26:27], s[26:27] op_sel:[0,1]
	global_store_dwordx2 v[6:7], v[2:3], off
	s_mov_b64 s[38:39], -1
	s_mov_b64 s[34:35], 0
.LBB94_23:
	s_mov_b64 s[42:43], 0
.LBB94_24:
	s_and_b64 vcc, exec, s[42:43]
	s_cbranch_vccz .LBB94_37
; %bb.25:
	v_cmp_gt_i16_e32 vcc, 27, v8
	s_mov_b64 s[38:39], -1
	s_cbranch_vccnz .LBB94_31
; %bb.26:
	v_cmp_lt_i16_e32 vcc, 27, v8
	s_cbranch_vccz .LBB94_28
; %bb.27:
	v_mov_b32_e32 v2, s26
	s_mov_b64 s[38:39], 0
	global_store_dword v[6:7], v2, off
.LBB94_28:
	s_andn2_b64 vcc, exec, s[38:39]
	s_cbranch_vccnz .LBB94_30
; %bb.29:
	global_store_short v[6:7], v9, off
.LBB94_30:
	s_mov_b64 s[38:39], 0
.LBB94_31:
	s_andn2_b64 vcc, exec, s[38:39]
	s_cbranch_vccnz .LBB94_36
; %bb.32:
	s_andn2_b64 vcc, exec, s[14:15]
	v_mov_b32_e32 v2, 0x80
	s_cbranch_vccnz .LBB94_35
; %bb.33:
	s_or_b64 s[38:39], s[12:13], s[30:31]
	s_andn2_b64 vcc, exec, s[38:39]
	v_mov_b32_e32 v2, 0
	s_cbranch_vccnz .LBB94_35
; %bb.34:
	v_cndmask_b32_e64 v2, v21, v20, s[12:13]
.LBB94_35:
	global_store_byte v[6:7], v2, off
.LBB94_36:
	s_mov_b64 s[38:39], -1
.LBB94_37:
	s_branch .LBB94_59
.LBB94_38:
	v_cmp_lt_i16_e32 vcc, 22, v8
	s_mov_b64 s[42:43], -1
	s_cbranch_vccz .LBB94_51
; %bb.39:
	v_cmp_gt_i16_e32 vcc, 24, v8
	s_mov_b64 s[38:39], -1
	s_cbranch_vccnz .LBB94_48
; %bb.40:
	v_cmp_lt_i16_e32 vcc, 24, v8
	s_cbranch_vccz .LBB94_45
; %bb.41:
	s_andn2_b64 vcc, exec, s[10:11]
	v_mov_b32_e32 v2, 0x80
	s_cbranch_vccnz .LBB94_44
; %bb.42:
	s_or_b64 s[38:39], s[8:9], s[28:29]
	s_andn2_b64 vcc, exec, s[38:39]
	v_mov_b32_e32 v2, 0
	s_cbranch_vccnz .LBB94_44
; %bb.43:
	v_cndmask_b32_e64 v2, v18, v17, s[8:9]
.LBB94_44:
	s_mov_b64 s[38:39], 0
	global_store_byte v[6:7], v2, off
.LBB94_45:
	s_and_b64 vcc, exec, s[38:39]
	s_cbranch_vccz .LBB94_47
; %bb.46:
	v_cndmask_b32_e64 v2, v15, v16, s[6:7]
	v_cndmask_b32_e64 v2, v2, v19, s[4:5]
	global_store_byte v[6:7], v2, off
.LBB94_47:
	s_mov_b64 s[38:39], 0
.LBB94_48:
	s_andn2_b64 vcc, exec, s[38:39]
	s_cbranch_vccnz .LBB94_50
; %bb.49:
	v_cndmask_b32_e64 v2, v12, v13, s[2:3]
	v_cndmask_b32_e64 v2, v2, v14, s[0:1]
	global_store_byte v[6:7], v2, off
.LBB94_50:
	s_mov_b64 s[42:43], 0
	s_mov_b64 s[38:39], -1
.LBB94_51:
	s_andn2_b64 vcc, exec, s[42:43]
	s_cbranch_vccnz .LBB94_59
; %bb.52:
	v_cmp_lt_i16_e32 vcc, 14, v8
	s_mov_b64 s[42:43], -1
	s_cbranch_vccz .LBB94_56
; %bb.53:
	v_cmp_eq_u16_e32 vcc, 15, v8
	s_mov_b64 s[34:35], -1
	s_cbranch_vccz .LBB94_55
; %bb.54:
	global_store_short v[6:7], v11, off
	s_mov_b64 s[38:39], -1
	s_mov_b64 s[34:35], 0
.LBB94_55:
	s_mov_b64 s[42:43], 0
.LBB94_56:
	s_and_b64 vcc, exec, s[42:43]
	s_cbranch_vccz .LBB94_59
; %bb.57:
	v_cmp_eq_u16_e32 vcc, 11, v8
	s_mov_b64 s[34:35], -1
	s_cbranch_vccz .LBB94_59
; %bb.58:
	v_mov_b32_e32 v2, s23
	s_mov_b64 s[38:39], -1
	s_mov_b64 s[34:35], 0
	global_store_byte v[6:7], v2, off
.LBB94_59:
	s_branch .LBB94_10
.LBB94_60:
	v_cmp_gt_i16_e32 vcc, 5, v8
	s_mov_b64 s[38:39], -1
	s_cbranch_vccnz .LBB94_81
; %bb.61:
	v_cmp_gt_i16_e32 vcc, 8, v8
	s_cbranch_vccnz .LBB94_71
; %bb.62:
	v_cmp_gt_i16_e32 vcc, 9, v8
	s_cbranch_vccnz .LBB94_68
; %bb.63:
	v_cmp_lt_i16_e32 vcc, 9, v8
	s_cbranch_vccz .LBB94_65
; %bb.64:
	v_mov_b32_e32 v2, 0
	v_mov_b32_e32 v3, v2
	global_store_dwordx4 v[6:7], v[0:3], off
	s_mov_b64 s[38:39], 0
.LBB94_65:
	s_andn2_b64 vcc, exec, s[38:39]
	s_cbranch_vccnz .LBB94_67
; %bb.66:
	v_mov_b32_e32 v5, 0
	global_store_dwordx2 v[6:7], v[4:5], off
.LBB94_67:
	s_mov_b64 s[38:39], 0
.LBB94_68:
	s_andn2_b64 vcc, exec, s[38:39]
	s_cbranch_vccnz .LBB94_70
; %bb.69:
	global_store_dword v[6:7], v10, off
.LBB94_70:
	s_mov_b64 s[38:39], 0
.LBB94_71:
	s_andn2_b64 vcc, exec, s[38:39]
	s_cbranch_vccnz .LBB94_80
; %bb.72:
	v_cmp_gt_i16_e32 vcc, 6, v8
	s_mov_b64 s[38:39], -1
	s_cbranch_vccnz .LBB94_78
; %bb.73:
	v_cmp_lt_i16_e32 vcc, 6, v8
	s_cbranch_vccz .LBB94_75
; %bb.74:
	global_store_dwordx2 v[6:7], v[0:1], off
	s_mov_b64 s[38:39], 0
.LBB94_75:
	s_andn2_b64 vcc, exec, s[38:39]
	s_cbranch_vccnz .LBB94_77
; %bb.76:
	global_store_dword v[6:7], v4, off
.LBB94_77:
	s_mov_b64 s[38:39], 0
.LBB94_78:
	s_andn2_b64 vcc, exec, s[38:39]
	s_cbranch_vccnz .LBB94_80
; %bb.79:
	global_store_short v[6:7], v10, off
.LBB94_80:
	s_mov_b64 s[38:39], 0
.LBB94_81:
	s_andn2_b64 vcc, exec, s[38:39]
	s_cbranch_vccnz .LBB94_97
; %bb.82:
	v_cmp_gt_i16_e32 vcc, 2, v8
	s_mov_b64 s[38:39], -1
	s_cbranch_vccnz .LBB94_92
; %bb.83:
	v_cmp_gt_i16_e32 vcc, 3, v8
	s_cbranch_vccnz .LBB94_89
; %bb.84:
	v_cmp_lt_i16_e32 vcc, 3, v8
	s_cbranch_vccz .LBB94_86
; %bb.85:
	v_pk_mov_b32 v[2:3], s[26:27], s[26:27] op_sel:[0,1]
	global_store_dwordx2 v[6:7], v[2:3], off
	s_mov_b64 s[38:39], 0
.LBB94_86:
	s_andn2_b64 vcc, exec, s[38:39]
	s_cbranch_vccnz .LBB94_88
; %bb.87:
	v_mov_b32_e32 v2, s26
	global_store_dword v[6:7], v2, off
.LBB94_88:
	s_mov_b64 s[38:39], 0
.LBB94_89:
	s_andn2_b64 vcc, exec, s[38:39]
	s_cbranch_vccnz .LBB94_91
; %bb.90:
	global_store_short v[6:7], v9, off
.LBB94_91:
	s_mov_b64 s[38:39], 0
.LBB94_92:
	s_andn2_b64 vcc, exec, s[38:39]
	s_cbranch_vccnz .LBB94_97
; %bb.93:
	v_cmp_lt_i16_e32 vcc, 0, v8
	s_mov_b64 s[38:39], -1
	s_cbranch_vccz .LBB94_95
; %bb.94:
	v_mov_b32_e32 v2, s23
	global_store_byte v[6:7], v2, off
	s_mov_b64 s[38:39], 0
.LBB94_95:
	s_andn2_b64 vcc, exec, s[38:39]
	s_cbranch_vccnz .LBB94_97
; %bb.96:
	v_mov_b32_e32 v2, s23
	global_store_byte v[6:7], v2, off
.LBB94_97:
	s_branch .LBB94_11
.LBB94_98:
	s_mov_b64 s[38:39], 0
                                        ; implicit-def: $vgpr23
.LBB94_99:
	s_and_b64 s[34:35], s[34:35], exec
	s_orn2_b64 s[38:39], s[38:39], exec
.LBB94_100:
	s_or_b64 exec, exec, s[36:37]
	s_mov_b64 s[42:43], 0
                                        ; implicit-def: $vgpr6_vgpr7
	s_and_saveexec_b64 s[36:37], s[38:39]
	s_cbranch_execz .LBB94_109
; %bb.101:
	v_cmp_gt_i32_e32 vcc, s33, v23
	s_mov_b64 s[44:45], -1
	s_mov_b64 s[38:39], s[34:35]
	s_and_saveexec_b64 s[40:41], vcc
	s_cbranch_execz .LBB94_204
; %bb.102:
	v_mul_lo_u32 v2, v23, s22
	v_ashrrev_i32_e32 v3, 31, v2
	v_mov_b32_e32 v5, s21
	v_add_co_u32_e32 v6, vcc, s20, v2
	v_addc_co_u32_e32 v7, vcc, v5, v3, vcc
	v_cmp_gt_i16_e32 vcc, 11, v8
	s_cbranch_vccnz .LBB94_112
; %bb.103:
	v_cmp_lt_i16_e32 vcc, 25, v8
	s_cbranch_vccz .LBB94_115
; %bb.104:
	v_cmp_lt_i16_e32 vcc, 28, v8
	s_cbranch_vccz .LBB94_116
	;; [unrolled: 3-line block ×4, first 2 shown]
; %bb.107:
	v_cmp_eq_u16_e32 vcc, 46, v8
	s_mov_b64 s[44:45], 0
	s_mov_b64 s[38:39], -1
	s_cbranch_vccz .LBB94_119
; %bb.108:
	global_store_dword v[6:7], v11, off
	s_mov_b64 s[42:43], -1
	s_mov_b64 s[38:39], 0
	s_branch .LBB94_119
.LBB94_109:
	s_or_b64 exec, exec, s[36:37]
	s_mov_b64 s[0:1], 0
	s_and_saveexec_b64 s[2:3], s[34:35]
	s_cbranch_execnz .LBB94_364
.LBB94_110:
	s_or_b64 exec, exec, s[2:3]
	s_and_saveexec_b64 s[2:3], s[40:41]
	s_xor_b64 s[2:3], exec, s[2:3]
	s_cbranch_execz .LBB94_365
.LBB94_111:
	v_mov_b32_e32 v2, s23
	global_store_byte v[6:7], v2, off
	s_or_b64 exec, exec, s[2:3]
	s_and_saveexec_b64 s[2:3], s[42:43]
	s_xor_b64 s[2:3], exec, s[2:3]
	s_cbranch_execz .LBB94_403
	s_branch .LBB94_366
.LBB94_112:
	s_mov_b64 s[38:39], s[34:35]
	s_and_b64 vcc, exec, s[44:45]
	s_cbranch_vccnz .LBB94_164
.LBB94_113:
	s_andn2_b64 vcc, exec, s[42:43]
	s_cbranch_vccnz .LBB94_202
.LBB94_114:
	v_add_u32_e32 v23, 0x80, v23
	s_mov_b64 s[42:43], -1
	s_branch .LBB94_203
.LBB94_115:
	s_mov_b64 s[38:39], s[34:35]
	s_branch .LBB94_141
.LBB94_116:
	s_mov_b64 s[38:39], s[34:35]
	s_branch .LBB94_127
.LBB94_117:
	s_mov_b64 s[38:39], s[34:35]
	s_branch .LBB94_123
.LBB94_118:
	s_mov_b64 s[38:39], s[34:35]
.LBB94_119:
	s_and_b64 vcc, exec, s[44:45]
	s_cbranch_vccz .LBB94_122
; %bb.120:
	v_cmp_eq_u16_e32 vcc, 44, v8
	s_mov_b64 s[38:39], -1
	s_cbranch_vccz .LBB94_122
; %bb.121:
	v_mov_b32_e32 v2, 0xff
	v_cndmask_b32_e64 v2, v22, v2, s[16:17]
	s_mov_b64 s[42:43], -1
	s_mov_b64 s[38:39], 0
	global_store_byte v[6:7], v2, off
.LBB94_122:
	s_mov_b64 s[44:45], 0
.LBB94_123:
	s_and_b64 vcc, exec, s[44:45]
	s_cbranch_vccz .LBB94_126
; %bb.124:
	v_cmp_eq_u16_e32 vcc, 29, v8
	s_mov_b64 s[38:39], -1
	s_cbranch_vccz .LBB94_126
; %bb.125:
	v_pk_mov_b32 v[2:3], s[26:27], s[26:27] op_sel:[0,1]
	global_store_dwordx2 v[6:7], v[2:3], off
	s_mov_b64 s[42:43], -1
	s_mov_b64 s[38:39], 0
.LBB94_126:
	s_mov_b64 s[44:45], 0
.LBB94_127:
	s_and_b64 vcc, exec, s[44:45]
	s_cbranch_vccz .LBB94_140
; %bb.128:
	v_cmp_gt_i16_e32 vcc, 27, v8
	s_mov_b64 s[42:43], -1
	s_cbranch_vccnz .LBB94_134
; %bb.129:
	v_cmp_lt_i16_e32 vcc, 27, v8
	s_cbranch_vccz .LBB94_131
; %bb.130:
	v_mov_b32_e32 v2, s26
	s_mov_b64 s[42:43], 0
	global_store_dword v[6:7], v2, off
.LBB94_131:
	s_andn2_b64 vcc, exec, s[42:43]
	s_cbranch_vccnz .LBB94_133
; %bb.132:
	global_store_short v[6:7], v9, off
.LBB94_133:
	s_mov_b64 s[42:43], 0
.LBB94_134:
	s_andn2_b64 vcc, exec, s[42:43]
	s_cbranch_vccnz .LBB94_139
; %bb.135:
	s_andn2_b64 vcc, exec, s[14:15]
	v_mov_b32_e32 v2, 0x80
	s_cbranch_vccnz .LBB94_138
; %bb.136:
	s_or_b64 s[42:43], s[12:13], s[30:31]
	s_andn2_b64 vcc, exec, s[42:43]
	v_mov_b32_e32 v2, 0
	s_cbranch_vccnz .LBB94_138
; %bb.137:
	v_cndmask_b32_e64 v2, v21, v20, s[12:13]
.LBB94_138:
	global_store_byte v[6:7], v2, off
.LBB94_139:
	s_mov_b64 s[42:43], -1
.LBB94_140:
	s_mov_b64 s[44:45], 0
.LBB94_141:
	s_and_b64 vcc, exec, s[44:45]
	s_cbranch_vccz .LBB94_163
; %bb.142:
	v_cmp_lt_i16_e32 vcc, 22, v8
	s_mov_b64 s[44:45], -1
	s_cbranch_vccz .LBB94_155
; %bb.143:
	v_cmp_gt_i16_e32 vcc, 24, v8
	s_mov_b64 s[42:43], -1
	s_cbranch_vccnz .LBB94_152
; %bb.144:
	v_cmp_lt_i16_e32 vcc, 24, v8
	s_cbranch_vccz .LBB94_149
; %bb.145:
	s_andn2_b64 vcc, exec, s[10:11]
	v_mov_b32_e32 v2, 0x80
	s_cbranch_vccnz .LBB94_148
; %bb.146:
	s_or_b64 s[42:43], s[8:9], s[28:29]
	s_andn2_b64 vcc, exec, s[42:43]
	v_mov_b32_e32 v2, 0
	s_cbranch_vccnz .LBB94_148
; %bb.147:
	v_cndmask_b32_e64 v2, v18, v17, s[8:9]
.LBB94_148:
	s_mov_b64 s[42:43], 0
	global_store_byte v[6:7], v2, off
.LBB94_149:
	s_and_b64 vcc, exec, s[42:43]
	s_cbranch_vccz .LBB94_151
; %bb.150:
	v_cndmask_b32_e64 v2, v15, v16, s[6:7]
	v_cndmask_b32_e64 v2, v2, v19, s[4:5]
	global_store_byte v[6:7], v2, off
.LBB94_151:
	s_mov_b64 s[42:43], 0
.LBB94_152:
	s_andn2_b64 vcc, exec, s[42:43]
	s_cbranch_vccnz .LBB94_154
; %bb.153:
	v_cndmask_b32_e64 v2, v12, v13, s[2:3]
	v_cndmask_b32_e64 v2, v2, v14, s[0:1]
	global_store_byte v[6:7], v2, off
.LBB94_154:
	s_mov_b64 s[44:45], 0
	s_mov_b64 s[42:43], -1
.LBB94_155:
	s_andn2_b64 vcc, exec, s[44:45]
	s_cbranch_vccnz .LBB94_163
; %bb.156:
	v_cmp_lt_i16_e32 vcc, 14, v8
	s_mov_b64 s[44:45], -1
	s_cbranch_vccz .LBB94_160
; %bb.157:
	v_cmp_eq_u16_e32 vcc, 15, v8
	s_mov_b64 s[38:39], -1
	s_cbranch_vccz .LBB94_159
; %bb.158:
	global_store_short v[6:7], v11, off
	s_mov_b64 s[42:43], -1
	s_mov_b64 s[38:39], 0
.LBB94_159:
	s_mov_b64 s[44:45], 0
.LBB94_160:
	s_and_b64 vcc, exec, s[44:45]
	s_cbranch_vccz .LBB94_163
; %bb.161:
	v_cmp_eq_u16_e32 vcc, 11, v8
	s_mov_b64 s[38:39], -1
	s_cbranch_vccz .LBB94_163
; %bb.162:
	v_mov_b32_e32 v2, s23
	s_mov_b64 s[42:43], -1
	s_mov_b64 s[38:39], 0
	global_store_byte v[6:7], v2, off
.LBB94_163:
	s_branch .LBB94_113
.LBB94_164:
	v_cmp_gt_i16_e32 vcc, 5, v8
	s_mov_b64 s[42:43], -1
	s_cbranch_vccnz .LBB94_185
; %bb.165:
	v_cmp_gt_i16_e32 vcc, 8, v8
	s_cbranch_vccnz .LBB94_175
; %bb.166:
	v_cmp_gt_i16_e32 vcc, 9, v8
	s_cbranch_vccnz .LBB94_172
; %bb.167:
	v_cmp_lt_i16_e32 vcc, 9, v8
	s_cbranch_vccz .LBB94_169
; %bb.168:
	v_mov_b32_e32 v2, 0
	v_mov_b32_e32 v3, v2
	s_mov_b64 s[42:43], 0
	global_store_dwordx4 v[6:7], v[0:3], off
.LBB94_169:
	s_andn2_b64 vcc, exec, s[42:43]
	s_cbranch_vccnz .LBB94_171
; %bb.170:
	v_mov_b32_e32 v5, 0
	global_store_dwordx2 v[6:7], v[4:5], off
.LBB94_171:
	s_mov_b64 s[42:43], 0
.LBB94_172:
	s_andn2_b64 vcc, exec, s[42:43]
	s_cbranch_vccnz .LBB94_174
; %bb.173:
	global_store_dword v[6:7], v10, off
.LBB94_174:
	s_mov_b64 s[42:43], 0
.LBB94_175:
	s_andn2_b64 vcc, exec, s[42:43]
	s_cbranch_vccnz .LBB94_184
; %bb.176:
	v_cmp_gt_i16_e32 vcc, 6, v8
	s_mov_b64 s[42:43], -1
	s_cbranch_vccnz .LBB94_182
; %bb.177:
	v_cmp_lt_i16_e32 vcc, 6, v8
	s_cbranch_vccz .LBB94_179
; %bb.178:
	s_mov_b64 s[42:43], 0
	global_store_dwordx2 v[6:7], v[0:1], off
.LBB94_179:
	s_andn2_b64 vcc, exec, s[42:43]
	s_cbranch_vccnz .LBB94_181
; %bb.180:
	global_store_dword v[6:7], v4, off
.LBB94_181:
	s_mov_b64 s[42:43], 0
.LBB94_182:
	s_andn2_b64 vcc, exec, s[42:43]
	s_cbranch_vccnz .LBB94_184
; %bb.183:
	global_store_short v[6:7], v10, off
.LBB94_184:
	s_mov_b64 s[42:43], 0
.LBB94_185:
	s_andn2_b64 vcc, exec, s[42:43]
	s_cbranch_vccnz .LBB94_201
; %bb.186:
	v_cmp_gt_i16_e32 vcc, 2, v8
	s_mov_b64 s[42:43], -1
	s_cbranch_vccnz .LBB94_196
; %bb.187:
	v_cmp_gt_i16_e32 vcc, 3, v8
	s_cbranch_vccnz .LBB94_193
; %bb.188:
	v_cmp_lt_i16_e32 vcc, 3, v8
	s_cbranch_vccz .LBB94_190
; %bb.189:
	v_pk_mov_b32 v[2:3], s[26:27], s[26:27] op_sel:[0,1]
	s_mov_b64 s[42:43], 0
	global_store_dwordx2 v[6:7], v[2:3], off
.LBB94_190:
	s_andn2_b64 vcc, exec, s[42:43]
	s_cbranch_vccnz .LBB94_192
; %bb.191:
	v_mov_b32_e32 v2, s26
	global_store_dword v[6:7], v2, off
.LBB94_192:
	s_mov_b64 s[42:43], 0
.LBB94_193:
	s_andn2_b64 vcc, exec, s[42:43]
	s_cbranch_vccnz .LBB94_195
; %bb.194:
	global_store_short v[6:7], v9, off
.LBB94_195:
	s_mov_b64 s[42:43], 0
.LBB94_196:
	s_andn2_b64 vcc, exec, s[42:43]
	s_cbranch_vccnz .LBB94_201
; %bb.197:
	v_cmp_lt_i16_e32 vcc, 0, v8
	s_mov_b64 s[42:43], -1
	s_cbranch_vccz .LBB94_199
; %bb.198:
	v_mov_b32_e32 v2, s23
	s_mov_b64 s[42:43], 0
	global_store_byte v[6:7], v2, off
.LBB94_199:
	s_andn2_b64 vcc, exec, s[42:43]
	s_cbranch_vccnz .LBB94_201
; %bb.200:
	v_mov_b32_e32 v2, s23
	global_store_byte v[6:7], v2, off
.LBB94_201:
	s_branch .LBB94_114
.LBB94_202:
	s_mov_b64 s[42:43], 0
                                        ; implicit-def: $vgpr23
.LBB94_203:
	s_andn2_b64 s[44:45], s[34:35], exec
	s_and_b64 s[38:39], s[38:39], exec
	s_or_b64 s[38:39], s[44:45], s[38:39]
	s_orn2_b64 s[44:45], s[42:43], exec
.LBB94_204:
	s_or_b64 exec, exec, s[40:41]
	s_mov_b64 s[46:47], 0
	s_mov_b64 s[42:43], 0
                                        ; implicit-def: $vgpr6_vgpr7
	s_and_saveexec_b64 s[40:41], s[44:45]
	s_cbranch_execz .LBB94_363
; %bb.205:
	v_cmp_gt_i32_e32 vcc, s33, v23
	s_mov_b64 s[48:49], -1
	s_mov_b64 s[44:45], s[38:39]
	s_and_saveexec_b64 s[42:43], vcc
	s_cbranch_execz .LBB94_306
; %bb.206:
	v_mul_lo_u32 v2, v23, s22
	v_ashrrev_i32_e32 v3, 31, v2
	v_mov_b32_e32 v5, s21
	v_add_co_u32_e32 v6, vcc, s20, v2
	v_addc_co_u32_e32 v7, vcc, v5, v3, vcc
	v_cmp_gt_i16_e32 vcc, 11, v8
	s_cbranch_vccnz .LBB94_213
; %bb.207:
	v_cmp_lt_i16_e32 vcc, 25, v8
	s_cbranch_vccz .LBB94_214
; %bb.208:
	v_cmp_lt_i16_e32 vcc, 28, v8
	s_cbranch_vccz .LBB94_215
; %bb.209:
	v_cmp_lt_i16_e32 vcc, 43, v8
	s_cbranch_vccz .LBB94_216
; %bb.210:
	v_cmp_lt_i16_e32 vcc, 45, v8
	s_cbranch_vccz .LBB94_217
; %bb.211:
	v_cmp_eq_u16_e32 vcc, 46, v8
	s_mov_b64 s[48:49], 0
	s_mov_b64 s[44:45], -1
	s_cbranch_vccz .LBB94_218
; %bb.212:
	global_store_dword v[6:7], v11, off
	s_mov_b64 s[46:47], -1
	s_mov_b64 s[44:45], 0
	s_branch .LBB94_218
.LBB94_213:
	s_mov_b64 s[44:45], s[38:39]
	s_branch .LBB94_263
.LBB94_214:
	s_mov_b64 s[44:45], s[38:39]
	s_branch .LBB94_240
.LBB94_215:
	s_mov_b64 s[44:45], s[38:39]
	s_branch .LBB94_226
.LBB94_216:
	s_mov_b64 s[44:45], s[38:39]
	s_branch .LBB94_222
.LBB94_217:
	s_mov_b64 s[44:45], s[38:39]
.LBB94_218:
	s_and_b64 vcc, exec, s[48:49]
	s_cbranch_vccz .LBB94_221
; %bb.219:
	v_cmp_eq_u16_e32 vcc, 44, v8
	s_mov_b64 s[44:45], -1
	s_cbranch_vccz .LBB94_221
; %bb.220:
	v_mov_b32_e32 v2, 0xff
	v_cndmask_b32_e64 v2, v22, v2, s[16:17]
	s_mov_b64 s[46:47], -1
	s_mov_b64 s[44:45], 0
	global_store_byte v[6:7], v2, off
.LBB94_221:
	s_mov_b64 s[48:49], 0
.LBB94_222:
	s_and_b64 vcc, exec, s[48:49]
	s_cbranch_vccz .LBB94_225
; %bb.223:
	v_cmp_eq_u16_e32 vcc, 29, v8
	s_mov_b64 s[44:45], -1
	s_cbranch_vccz .LBB94_225
; %bb.224:
	v_pk_mov_b32 v[2:3], s[26:27], s[26:27] op_sel:[0,1]
	global_store_dwordx2 v[6:7], v[2:3], off
	s_mov_b64 s[46:47], -1
	s_mov_b64 s[44:45], 0
.LBB94_225:
	s_mov_b64 s[48:49], 0
.LBB94_226:
	s_and_b64 vcc, exec, s[48:49]
	s_cbranch_vccz .LBB94_239
; %bb.227:
	v_cmp_gt_i16_e32 vcc, 27, v8
	s_mov_b64 s[46:47], -1
	s_cbranch_vccnz .LBB94_233
; %bb.228:
	v_cmp_lt_i16_e32 vcc, 27, v8
	s_cbranch_vccz .LBB94_230
; %bb.229:
	v_mov_b32_e32 v2, s26
	s_mov_b64 s[46:47], 0
	global_store_dword v[6:7], v2, off
.LBB94_230:
	s_andn2_b64 vcc, exec, s[46:47]
	s_cbranch_vccnz .LBB94_232
; %bb.231:
	global_store_short v[6:7], v9, off
.LBB94_232:
	s_mov_b64 s[46:47], 0
.LBB94_233:
	s_andn2_b64 vcc, exec, s[46:47]
	s_cbranch_vccnz .LBB94_238
; %bb.234:
	s_andn2_b64 vcc, exec, s[14:15]
	v_mov_b32_e32 v2, 0x80
	s_cbranch_vccnz .LBB94_237
; %bb.235:
	s_or_b64 s[46:47], s[12:13], s[30:31]
	s_andn2_b64 vcc, exec, s[46:47]
	v_mov_b32_e32 v2, 0
	s_cbranch_vccnz .LBB94_237
; %bb.236:
	v_cndmask_b32_e64 v2, v21, v20, s[12:13]
.LBB94_237:
	global_store_byte v[6:7], v2, off
.LBB94_238:
	s_mov_b64 s[46:47], -1
.LBB94_239:
	s_mov_b64 s[48:49], 0
.LBB94_240:
	s_and_b64 vcc, exec, s[48:49]
	s_cbranch_vccz .LBB94_262
; %bb.241:
	v_cmp_lt_i16_e32 vcc, 22, v8
	s_mov_b64 s[48:49], -1
	s_cbranch_vccz .LBB94_254
; %bb.242:
	v_cmp_gt_i16_e32 vcc, 24, v8
	s_mov_b64 s[46:47], -1
	s_cbranch_vccnz .LBB94_251
; %bb.243:
	v_cmp_lt_i16_e32 vcc, 24, v8
	s_cbranch_vccz .LBB94_248
; %bb.244:
	s_andn2_b64 vcc, exec, s[10:11]
	v_mov_b32_e32 v2, 0x80
	s_cbranch_vccnz .LBB94_247
; %bb.245:
	s_or_b64 s[46:47], s[8:9], s[28:29]
	s_andn2_b64 vcc, exec, s[46:47]
	v_mov_b32_e32 v2, 0
	s_cbranch_vccnz .LBB94_247
; %bb.246:
	v_cndmask_b32_e64 v2, v18, v17, s[8:9]
.LBB94_247:
	s_mov_b64 s[46:47], 0
	global_store_byte v[6:7], v2, off
.LBB94_248:
	s_and_b64 vcc, exec, s[46:47]
	s_cbranch_vccz .LBB94_250
; %bb.249:
	v_cndmask_b32_e64 v2, v15, v16, s[6:7]
	v_cndmask_b32_e64 v2, v2, v19, s[4:5]
	global_store_byte v[6:7], v2, off
.LBB94_250:
	s_mov_b64 s[46:47], 0
.LBB94_251:
	s_andn2_b64 vcc, exec, s[46:47]
	s_cbranch_vccnz .LBB94_253
; %bb.252:
	v_cndmask_b32_e64 v2, v12, v13, s[2:3]
	v_cndmask_b32_e64 v2, v2, v14, s[0:1]
	global_store_byte v[6:7], v2, off
.LBB94_253:
	s_mov_b64 s[48:49], 0
	s_mov_b64 s[46:47], -1
.LBB94_254:
	s_andn2_b64 vcc, exec, s[48:49]
	s_cbranch_vccnz .LBB94_262
; %bb.255:
	v_cmp_lt_i16_e32 vcc, 14, v8
	s_mov_b64 s[48:49], -1
	s_cbranch_vccz .LBB94_259
; %bb.256:
	v_cmp_eq_u16_e32 vcc, 15, v8
	s_mov_b64 s[44:45], -1
	s_cbranch_vccz .LBB94_258
; %bb.257:
	global_store_short v[6:7], v11, off
	s_mov_b64 s[46:47], -1
	s_mov_b64 s[44:45], 0
.LBB94_258:
	s_mov_b64 s[48:49], 0
.LBB94_259:
	s_and_b64 vcc, exec, s[48:49]
	s_cbranch_vccz .LBB94_262
; %bb.260:
	v_cmp_eq_u16_e32 vcc, 11, v8
	s_mov_b64 s[44:45], -1
	s_cbranch_vccz .LBB94_262
; %bb.261:
	v_mov_b32_e32 v2, s23
	s_mov_b64 s[46:47], -1
	s_mov_b64 s[44:45], 0
	global_store_byte v[6:7], v2, off
.LBB94_262:
	s_mov_b64 s[48:49], 0
.LBB94_263:
	s_and_b64 vcc, exec, s[48:49]
	s_cbranch_vccz .LBB94_302
; %bb.264:
	v_cmp_gt_i16_e32 vcc, 5, v8
	s_mov_b64 s[46:47], -1
	s_cbranch_vccnz .LBB94_285
; %bb.265:
	v_cmp_gt_i16_e32 vcc, 8, v8
	s_cbranch_vccnz .LBB94_275
; %bb.266:
	v_cmp_gt_i16_e32 vcc, 9, v8
	s_cbranch_vccnz .LBB94_272
; %bb.267:
	v_cmp_lt_i16_e32 vcc, 9, v8
	s_cbranch_vccz .LBB94_269
; %bb.268:
	v_mov_b32_e32 v2, 0
	v_mov_b32_e32 v3, v2
	s_mov_b64 s[46:47], 0
	global_store_dwordx4 v[6:7], v[0:3], off
.LBB94_269:
	s_andn2_b64 vcc, exec, s[46:47]
	s_cbranch_vccnz .LBB94_271
; %bb.270:
	v_mov_b32_e32 v5, 0
	global_store_dwordx2 v[6:7], v[4:5], off
.LBB94_271:
	s_mov_b64 s[46:47], 0
.LBB94_272:
	s_andn2_b64 vcc, exec, s[46:47]
	s_cbranch_vccnz .LBB94_274
; %bb.273:
	global_store_dword v[6:7], v10, off
.LBB94_274:
	s_mov_b64 s[46:47], 0
.LBB94_275:
	s_andn2_b64 vcc, exec, s[46:47]
	s_cbranch_vccnz .LBB94_284
; %bb.276:
	v_cmp_gt_i16_e32 vcc, 6, v8
	s_mov_b64 s[46:47], -1
	s_cbranch_vccnz .LBB94_282
; %bb.277:
	v_cmp_lt_i16_e32 vcc, 6, v8
	s_cbranch_vccz .LBB94_279
; %bb.278:
	s_mov_b64 s[46:47], 0
	global_store_dwordx2 v[6:7], v[0:1], off
.LBB94_279:
	s_andn2_b64 vcc, exec, s[46:47]
	s_cbranch_vccnz .LBB94_281
; %bb.280:
	global_store_dword v[6:7], v4, off
.LBB94_281:
	s_mov_b64 s[46:47], 0
.LBB94_282:
	s_andn2_b64 vcc, exec, s[46:47]
	s_cbranch_vccnz .LBB94_284
; %bb.283:
	global_store_short v[6:7], v10, off
.LBB94_284:
	s_mov_b64 s[46:47], 0
.LBB94_285:
	s_andn2_b64 vcc, exec, s[46:47]
	s_cbranch_vccnz .LBB94_301
; %bb.286:
	v_cmp_gt_i16_e32 vcc, 2, v8
	s_mov_b64 s[46:47], -1
	s_cbranch_vccnz .LBB94_296
; %bb.287:
	v_cmp_gt_i16_e32 vcc, 3, v8
	s_cbranch_vccnz .LBB94_293
; %bb.288:
	v_cmp_lt_i16_e32 vcc, 3, v8
	s_cbranch_vccz .LBB94_290
; %bb.289:
	v_pk_mov_b32 v[2:3], s[26:27], s[26:27] op_sel:[0,1]
	s_mov_b64 s[46:47], 0
	global_store_dwordx2 v[6:7], v[2:3], off
.LBB94_290:
	s_andn2_b64 vcc, exec, s[46:47]
	s_cbranch_vccnz .LBB94_292
; %bb.291:
	v_mov_b32_e32 v2, s26
	global_store_dword v[6:7], v2, off
.LBB94_292:
	s_mov_b64 s[46:47], 0
.LBB94_293:
	s_andn2_b64 vcc, exec, s[46:47]
	s_cbranch_vccnz .LBB94_295
; %bb.294:
	global_store_short v[6:7], v9, off
.LBB94_295:
	s_mov_b64 s[46:47], 0
.LBB94_296:
	s_andn2_b64 vcc, exec, s[46:47]
	s_cbranch_vccnz .LBB94_301
; %bb.297:
	v_cmp_lt_i16_e32 vcc, 0, v8
	s_mov_b64 s[46:47], -1
	s_cbranch_vccz .LBB94_299
; %bb.298:
	v_mov_b32_e32 v2, s23
	s_mov_b64 s[46:47], 0
	global_store_byte v[6:7], v2, off
.LBB94_299:
	s_andn2_b64 vcc, exec, s[46:47]
	s_cbranch_vccnz .LBB94_301
; %bb.300:
	v_mov_b32_e32 v2, s23
	global_store_byte v[6:7], v2, off
.LBB94_301:
	s_mov_b64 s[46:47], -1
.LBB94_302:
	s_andn2_b64 vcc, exec, s[46:47]
	s_cbranch_vccnz .LBB94_304
; %bb.303:
	v_add_u32_e32 v23, 0x80, v23
	s_mov_b64 s[46:47], -1
	s_branch .LBB94_305
.LBB94_304:
	s_mov_b64 s[46:47], 0
                                        ; implicit-def: $vgpr23
.LBB94_305:
	s_andn2_b64 s[48:49], s[38:39], exec
	s_and_b64 s[44:45], s[44:45], exec
	s_or_b64 s[44:45], s[48:49], s[44:45]
	s_orn2_b64 s[48:49], s[46:47], exec
.LBB94_306:
	s_or_b64 exec, exec, s[42:43]
	s_mov_b64 s[46:47], 0
	s_mov_b64 s[52:53], 0
                                        ; implicit-def: $vgpr6_vgpr7
	s_and_saveexec_b64 s[42:43], s[48:49]
	s_cbranch_execz .LBB94_362
; %bb.307:
	v_cmp_gt_i32_e32 vcc, s33, v23
	s_mov_b64 s[50:51], 0
	s_mov_b64 s[48:49], s[44:45]
                                        ; implicit-def: $vgpr6_vgpr7
	s_and_saveexec_b64 s[46:47], vcc
	s_cbranch_execz .LBB94_361
; %bb.308:
	v_mul_lo_u32 v2, v23, s22
	v_ashrrev_i32_e32 v3, 31, v2
	v_mov_b32_e32 v5, s21
	v_add_co_u32_e32 v6, vcc, s20, v2
	v_addc_co_u32_e32 v7, vcc, v5, v3, vcc
	v_cmp_gt_i16_e32 vcc, 11, v8
	s_cbranch_vccnz .LBB94_358
; %bb.309:
	v_cmp_lt_i16_e32 vcc, 25, v8
	s_mov_b64 s[50:51], -1
	s_mov_b64 s[48:49], s[44:45]
	s_cbranch_vccz .LBB94_337
; %bb.310:
	v_cmp_lt_i16_e32 vcc, 28, v8
	s_mov_b64 s[48:49], s[44:45]
	s_cbranch_vccz .LBB94_324
; %bb.311:
	v_cmp_lt_i16_e32 vcc, 43, v8
	;; [unrolled: 4-line block ×3, first 2 shown]
	s_mov_b64 s[48:49], s[44:45]
	s_cbranch_vccz .LBB94_316
; %bb.313:
	v_cmp_eq_u16_e32 vcc, 46, v8
	s_mov_b64 s[48:49], -1
	s_cbranch_vccz .LBB94_315
; %bb.314:
	global_store_dword v[6:7], v11, off
	s_mov_b64 s[48:49], 0
.LBB94_315:
	s_mov_b64 s[50:51], 0
.LBB94_316:
	s_and_b64 vcc, exec, s[50:51]
	s_cbranch_vccz .LBB94_319
; %bb.317:
	v_cmp_eq_u16_e32 vcc, 44, v8
	s_mov_b64 s[48:49], -1
	s_cbranch_vccz .LBB94_319
; %bb.318:
	v_mov_b32_e32 v2, 0xff
	v_cndmask_b32_e64 v2, v22, v2, s[16:17]
	global_store_byte v[6:7], v2, off
	s_mov_b64 s[48:49], 0
.LBB94_319:
	s_mov_b64 s[50:51], 0
.LBB94_320:
	s_and_b64 vcc, exec, s[50:51]
	s_cbranch_vccz .LBB94_323
; %bb.321:
	v_cmp_eq_u16_e32 vcc, 29, v8
	s_mov_b64 s[48:49], -1
	s_cbranch_vccz .LBB94_323
; %bb.322:
	v_pk_mov_b32 v[2:3], s[26:27], s[26:27] op_sel:[0,1]
	global_store_dwordx2 v[6:7], v[2:3], off
	s_mov_b64 s[48:49], 0
.LBB94_323:
	s_mov_b64 s[50:51], 0
.LBB94_324:
	s_and_b64 vcc, exec, s[50:51]
	s_cbranch_vccz .LBB94_336
; %bb.325:
	v_cmp_gt_i16_e32 vcc, 27, v8
	s_mov_b64 s[16:17], -1
	s_cbranch_vccnz .LBB94_331
; %bb.326:
	v_cmp_lt_i16_e32 vcc, 27, v8
	s_cbranch_vccz .LBB94_328
; %bb.327:
	v_mov_b32_e32 v2, s26
	s_mov_b64 s[16:17], 0
	global_store_dword v[6:7], v2, off
.LBB94_328:
	s_andn2_b64 vcc, exec, s[16:17]
	s_cbranch_vccnz .LBB94_330
; %bb.329:
	global_store_short v[6:7], v9, off
.LBB94_330:
	s_mov_b64 s[16:17], 0
.LBB94_331:
	s_andn2_b64 vcc, exec, s[16:17]
	s_cbranch_vccnz .LBB94_336
; %bb.332:
	s_andn2_b64 vcc, exec, s[14:15]
	v_mov_b32_e32 v2, 0x80
	s_cbranch_vccnz .LBB94_335
; %bb.333:
	s_or_b64 s[14:15], s[12:13], s[30:31]
	s_andn2_b64 vcc, exec, s[14:15]
	v_mov_b32_e32 v2, 0
	s_cbranch_vccnz .LBB94_335
; %bb.334:
	v_cndmask_b32_e64 v2, v21, v20, s[12:13]
.LBB94_335:
	global_store_byte v[6:7], v2, off
.LBB94_336:
	s_mov_b64 s[50:51], 0
.LBB94_337:
	s_mov_b64 s[12:13], 0
	s_and_b64 vcc, exec, s[50:51]
	s_cbranch_vccz .LBB94_359
; %bb.338:
	v_cmp_lt_i16_e32 vcc, 22, v8
	s_mov_b64 s[14:15], -1
	s_cbranch_vccz .LBB94_351
; %bb.339:
	v_cmp_gt_i16_e32 vcc, 24, v8
	s_cbranch_vccnz .LBB94_348
; %bb.340:
	v_cmp_lt_i16_e32 vcc, 24, v8
	s_cbranch_vccz .LBB94_345
; %bb.341:
	s_andn2_b64 vcc, exec, s[10:11]
	v_mov_b32_e32 v2, 0x80
	s_cbranch_vccnz .LBB94_344
; %bb.342:
	s_or_b64 s[10:11], s[8:9], s[28:29]
	s_andn2_b64 vcc, exec, s[10:11]
	v_mov_b32_e32 v2, 0
	s_cbranch_vccnz .LBB94_344
; %bb.343:
	v_cndmask_b32_e64 v2, v18, v17, s[8:9]
.LBB94_344:
	s_mov_b64 s[14:15], 0
	global_store_byte v[6:7], v2, off
.LBB94_345:
	s_and_b64 vcc, exec, s[14:15]
	s_cbranch_vccz .LBB94_347
; %bb.346:
	v_cndmask_b32_e64 v2, v15, v16, s[6:7]
	v_cndmask_b32_e64 v2, v2, v19, s[4:5]
	global_store_byte v[6:7], v2, off
.LBB94_347:
	s_mov_b64 s[14:15], 0
.LBB94_348:
	s_andn2_b64 vcc, exec, s[14:15]
	s_cbranch_vccnz .LBB94_350
; %bb.349:
	v_cndmask_b32_e64 v2, v12, v13, s[2:3]
	v_cndmask_b32_e64 v2, v2, v14, s[0:1]
	global_store_byte v[6:7], v2, off
.LBB94_350:
	s_mov_b64 s[14:15], 0
.LBB94_351:
	s_andn2_b64 vcc, exec, s[14:15]
	s_mov_b64 s[0:1], 0
	s_cbranch_vccnz .LBB94_360
; %bb.352:
	v_cmp_lt_i16_e32 vcc, 14, v8
	s_mov_b64 s[2:3], -1
	s_cbranch_vccz .LBB94_356
; %bb.353:
	v_cmp_eq_u16_e32 vcc, 15, v8
	s_mov_b64 s[48:49], -1
	s_cbranch_vccz .LBB94_355
; %bb.354:
	global_store_short v[6:7], v11, off
	s_mov_b64 s[48:49], 0
.LBB94_355:
	s_mov_b64 s[2:3], 0
.LBB94_356:
	s_and_b64 vcc, exec, s[2:3]
	s_cbranch_vccz .LBB94_360
; %bb.357:
	v_cmp_ne_u16_e32 vcc, 11, v8
	s_andn2_b64 s[2:3], s[48:49], exec
	s_and_b64 s[4:5], vcc, exec
	s_mov_b64 s[0:1], -1
	s_or_b64 s[48:49], s[2:3], s[4:5]
	s_branch .LBB94_360
.LBB94_358:
	s_mov_b64 s[0:1], 0
	s_mov_b64 s[12:13], -1
	s_mov_b64 s[48:49], s[44:45]
	s_branch .LBB94_360
.LBB94_359:
	s_mov_b64 s[0:1], 0
.LBB94_360:
	s_and_b64 s[50:51], s[0:1], exec
	s_andn2_b64 s[0:1], s[44:45], exec
	s_and_b64 s[2:3], s[48:49], exec
	s_and_b64 s[52:53], s[12:13], exec
	s_or_b64 s[48:49], s[0:1], s[2:3]
.LBB94_361:
	s_or_b64 exec, exec, s[46:47]
	s_andn2_b64 s[0:1], s[44:45], exec
	s_and_b64 s[2:3], s[48:49], exec
	s_and_b64 s[52:53], s[52:53], exec
	;; [unrolled: 1-line block ×3, first 2 shown]
	s_or_b64 s[44:45], s[0:1], s[2:3]
.LBB94_362:
	s_or_b64 exec, exec, s[42:43]
	s_andn2_b64 s[0:1], s[38:39], exec
	s_and_b64 s[2:3], s[44:45], exec
	s_and_b64 s[42:43], s[52:53], exec
	;; [unrolled: 1-line block ×3, first 2 shown]
	s_or_b64 s[38:39], s[0:1], s[2:3]
.LBB94_363:
	s_or_b64 exec, exec, s[40:41]
	s_andn2_b64 s[0:1], s[34:35], exec
	s_and_b64 s[2:3], s[38:39], exec
	s_and_b64 s[42:43], s[42:43], exec
	;; [unrolled: 1-line block ×3, first 2 shown]
	s_or_b64 s[34:35], s[0:1], s[2:3]
	s_or_b64 exec, exec, s[36:37]
	s_mov_b64 s[0:1], 0
	s_and_saveexec_b64 s[2:3], s[34:35]
	s_cbranch_execz .LBB94_110
.LBB94_364:
	s_mov_b64 s[0:1], exec
	s_andn2_b64 s[40:41], s[40:41], exec
	s_trap 2
	s_or_b64 exec, exec, s[2:3]
	s_and_saveexec_b64 s[2:3], s[40:41]
	s_xor_b64 s[2:3], exec, s[2:3]
	s_cbranch_execnz .LBB94_111
.LBB94_365:
	s_or_b64 exec, exec, s[2:3]
	s_and_saveexec_b64 s[2:3], s[42:43]
	s_xor_b64 s[2:3], exec, s[2:3]
	s_cbranch_execz .LBB94_403
.LBB94_366:
	v_cmp_gt_i16_e32 vcc, 5, v8
	s_mov_b64 s[4:5], -1
	s_cbranch_vccnz .LBB94_387
; %bb.367:
	v_cmp_gt_i16_e32 vcc, 8, v8
	s_cbranch_vccnz .LBB94_377
; %bb.368:
	v_cmp_gt_i16_e32 vcc, 9, v8
	s_cbranch_vccnz .LBB94_374
; %bb.369:
	v_cmp_lt_i16_e32 vcc, 9, v8
	s_cbranch_vccz .LBB94_371
; %bb.370:
	v_mov_b32_e32 v2, 0
	v_mov_b32_e32 v3, v2
	s_mov_b64 s[4:5], 0
	global_store_dwordx4 v[6:7], v[0:3], off
.LBB94_371:
	s_andn2_b64 vcc, exec, s[4:5]
	s_cbranch_vccnz .LBB94_373
; %bb.372:
	v_mov_b32_e32 v5, 0
	global_store_dwordx2 v[6:7], v[4:5], off
.LBB94_373:
	s_mov_b64 s[4:5], 0
.LBB94_374:
	s_andn2_b64 vcc, exec, s[4:5]
	s_cbranch_vccnz .LBB94_376
; %bb.375:
	global_store_dword v[6:7], v10, off
.LBB94_376:
	s_mov_b64 s[4:5], 0
.LBB94_377:
	s_andn2_b64 vcc, exec, s[4:5]
	s_cbranch_vccnz .LBB94_386
; %bb.378:
	v_cmp_gt_i16_e32 vcc, 6, v8
	s_mov_b64 s[4:5], -1
	s_cbranch_vccnz .LBB94_384
; %bb.379:
	v_cmp_lt_i16_e32 vcc, 6, v8
	s_cbranch_vccz .LBB94_381
; %bb.380:
	s_mov_b64 s[4:5], 0
	global_store_dwordx2 v[6:7], v[0:1], off
.LBB94_381:
	s_andn2_b64 vcc, exec, s[4:5]
	s_cbranch_vccnz .LBB94_383
; %bb.382:
	global_store_dword v[6:7], v4, off
.LBB94_383:
	s_mov_b64 s[4:5], 0
.LBB94_384:
	s_andn2_b64 vcc, exec, s[4:5]
	s_cbranch_vccnz .LBB94_386
; %bb.385:
	global_store_short v[6:7], v10, off
.LBB94_386:
	s_mov_b64 s[4:5], 0
.LBB94_387:
	s_andn2_b64 vcc, exec, s[4:5]
	s_cbranch_vccnz .LBB94_403
; %bb.388:
	v_cmp_gt_i16_e32 vcc, 2, v8
	s_mov_b64 s[4:5], -1
	s_cbranch_vccnz .LBB94_398
; %bb.389:
	v_cmp_gt_i16_e32 vcc, 3, v8
	s_cbranch_vccnz .LBB94_395
; %bb.390:
	v_cmp_lt_i16_e32 vcc, 3, v8
	s_cbranch_vccz .LBB94_392
; %bb.391:
	v_pk_mov_b32 v[0:1], s[26:27], s[26:27] op_sel:[0,1]
	s_mov_b64 s[4:5], 0
	global_store_dwordx2 v[6:7], v[0:1], off
.LBB94_392:
	s_andn2_b64 vcc, exec, s[4:5]
	s_cbranch_vccnz .LBB94_394
; %bb.393:
	v_mov_b32_e32 v0, s26
	global_store_dword v[6:7], v0, off
.LBB94_394:
	s_mov_b64 s[4:5], 0
.LBB94_395:
	s_andn2_b64 vcc, exec, s[4:5]
	s_cbranch_vccnz .LBB94_397
; %bb.396:
	global_store_short v[6:7], v9, off
.LBB94_397:
	s_mov_b64 s[4:5], 0
.LBB94_398:
	s_andn2_b64 vcc, exec, s[4:5]
	s_cbranch_vccnz .LBB94_403
; %bb.399:
	v_cmp_lt_i16_e32 vcc, 0, v8
	s_mov_b64 s[4:5], -1
	s_cbranch_vccz .LBB94_401
; %bb.400:
	v_mov_b32_e32 v0, s23
	s_mov_b64 s[4:5], 0
	global_store_byte v[6:7], v0, off
.LBB94_401:
	s_andn2_b64 vcc, exec, s[4:5]
	s_cbranch_vccnz .LBB94_403
; %bb.402:
	v_mov_b32_e32 v0, s23
	global_store_byte v[6:7], v0, off
.LBB94_403:
	s_or_b64 exec, exec, s[2:3]
	s_and_b64 s[4:5], s[0:1], exec
                                        ; implicit-def: $vgpr8
                                        ; implicit-def: $vgpr23
.LBB94_404:
	s_or_saveexec_b64 s[6:7], s[24:25]
	s_mov_b64 s[0:1], 0
                                        ; implicit-def: $vgpr0_vgpr1
                                        ; implicit-def: $sgpr2_sgpr3
	s_xor_b64 exec, exec, s[6:7]
	s_cbranch_execz .LBB94_433
; %bb.405:
	v_mul_lo_u32 v2, s22, v23
	v_ashrrev_i32_e32 v1, 31, v2
	v_mov_b32_e32 v3, s21
	v_add_co_u32_e32 v0, vcc, s20, v2
	v_addc_co_u32_e32 v1, vcc, v3, v1, vcc
	s_bitcmp1_b32 s23, 0
	v_cmp_gt_i16_e64 s[0:1], 11, v8
	s_cselect_b64 s[2:3], -1, 0
	s_and_b64 vcc, exec, s[0:1]
	s_cbranch_vccnz .LBB94_436
; %bb.406:
	v_cmp_lt_i16_e32 vcc, 25, v8
	s_mov_b64 s[14:15], -1
	s_mov_b64 s[10:11], 0
	s_mov_b64 s[12:13], 0
	;; [unrolled: 1-line block ×3, first 2 shown]
	s_cbranch_vccz .LBB94_446
; %bb.407:
	v_cmp_lt_i16_e32 vcc, 28, v8
	s_cbranch_vccz .LBB94_422
; %bb.408:
	v_cmp_lt_i16_e32 vcc, 43, v8
	;; [unrolled: 3-line block ×3, first 2 shown]
	s_cbranch_vccz .LBB94_412
; %bb.410:
	v_cmp_eq_u16_e32 vcc, 46, v8
	s_mov_b64 s[8:9], -1
	s_mov_b64 s[14:15], 0
	s_cbranch_vccz .LBB94_412
; %bb.411:
	v_cndmask_b32_e64 v3, 0, 1.0, s[2:3]
	v_bfe_u32 v4, v3, 16, 1
	v_add_u32_e32 v3, v3, v4
	v_add_u32_e32 v3, 0x7fff, v3
	v_lshrrev_b32_e32 v3, 16, v3
	global_store_dword v[0:1], v3, off
	s_mov_b64 s[8:9], 0
	s_mov_b64 s[12:13], -1
.LBB94_412:
	s_and_b64 vcc, exec, s[14:15]
	s_cbranch_vccz .LBB94_417
; %bb.413:
	v_cmp_eq_u16_e32 vcc, 44, v8
	s_mov_b64 s[8:9], -1
	s_cbranch_vccz .LBB94_417
; %bb.414:
	v_cndmask_b32_e64 v3, 0, 1.0, s[2:3]
	v_readfirstlane_b32 s9, v3
	s_lshr_b32 s8, s9, 23
	s_cmpk_eq_i32 s8, 0xff
	v_mov_b32_e32 v3, 0xff
	s_cbranch_scc1 .LBB94_416
; %bb.415:
	s_bitcmp1_b32 s9, 22
	s_cselect_b64 s[12:13], -1, 0
	s_and_b32 s9, s9, 0x3fffff
	s_or_b32 s9, s8, s9
	s_cmp_lg_u32 s9, 0
	s_cselect_b64 s[14:15], -1, 0
	s_and_b64 s[12:13], s[12:13], s[14:15]
	v_cndmask_b32_e64 v3, 0, 1, s[12:13]
	v_add_u32_e32 v3, s8, v3
.LBB94_416:
	s_mov_b64 s[8:9], 0
	s_mov_b64 s[12:13], -1
	global_store_byte v[0:1], v3, off
.LBB94_417:
	s_mov_b64 s[14:15], 0
.LBB94_418:
	s_and_b64 vcc, exec, s[14:15]
	s_cbranch_vccz .LBB94_421
; %bb.419:
	v_cmp_eq_u16_e32 vcc, 29, v8
	s_mov_b64 s[8:9], -1
	s_cbranch_vccz .LBB94_421
; %bb.420:
	s_and_b32 s8, s23, 0xff
	v_mov_b32_e32 v4, s8
	v_mov_b32_e32 v5, 0
	global_store_dwordx2 v[0:1], v[4:5], off
	s_mov_b64 s[8:9], 0
	s_mov_b64 s[12:13], -1
.LBB94_421:
	s_mov_b64 s[14:15], 0
.LBB94_422:
	s_and_b64 vcc, exec, s[14:15]
	s_cbranch_vccz .LBB94_445
; %bb.423:
	v_cmp_gt_i16_e32 vcc, 27, v8
	s_mov_b64 s[12:13], -1
	s_cbranch_vccnz .LBB94_429
; %bb.424:
	v_cmp_lt_i16_e32 vcc, 27, v8
	s_cbranch_vccz .LBB94_426
; %bb.425:
	s_and_b32 s12, s23, 0xff
	v_mov_b32_e32 v3, s12
	s_mov_b64 s[12:13], 0
	global_store_dword v[0:1], v3, off
.LBB94_426:
	s_andn2_b64 vcc, exec, s[12:13]
	s_cbranch_vccnz .LBB94_428
; %bb.427:
	v_mov_b32_e32 v3, 0xff
	v_and_b32_e32 v3, s23, v3
	global_store_short v[0:1], v3, off
.LBB94_428:
	s_mov_b64 s[12:13], 0
.LBB94_429:
	s_andn2_b64 vcc, exec, s[12:13]
	s_cbranch_vccnz .LBB94_444
; %bb.430:
	v_cndmask_b32_e64 v3, 0, 1.0, s[2:3]
	s_mov_b32 s13, 0x437fffff
	v_cmp_lt_u32_e32 vcc, s13, v3
	v_readfirstlane_b32 s12, v3
	v_mov_b32_e32 v5, 0x80
	s_cbranch_vccnz .LBB94_443
; %bb.431:
	s_cmp_gt_u32 s12, 0x3bffffff
	s_cbranch_scc0 .LBB94_438
; %bb.432:
	s_bfe_u32 s13, s12, 0x10014
	s_add_i32 s12, s12, s13
	s_add_i32 s12, s12, 0x487ffff
	s_lshr_b32 s16, s12, 20
	s_mov_b64 s[14:15], 0
	s_mov_b64 s[12:13], -1
	s_branch .LBB94_439
.LBB94_433:
	s_or_b64 exec, exec, s[6:7]
	s_and_saveexec_b64 s[6:7], s[4:5]
	s_cbranch_execz .LBB94_834
.LBB94_434:
	; divergent unreachable
	s_or_b64 exec, exec, s[6:7]
	s_and_saveexec_b64 s[4:5], s[18:19]
	s_xor_b64 s[4:5], exec, s[4:5]
	s_cbranch_execnz .LBB94_835
.LBB94_435:
	s_or_b64 exec, exec, s[4:5]
	s_and_saveexec_b64 s[4:5], s[0:1]
	s_cbranch_execnz .LBB94_836
	s_branch .LBB94_873
.LBB94_436:
	s_mov_b64 s[12:13], 0
	s_mov_b64 s[8:9], s[4:5]
	s_cbranch_execnz .LBB94_496
.LBB94_437:
	s_andn2_b64 vcc, exec, s[12:13]
	s_cbranch_vccz .LBB94_534
	s_branch .LBB94_832
.LBB94_438:
	s_mov_b64 s[14:15], -1
	s_mov_b64 s[12:13], 0
                                        ; implicit-def: $sgpr16
.LBB94_439:
	s_andn2_b64 vcc, exec, s[14:15]
	v_mov_b32_e32 v4, s16
                                        ; implicit-def: $sgpr14
	s_cbranch_vccnz .LBB94_441
; %bb.440:
	v_add_f32_e32 v3, 0x46000000, v3
	v_and_b32_e32 v4, 0xff, v3
	s_mov_b32 s14, 0
	v_cmp_ne_u32_e64 s[12:13], 0, v4
.LBB94_441:
	s_andn2_b64 vcc, exec, s[12:13]
	v_mov_b32_e32 v5, s14
	s_cbranch_vccnz .LBB94_443
; %bb.442:
	v_mov_b32_e32 v5, v4
.LBB94_443:
	global_store_byte v[0:1], v5, off
.LBB94_444:
	s_mov_b64 s[12:13], -1
.LBB94_445:
	s_mov_b64 s[14:15], 0
.LBB94_446:
	s_and_b64 vcc, exec, s[14:15]
	s_cbranch_vccz .LBB94_492
; %bb.447:
	v_cmp_lt_i16_e32 vcc, 22, v8
	s_mov_b64 s[10:11], -1
	s_cbranch_vccz .LBB94_485
; %bb.448:
	v_cmp_gt_i16_e32 vcc, 24, v8
	s_cbranch_vccnz .LBB94_472
; %bb.449:
	v_cmp_lt_i16_e32 vcc, 24, v8
	s_cbranch_vccz .LBB94_459
; %bb.450:
	v_cndmask_b32_e64 v3, 0, 1.0, s[2:3]
	s_mov_b32 s11, 0x477fffff
	v_cmp_lt_u32_e32 vcc, s11, v3
	v_readfirstlane_b32 s10, v3
	v_mov_b32_e32 v5, 0x80
	s_cbranch_vccnz .LBB94_458
; %bb.451:
	s_cmp_gt_u32 s10, 0x37ffffff
	s_cbranch_scc0 .LBB94_453
; %bb.452:
	s_bfe_u32 s11, s10, 0x10015
	s_add_i32 s10, s10, s11
	s_add_i32 s10, s10, 0x88fffff
	s_lshr_b32 s14, s10, 21
	s_mov_b64 s[12:13], 0
	s_mov_b64 s[10:11], -1
	s_branch .LBB94_454
.LBB94_453:
	s_mov_b64 s[12:13], -1
	s_mov_b64 s[10:11], 0
                                        ; implicit-def: $sgpr14
.LBB94_454:
	s_andn2_b64 vcc, exec, s[12:13]
	v_mov_b32_e32 v4, s14
                                        ; implicit-def: $sgpr12
	s_cbranch_vccnz .LBB94_456
; %bb.455:
	v_add_f32_e32 v3, 0x42800000, v3
	v_and_b32_e32 v4, 0xff, v3
	s_mov_b32 s12, 0
	v_cmp_ne_u32_e64 s[10:11], 0, v4
.LBB94_456:
	s_andn2_b64 vcc, exec, s[10:11]
	v_mov_b32_e32 v5, s12
	s_cbranch_vccnz .LBB94_458
; %bb.457:
	v_mov_b32_e32 v5, v4
.LBB94_458:
	s_mov_b64 s[10:11], 0
	global_store_byte v[0:1], v5, off
.LBB94_459:
	s_and_b64 vcc, exec, s[10:11]
	s_cbranch_vccz .LBB94_471
; %bb.460:
	v_cndmask_b32_e64 v3, 0, 1.0, s[2:3]
	s_mov_b32 s10, 0x43f00000
	v_cmp_gt_u32_e32 vcc, s10, v3
	v_readfirstlane_b32 s12, v3
	s_cbranch_vccz .LBB94_463
; %bb.461:
	s_cmp_gt_u32 s12, 0x3c7fffff
	s_cbranch_scc0 .LBB94_464
; %bb.462:
	s_bfe_u32 s10, s12, 0x10014
	s_add_i32 s10, s12, s10
	s_add_i32 s10, s10, 0x407ffff
	s_lshr_b32 s11, s10, 20
	s_and_b32 s10, s10, 0xff00000
	s_cmp_lg_u32 s10, 0x7f00000
	s_cselect_b32 s13, s11, 0x7e
	s_mov_b64 s[10:11], 0
	s_branch .LBB94_465
.LBB94_463:
	s_mov_b64 s[10:11], -1
                                        ; implicit-def: $vgpr4
	s_branch .LBB94_468
.LBB94_464:
	s_mov_b64 s[10:11], -1
                                        ; implicit-def: $sgpr13
.LBB94_465:
	s_andn2_b64 vcc, exec, s[10:11]
	v_mov_b32_e32 v4, s13
	s_cbranch_vccnz .LBB94_467
; %bb.466:
	v_add_f32_e32 v4, 0x46800000, v3
.LBB94_467:
	s_mov_b64 s[10:11], 0
.LBB94_468:
	s_andn2_b64 vcc, exec, s[10:11]
	s_cbranch_vccnz .LBB94_470
; %bb.469:
	s_cmp_gt_u32 s12, 0x7f800000
	s_movk_i32 s10, 0x7f
	s_cselect_b32 s10, s10, 0x7e
	v_mov_b32_e32 v4, s10
.LBB94_470:
	global_store_byte v[0:1], v4, off
.LBB94_471:
	s_mov_b64 s[10:11], 0
.LBB94_472:
	s_andn2_b64 vcc, exec, s[10:11]
	s_cbranch_vccnz .LBB94_484
; %bb.473:
	v_cndmask_b32_e64 v3, 0, 1.0, s[2:3]
	s_mov_b32 s10, 0x47800000
	v_cmp_gt_u32_e32 vcc, s10, v3
	v_readfirstlane_b32 s12, v3
	s_cbranch_vccz .LBB94_476
; %bb.474:
	s_cmp_gt_u32 s12, 0x387fffff
	s_cbranch_scc0 .LBB94_477
; %bb.475:
	s_bfe_u32 s10, s12, 0x10015
	s_add_i32 s10, s12, s10
	s_add_i32 s10, s10, 0x80fffff
	s_lshr_b32 s13, s10, 21
	s_mov_b64 s[10:11], 0
	s_branch .LBB94_478
.LBB94_476:
	s_mov_b64 s[10:11], -1
                                        ; implicit-def: $vgpr4
	s_branch .LBB94_481
.LBB94_477:
	s_mov_b64 s[10:11], -1
                                        ; implicit-def: $sgpr13
.LBB94_478:
	s_andn2_b64 vcc, exec, s[10:11]
	v_mov_b32_e32 v4, s13
	s_cbranch_vccnz .LBB94_480
; %bb.479:
	v_add_f32_e32 v4, 0x43000000, v3
.LBB94_480:
	s_mov_b64 s[10:11], 0
.LBB94_481:
	s_andn2_b64 vcc, exec, s[10:11]
	s_cbranch_vccnz .LBB94_483
; %bb.482:
	s_cmp_gt_u32 s12, 0x7f800000
	s_movk_i32 s10, 0x7f
	s_cselect_b32 s10, s10, 0x7c
	v_mov_b32_e32 v4, s10
.LBB94_483:
	global_store_byte v[0:1], v4, off
.LBB94_484:
	s_mov_b64 s[10:11], 0
	s_mov_b64 s[12:13], -1
.LBB94_485:
	s_andn2_b64 vcc, exec, s[10:11]
	s_mov_b64 s[10:11], 0
	s_cbranch_vccnz .LBB94_492
; %bb.486:
	v_cmp_lt_i16_e32 vcc, 14, v8
	s_mov_b64 s[14:15], -1
	s_cbranch_vccz .LBB94_490
; %bb.487:
	v_cmp_eq_u16_e32 vcc, 15, v8
	s_mov_b64 s[8:9], -1
	s_cbranch_vccz .LBB94_489
; %bb.488:
	v_cndmask_b32_e64 v3, 0, 1.0, s[2:3]
	v_bfe_u32 v4, v3, 16, 1
	v_add_u32_e32 v3, v3, v4
	v_add_u32_e32 v3, 0x7fff, v3
	global_store_short_d16_hi v[0:1], v3, off
	s_mov_b64 s[8:9], 0
	s_mov_b64 s[12:13], -1
.LBB94_489:
	s_mov_b64 s[14:15], 0
.LBB94_490:
	s_and_b64 vcc, exec, s[14:15]
	s_cbranch_vccz .LBB94_492
; %bb.491:
	v_cmp_ne_u16_e64 s[8:9], 11, v8
	s_mov_b64 s[10:11], -1
.LBB94_492:
	s_and_b64 vcc, exec, s[8:9]
	s_mov_b64 s[8:9], s[4:5]
	s_cbranch_vccnz .LBB94_564
; %bb.493:
	s_andn2_b64 vcc, exec, s[10:11]
	s_cbranch_vccnz .LBB94_495
.LBB94_494:
	v_mov_b32_e32 v3, s23
	s_mov_b64 s[12:13], -1
	global_store_byte v[0:1], v3, off
.LBB94_495:
	s_branch .LBB94_437
.LBB94_496:
	v_cmp_gt_i16_e32 vcc, 5, v8
	s_mov_b64 s[10:11], -1
	s_cbranch_vccnz .LBB94_517
; %bb.497:
	v_cmp_gt_i16_e32 vcc, 8, v8
	s_cbranch_vccnz .LBB94_507
; %bb.498:
	v_cmp_gt_i16_e32 vcc, 9, v8
	s_cbranch_vccnz .LBB94_504
; %bb.499:
	v_cmp_lt_i16_e32 vcc, 9, v8
	s_cbranch_vccz .LBB94_501
; %bb.500:
	v_cndmask_b32_e64 v3, 0, 1, s[2:3]
	v_mov_b32_e32 v6, 0
	v_cvt_f64_u32_e32 v[4:5], v3
	v_mov_b32_e32 v7, v6
	global_store_dwordx4 v[0:1], v[4:7], off
	s_mov_b64 s[10:11], 0
.LBB94_501:
	s_andn2_b64 vcc, exec, s[10:11]
	s_cbranch_vccnz .LBB94_503
; %bb.502:
	v_cndmask_b32_e64 v4, 0, 1.0, s[2:3]
	v_mov_b32_e32 v5, 0
	global_store_dwordx2 v[0:1], v[4:5], off
.LBB94_503:
	s_mov_b64 s[10:11], 0
.LBB94_504:
	s_andn2_b64 vcc, exec, s[10:11]
	s_cbranch_vccnz .LBB94_506
; %bb.505:
	v_cndmask_b32_e64 v3, 0, 1.0, s[2:3]
	v_cvt_f16_f32_e32 v3, v3
	global_store_dword v[0:1], v3, off
.LBB94_506:
	s_mov_b64 s[10:11], 0
.LBB94_507:
	s_andn2_b64 vcc, exec, s[10:11]
	s_cbranch_vccnz .LBB94_516
; %bb.508:
	v_cmp_gt_i16_e32 vcc, 6, v8
	s_mov_b64 s[10:11], -1
	s_cbranch_vccnz .LBB94_514
; %bb.509:
	v_cmp_lt_i16_e32 vcc, 6, v8
	s_cbranch_vccz .LBB94_511
; %bb.510:
	v_cndmask_b32_e64 v3, 0, 1, s[2:3]
	v_cvt_f64_u32_e32 v[4:5], v3
	global_store_dwordx2 v[0:1], v[4:5], off
	s_mov_b64 s[10:11], 0
.LBB94_511:
	s_andn2_b64 vcc, exec, s[10:11]
	s_cbranch_vccnz .LBB94_513
; %bb.512:
	v_cndmask_b32_e64 v3, 0, 1.0, s[2:3]
	global_store_dword v[0:1], v3, off
.LBB94_513:
	s_mov_b64 s[10:11], 0
.LBB94_514:
	s_andn2_b64 vcc, exec, s[10:11]
	s_cbranch_vccnz .LBB94_516
; %bb.515:
	v_cndmask_b32_e64 v3, 0, 1.0, s[2:3]
	v_cvt_f16_f32_e32 v3, v3
	global_store_short v[0:1], v3, off
.LBB94_516:
	s_mov_b64 s[10:11], 0
.LBB94_517:
	s_andn2_b64 vcc, exec, s[10:11]
	s_cbranch_vccnz .LBB94_533
; %bb.518:
	v_cmp_gt_i16_e32 vcc, 2, v8
	s_mov_b64 s[10:11], -1
	s_cbranch_vccnz .LBB94_528
; %bb.519:
	v_cmp_gt_i16_e32 vcc, 3, v8
	s_cbranch_vccnz .LBB94_525
; %bb.520:
	v_cmp_lt_i16_e32 vcc, 3, v8
	s_cbranch_vccz .LBB94_522
; %bb.521:
	s_and_b32 s10, s23, 0xff
	v_mov_b32_e32 v4, s10
	v_mov_b32_e32 v5, 0
	global_store_dwordx2 v[0:1], v[4:5], off
	s_mov_b64 s[10:11], 0
.LBB94_522:
	s_andn2_b64 vcc, exec, s[10:11]
	s_cbranch_vccnz .LBB94_524
; %bb.523:
	s_and_b32 s10, s23, 0xff
	v_mov_b32_e32 v3, s10
	global_store_dword v[0:1], v3, off
.LBB94_524:
	s_mov_b64 s[10:11], 0
.LBB94_525:
	s_andn2_b64 vcc, exec, s[10:11]
	s_cbranch_vccnz .LBB94_527
; %bb.526:
	v_mov_b32_e32 v3, 0xff
	v_and_b32_e32 v3, s23, v3
	global_store_short v[0:1], v3, off
.LBB94_527:
	s_mov_b64 s[10:11], 0
.LBB94_528:
	s_andn2_b64 vcc, exec, s[10:11]
	s_cbranch_vccnz .LBB94_533
; %bb.529:
	v_cmp_lt_i16_e32 vcc, 0, v8
	s_mov_b64 s[10:11], -1
	s_cbranch_vccz .LBB94_531
; %bb.530:
	v_mov_b32_e32 v3, s23
	global_store_byte v[0:1], v3, off
	s_mov_b64 s[10:11], 0
.LBB94_531:
	s_andn2_b64 vcc, exec, s[10:11]
	s_cbranch_vccnz .LBB94_533
; %bb.532:
	v_mov_b32_e32 v3, s23
	global_store_byte v[0:1], v3, off
.LBB94_533:
.LBB94_534:
	s_lshl_b32 s18, s22, 7
	v_add_u32_e32 v2, s18, v2
	v_ashrrev_i32_e32 v1, 31, v2
	v_mov_b32_e32 v3, s21
	v_add_co_u32_e32 v0, vcc, s20, v2
	v_addc_co_u32_e32 v1, vcc, v3, v1, vcc
	s_and_b64 vcc, exec, s[0:1]
	s_cbranch_vccnz .LBB94_562
; %bb.535:
	v_cmp_lt_i16_e32 vcc, 25, v8
	s_mov_b64 s[16:17], -1
	s_mov_b64 s[12:13], 0
	s_mov_b64 s[14:15], 0
	;; [unrolled: 1-line block ×3, first 2 shown]
	s_cbranch_vccz .LBB94_573
; %bb.536:
	v_cmp_lt_i16_e32 vcc, 28, v8
	s_cbranch_vccz .LBB94_551
; %bb.537:
	v_cmp_lt_i16_e32 vcc, 43, v8
	;; [unrolled: 3-line block ×3, first 2 shown]
	s_cbranch_vccz .LBB94_541
; %bb.539:
	v_cmp_eq_u16_e32 vcc, 46, v8
	s_mov_b64 s[10:11], -1
	s_mov_b64 s[16:17], 0
	s_cbranch_vccz .LBB94_541
; %bb.540:
	v_cndmask_b32_e64 v3, 0, 1.0, s[2:3]
	v_bfe_u32 v4, v3, 16, 1
	v_add_u32_e32 v3, v3, v4
	v_add_u32_e32 v3, 0x7fff, v3
	v_lshrrev_b32_e32 v3, 16, v3
	global_store_dword v[0:1], v3, off
	s_mov_b64 s[10:11], 0
	s_mov_b64 s[14:15], -1
.LBB94_541:
	s_and_b64 vcc, exec, s[16:17]
	s_cbranch_vccz .LBB94_546
; %bb.542:
	v_cmp_eq_u16_e32 vcc, 44, v8
	s_mov_b64 s[10:11], -1
	s_cbranch_vccz .LBB94_546
; %bb.543:
	v_cndmask_b32_e64 v3, 0, 1.0, s[2:3]
	v_readfirstlane_b32 s11, v3
	s_lshr_b32 s10, s11, 23
	s_cmpk_eq_i32 s10, 0xff
	v_mov_b32_e32 v3, 0xff
	s_cbranch_scc1 .LBB94_545
; %bb.544:
	s_bitcmp1_b32 s11, 22
	s_cselect_b64 s[14:15], -1, 0
	s_and_b32 s11, s11, 0x3fffff
	s_or_b32 s11, s10, s11
	s_cmp_lg_u32 s11, 0
	s_cselect_b64 s[16:17], -1, 0
	s_and_b64 s[14:15], s[14:15], s[16:17]
	v_cndmask_b32_e64 v3, 0, 1, s[14:15]
	v_add_u32_e32 v3, s10, v3
.LBB94_545:
	s_mov_b64 s[10:11], 0
	s_mov_b64 s[14:15], -1
	global_store_byte v[0:1], v3, off
.LBB94_546:
	s_mov_b64 s[16:17], 0
.LBB94_547:
	s_and_b64 vcc, exec, s[16:17]
	s_cbranch_vccz .LBB94_550
; %bb.548:
	v_cmp_eq_u16_e32 vcc, 29, v8
	s_mov_b64 s[10:11], -1
	s_cbranch_vccz .LBB94_550
; %bb.549:
	s_and_b32 s10, s23, 0xff
	v_mov_b32_e32 v4, s10
	v_mov_b32_e32 v5, 0
	global_store_dwordx2 v[0:1], v[4:5], off
	s_mov_b64 s[10:11], 0
	s_mov_b64 s[14:15], -1
.LBB94_550:
	s_mov_b64 s[16:17], 0
.LBB94_551:
	s_and_b64 vcc, exec, s[16:17]
	s_cbranch_vccz .LBB94_572
; %bb.552:
	v_cmp_gt_i16_e32 vcc, 27, v8
	s_mov_b64 s[14:15], -1
	s_cbranch_vccnz .LBB94_558
; %bb.553:
	v_cmp_lt_i16_e32 vcc, 27, v8
	s_cbranch_vccz .LBB94_555
; %bb.554:
	s_and_b32 s14, s23, 0xff
	v_mov_b32_e32 v3, s14
	s_mov_b64 s[14:15], 0
	global_store_dword v[0:1], v3, off
.LBB94_555:
	s_andn2_b64 vcc, exec, s[14:15]
	s_cbranch_vccnz .LBB94_557
; %bb.556:
	v_mov_b32_e32 v3, 0xff
	v_and_b32_e32 v3, s23, v3
	global_store_short v[0:1], v3, off
.LBB94_557:
	s_mov_b64 s[14:15], 0
.LBB94_558:
	s_andn2_b64 vcc, exec, s[14:15]
	s_cbranch_vccnz .LBB94_571
; %bb.559:
	v_cndmask_b32_e64 v3, 0, 1.0, s[2:3]
	s_mov_b32 s15, 0x437fffff
	v_cmp_lt_u32_e32 vcc, s15, v3
	v_readfirstlane_b32 s14, v3
	v_mov_b32_e32 v5, 0x80
	s_cbranch_vccnz .LBB94_570
; %bb.560:
	s_cmp_gt_u32 s14, 0x3bffffff
	s_cbranch_scc0 .LBB94_565
; %bb.561:
	s_bfe_u32 s15, s14, 0x10014
	s_add_i32 s14, s14, s15
	s_add_i32 s14, s14, 0x487ffff
	s_lshr_b32 s19, s14, 20
	s_mov_b64 s[16:17], 0
	s_mov_b64 s[14:15], -1
	s_branch .LBB94_566
.LBB94_562:
	s_mov_b64 s[14:15], 0
	s_cbranch_execnz .LBB94_623
.LBB94_563:
	s_andn2_b64 vcc, exec, s[14:15]
	s_cbranch_vccz .LBB94_661
	s_branch .LBB94_832
.LBB94_564:
	s_or_b64 s[8:9], s[4:5], exec
	s_trap 2
	s_cbranch_execz .LBB94_494
	s_branch .LBB94_495
.LBB94_565:
	s_mov_b64 s[16:17], -1
	s_mov_b64 s[14:15], 0
                                        ; implicit-def: $sgpr19
.LBB94_566:
	s_andn2_b64 vcc, exec, s[16:17]
	v_mov_b32_e32 v4, s19
                                        ; implicit-def: $sgpr16
	s_cbranch_vccnz .LBB94_568
; %bb.567:
	v_add_f32_e32 v3, 0x46000000, v3
	v_and_b32_e32 v4, 0xff, v3
	s_mov_b32 s16, 0
	v_cmp_ne_u32_e64 s[14:15], 0, v4
.LBB94_568:
	s_andn2_b64 vcc, exec, s[14:15]
	v_mov_b32_e32 v5, s16
	s_cbranch_vccnz .LBB94_570
; %bb.569:
	v_mov_b32_e32 v5, v4
.LBB94_570:
	global_store_byte v[0:1], v5, off
.LBB94_571:
	s_mov_b64 s[14:15], -1
.LBB94_572:
	s_mov_b64 s[16:17], 0
.LBB94_573:
	s_and_b64 vcc, exec, s[16:17]
	s_cbranch_vccz .LBB94_619
; %bb.574:
	v_cmp_lt_i16_e32 vcc, 22, v8
	s_mov_b64 s[12:13], -1
	s_cbranch_vccz .LBB94_612
; %bb.575:
	v_cmp_gt_i16_e32 vcc, 24, v8
	s_cbranch_vccnz .LBB94_599
; %bb.576:
	v_cmp_lt_i16_e32 vcc, 24, v8
	s_cbranch_vccz .LBB94_586
; %bb.577:
	v_cndmask_b32_e64 v3, 0, 1.0, s[2:3]
	s_mov_b32 s13, 0x477fffff
	v_cmp_lt_u32_e32 vcc, s13, v3
	v_readfirstlane_b32 s12, v3
	v_mov_b32_e32 v5, 0x80
	s_cbranch_vccnz .LBB94_585
; %bb.578:
	s_cmp_gt_u32 s12, 0x37ffffff
	s_cbranch_scc0 .LBB94_580
; %bb.579:
	s_bfe_u32 s13, s12, 0x10015
	s_add_i32 s12, s12, s13
	s_add_i32 s12, s12, 0x88fffff
	s_lshr_b32 s16, s12, 21
	s_mov_b64 s[14:15], 0
	s_mov_b64 s[12:13], -1
	s_branch .LBB94_581
.LBB94_580:
	s_mov_b64 s[14:15], -1
	s_mov_b64 s[12:13], 0
                                        ; implicit-def: $sgpr16
.LBB94_581:
	s_andn2_b64 vcc, exec, s[14:15]
	v_mov_b32_e32 v4, s16
                                        ; implicit-def: $sgpr14
	s_cbranch_vccnz .LBB94_583
; %bb.582:
	v_add_f32_e32 v3, 0x42800000, v3
	v_and_b32_e32 v4, 0xff, v3
	s_mov_b32 s14, 0
	v_cmp_ne_u32_e64 s[12:13], 0, v4
.LBB94_583:
	s_andn2_b64 vcc, exec, s[12:13]
	v_mov_b32_e32 v5, s14
	s_cbranch_vccnz .LBB94_585
; %bb.584:
	v_mov_b32_e32 v5, v4
.LBB94_585:
	s_mov_b64 s[12:13], 0
	global_store_byte v[0:1], v5, off
.LBB94_586:
	s_and_b64 vcc, exec, s[12:13]
	s_cbranch_vccz .LBB94_598
; %bb.587:
	v_cndmask_b32_e64 v3, 0, 1.0, s[2:3]
	s_mov_b32 s12, 0x43f00000
	v_cmp_gt_u32_e32 vcc, s12, v3
	v_readfirstlane_b32 s14, v3
	s_cbranch_vccz .LBB94_590
; %bb.588:
	s_cmp_gt_u32 s14, 0x3c7fffff
	s_cbranch_scc0 .LBB94_591
; %bb.589:
	s_bfe_u32 s12, s14, 0x10014
	s_add_i32 s12, s14, s12
	s_add_i32 s12, s12, 0x407ffff
	s_lshr_b32 s13, s12, 20
	s_and_b32 s12, s12, 0xff00000
	s_cmp_lg_u32 s12, 0x7f00000
	s_cselect_b32 s15, s13, 0x7e
	s_mov_b64 s[12:13], 0
	s_branch .LBB94_592
.LBB94_590:
	s_mov_b64 s[12:13], -1
                                        ; implicit-def: $vgpr4
	s_branch .LBB94_595
.LBB94_591:
	s_mov_b64 s[12:13], -1
                                        ; implicit-def: $sgpr15
.LBB94_592:
	s_andn2_b64 vcc, exec, s[12:13]
	v_mov_b32_e32 v4, s15
	s_cbranch_vccnz .LBB94_594
; %bb.593:
	v_add_f32_e32 v4, 0x46800000, v3
.LBB94_594:
	s_mov_b64 s[12:13], 0
.LBB94_595:
	s_andn2_b64 vcc, exec, s[12:13]
	s_cbranch_vccnz .LBB94_597
; %bb.596:
	s_cmp_gt_u32 s14, 0x7f800000
	s_movk_i32 s12, 0x7f
	s_cselect_b32 s12, s12, 0x7e
	v_mov_b32_e32 v4, s12
.LBB94_597:
	global_store_byte v[0:1], v4, off
.LBB94_598:
	s_mov_b64 s[12:13], 0
.LBB94_599:
	s_andn2_b64 vcc, exec, s[12:13]
	s_cbranch_vccnz .LBB94_611
; %bb.600:
	v_cndmask_b32_e64 v3, 0, 1.0, s[2:3]
	s_mov_b32 s12, 0x47800000
	v_cmp_gt_u32_e32 vcc, s12, v3
	v_readfirstlane_b32 s14, v3
	s_cbranch_vccz .LBB94_603
; %bb.601:
	s_cmp_gt_u32 s14, 0x387fffff
	s_cbranch_scc0 .LBB94_604
; %bb.602:
	s_bfe_u32 s12, s14, 0x10015
	s_add_i32 s12, s14, s12
	s_add_i32 s12, s12, 0x80fffff
	s_lshr_b32 s15, s12, 21
	s_mov_b64 s[12:13], 0
	s_branch .LBB94_605
.LBB94_603:
	s_mov_b64 s[12:13], -1
                                        ; implicit-def: $vgpr4
	s_branch .LBB94_608
.LBB94_604:
	s_mov_b64 s[12:13], -1
                                        ; implicit-def: $sgpr15
.LBB94_605:
	s_andn2_b64 vcc, exec, s[12:13]
	v_mov_b32_e32 v4, s15
	s_cbranch_vccnz .LBB94_607
; %bb.606:
	v_add_f32_e32 v4, 0x43000000, v3
.LBB94_607:
	s_mov_b64 s[12:13], 0
.LBB94_608:
	s_andn2_b64 vcc, exec, s[12:13]
	s_cbranch_vccnz .LBB94_610
; %bb.609:
	s_cmp_gt_u32 s14, 0x7f800000
	s_movk_i32 s12, 0x7f
	s_cselect_b32 s12, s12, 0x7c
	v_mov_b32_e32 v4, s12
.LBB94_610:
	global_store_byte v[0:1], v4, off
.LBB94_611:
	s_mov_b64 s[12:13], 0
	s_mov_b64 s[14:15], -1
.LBB94_612:
	s_andn2_b64 vcc, exec, s[12:13]
	s_mov_b64 s[12:13], 0
	s_cbranch_vccnz .LBB94_619
; %bb.613:
	v_cmp_lt_i16_e32 vcc, 14, v8
	s_mov_b64 s[16:17], -1
	s_cbranch_vccz .LBB94_617
; %bb.614:
	v_cmp_eq_u16_e32 vcc, 15, v8
	s_mov_b64 s[10:11], -1
	s_cbranch_vccz .LBB94_616
; %bb.615:
	v_cndmask_b32_e64 v3, 0, 1.0, s[2:3]
	v_bfe_u32 v4, v3, 16, 1
	v_add_u32_e32 v3, v3, v4
	v_add_u32_e32 v3, 0x7fff, v3
	global_store_short_d16_hi v[0:1], v3, off
	s_mov_b64 s[10:11], 0
	s_mov_b64 s[14:15], -1
.LBB94_616:
	s_mov_b64 s[16:17], 0
.LBB94_617:
	s_and_b64 vcc, exec, s[16:17]
	s_cbranch_vccz .LBB94_619
; %bb.618:
	v_cmp_ne_u16_e64 s[10:11], 11, v8
	s_mov_b64 s[12:13], -1
.LBB94_619:
	s_and_b64 vcc, exec, s[10:11]
	s_cbranch_vccnz .LBB94_721
; %bb.620:
	s_andn2_b64 vcc, exec, s[12:13]
	s_cbranch_vccnz .LBB94_622
.LBB94_621:
	v_mov_b32_e32 v3, s23
	s_mov_b64 s[14:15], -1
	global_store_byte v[0:1], v3, off
.LBB94_622:
	s_branch .LBB94_563
.LBB94_623:
	v_cmp_gt_i16_e32 vcc, 5, v8
	s_mov_b64 s[10:11], -1
	s_cbranch_vccnz .LBB94_644
; %bb.624:
	v_cmp_gt_i16_e32 vcc, 8, v8
	s_cbranch_vccnz .LBB94_634
; %bb.625:
	v_cmp_gt_i16_e32 vcc, 9, v8
	s_cbranch_vccnz .LBB94_631
; %bb.626:
	v_cmp_lt_i16_e32 vcc, 9, v8
	s_cbranch_vccz .LBB94_628
; %bb.627:
	v_cndmask_b32_e64 v3, 0, 1, s[2:3]
	v_mov_b32_e32 v6, 0
	v_cvt_f64_u32_e32 v[4:5], v3
	v_mov_b32_e32 v7, v6
	global_store_dwordx4 v[0:1], v[4:7], off
	s_mov_b64 s[10:11], 0
.LBB94_628:
	s_andn2_b64 vcc, exec, s[10:11]
	s_cbranch_vccnz .LBB94_630
; %bb.629:
	v_cndmask_b32_e64 v4, 0, 1.0, s[2:3]
	v_mov_b32_e32 v5, 0
	global_store_dwordx2 v[0:1], v[4:5], off
.LBB94_630:
	s_mov_b64 s[10:11], 0
.LBB94_631:
	s_andn2_b64 vcc, exec, s[10:11]
	s_cbranch_vccnz .LBB94_633
; %bb.632:
	v_cndmask_b32_e64 v3, 0, 1.0, s[2:3]
	v_cvt_f16_f32_e32 v3, v3
	global_store_dword v[0:1], v3, off
.LBB94_633:
	s_mov_b64 s[10:11], 0
.LBB94_634:
	s_andn2_b64 vcc, exec, s[10:11]
	s_cbranch_vccnz .LBB94_643
; %bb.635:
	v_cmp_gt_i16_e32 vcc, 6, v8
	s_mov_b64 s[10:11], -1
	s_cbranch_vccnz .LBB94_641
; %bb.636:
	v_cmp_lt_i16_e32 vcc, 6, v8
	s_cbranch_vccz .LBB94_638
; %bb.637:
	v_cndmask_b32_e64 v3, 0, 1, s[2:3]
	v_cvt_f64_u32_e32 v[4:5], v3
	global_store_dwordx2 v[0:1], v[4:5], off
	s_mov_b64 s[10:11], 0
.LBB94_638:
	s_andn2_b64 vcc, exec, s[10:11]
	s_cbranch_vccnz .LBB94_640
; %bb.639:
	v_cndmask_b32_e64 v3, 0, 1.0, s[2:3]
	global_store_dword v[0:1], v3, off
.LBB94_640:
	s_mov_b64 s[10:11], 0
.LBB94_641:
	s_andn2_b64 vcc, exec, s[10:11]
	s_cbranch_vccnz .LBB94_643
; %bb.642:
	v_cndmask_b32_e64 v3, 0, 1.0, s[2:3]
	v_cvt_f16_f32_e32 v3, v3
	global_store_short v[0:1], v3, off
.LBB94_643:
	s_mov_b64 s[10:11], 0
.LBB94_644:
	s_andn2_b64 vcc, exec, s[10:11]
	s_cbranch_vccnz .LBB94_660
; %bb.645:
	v_cmp_gt_i16_e32 vcc, 2, v8
	s_mov_b64 s[10:11], -1
	s_cbranch_vccnz .LBB94_655
; %bb.646:
	v_cmp_gt_i16_e32 vcc, 3, v8
	s_cbranch_vccnz .LBB94_652
; %bb.647:
	v_cmp_lt_i16_e32 vcc, 3, v8
	s_cbranch_vccz .LBB94_649
; %bb.648:
	s_and_b32 s10, s23, 0xff
	v_mov_b32_e32 v4, s10
	v_mov_b32_e32 v5, 0
	global_store_dwordx2 v[0:1], v[4:5], off
	s_mov_b64 s[10:11], 0
.LBB94_649:
	s_andn2_b64 vcc, exec, s[10:11]
	s_cbranch_vccnz .LBB94_651
; %bb.650:
	s_and_b32 s10, s23, 0xff
	v_mov_b32_e32 v3, s10
	global_store_dword v[0:1], v3, off
.LBB94_651:
	s_mov_b64 s[10:11], 0
.LBB94_652:
	s_andn2_b64 vcc, exec, s[10:11]
	s_cbranch_vccnz .LBB94_654
; %bb.653:
	v_mov_b32_e32 v3, 0xff
	v_and_b32_e32 v3, s23, v3
	global_store_short v[0:1], v3, off
.LBB94_654:
	s_mov_b64 s[10:11], 0
.LBB94_655:
	s_andn2_b64 vcc, exec, s[10:11]
	s_cbranch_vccnz .LBB94_660
; %bb.656:
	v_cmp_lt_i16_e32 vcc, 0, v8
	s_mov_b64 s[10:11], -1
	s_cbranch_vccz .LBB94_658
; %bb.657:
	v_mov_b32_e32 v3, s23
	global_store_byte v[0:1], v3, off
	s_mov_b64 s[10:11], 0
.LBB94_658:
	s_andn2_b64 vcc, exec, s[10:11]
	s_cbranch_vccnz .LBB94_660
; %bb.659:
	v_mov_b32_e32 v3, s23
	global_store_byte v[0:1], v3, off
.LBB94_660:
.LBB94_661:
	v_add_u32_e32 v2, s18, v2
	v_ashrrev_i32_e32 v1, 31, v2
	v_mov_b32_e32 v3, s21
	v_add_co_u32_e32 v0, vcc, s20, v2
	v_addc_co_u32_e32 v1, vcc, v3, v1, vcc
	s_and_b64 vcc, exec, s[0:1]
	s_cbranch_vccnz .LBB94_689
; %bb.662:
	v_cmp_lt_i16_e32 vcc, 25, v8
	s_mov_b64 s[16:17], -1
	s_mov_b64 s[12:13], 0
	s_mov_b64 s[14:15], 0
	;; [unrolled: 1-line block ×3, first 2 shown]
	s_cbranch_vccz .LBB94_730
; %bb.663:
	v_cmp_lt_i16_e32 vcc, 28, v8
	s_cbranch_vccz .LBB94_678
; %bb.664:
	v_cmp_lt_i16_e32 vcc, 43, v8
	;; [unrolled: 3-line block ×3, first 2 shown]
	s_cbranch_vccz .LBB94_668
; %bb.666:
	v_cmp_eq_u16_e32 vcc, 46, v8
	s_mov_b64 s[10:11], -1
	s_mov_b64 s[16:17], 0
	s_cbranch_vccz .LBB94_668
; %bb.667:
	v_cndmask_b32_e64 v3, 0, 1.0, s[2:3]
	v_bfe_u32 v4, v3, 16, 1
	v_add_u32_e32 v3, v3, v4
	v_add_u32_e32 v3, 0x7fff, v3
	v_lshrrev_b32_e32 v3, 16, v3
	global_store_dword v[0:1], v3, off
	s_mov_b64 s[10:11], 0
	s_mov_b64 s[14:15], -1
.LBB94_668:
	s_and_b64 vcc, exec, s[16:17]
	s_cbranch_vccz .LBB94_673
; %bb.669:
	v_cmp_eq_u16_e32 vcc, 44, v8
	s_mov_b64 s[10:11], -1
	s_cbranch_vccz .LBB94_673
; %bb.670:
	v_cndmask_b32_e64 v3, 0, 1.0, s[2:3]
	v_readfirstlane_b32 s11, v3
	s_lshr_b32 s10, s11, 23
	s_cmpk_eq_i32 s10, 0xff
	v_mov_b32_e32 v3, 0xff
	s_cbranch_scc1 .LBB94_672
; %bb.671:
	s_bitcmp1_b32 s11, 22
	s_cselect_b64 s[14:15], -1, 0
	s_and_b32 s11, s11, 0x3fffff
	s_or_b32 s11, s10, s11
	s_cmp_lg_u32 s11, 0
	s_cselect_b64 s[16:17], -1, 0
	s_and_b64 s[14:15], s[14:15], s[16:17]
	v_cndmask_b32_e64 v3, 0, 1, s[14:15]
	v_add_u32_e32 v3, s10, v3
.LBB94_672:
	s_mov_b64 s[10:11], 0
	s_mov_b64 s[14:15], -1
	global_store_byte v[0:1], v3, off
.LBB94_673:
	s_mov_b64 s[16:17], 0
.LBB94_674:
	s_and_b64 vcc, exec, s[16:17]
	s_cbranch_vccz .LBB94_677
; %bb.675:
	v_cmp_eq_u16_e32 vcc, 29, v8
	s_mov_b64 s[10:11], -1
	s_cbranch_vccz .LBB94_677
; %bb.676:
	s_and_b32 s10, s23, 0xff
	v_mov_b32_e32 v4, s10
	v_mov_b32_e32 v5, 0
	global_store_dwordx2 v[0:1], v[4:5], off
	s_mov_b64 s[10:11], 0
	s_mov_b64 s[14:15], -1
.LBB94_677:
	s_mov_b64 s[16:17], 0
.LBB94_678:
	s_and_b64 vcc, exec, s[16:17]
	s_cbranch_vccz .LBB94_729
; %bb.679:
	v_cmp_gt_i16_e32 vcc, 27, v8
	s_mov_b64 s[14:15], -1
	s_cbranch_vccnz .LBB94_685
; %bb.680:
	v_cmp_lt_i16_e32 vcc, 27, v8
	s_cbranch_vccz .LBB94_682
; %bb.681:
	s_and_b32 s14, s23, 0xff
	v_mov_b32_e32 v3, s14
	s_mov_b64 s[14:15], 0
	global_store_dword v[0:1], v3, off
.LBB94_682:
	s_andn2_b64 vcc, exec, s[14:15]
	s_cbranch_vccnz .LBB94_684
; %bb.683:
	v_mov_b32_e32 v3, 0xff
	v_and_b32_e32 v3, s23, v3
	global_store_short v[0:1], v3, off
.LBB94_684:
	s_mov_b64 s[14:15], 0
.LBB94_685:
	s_andn2_b64 vcc, exec, s[14:15]
	s_cbranch_vccnz .LBB94_728
; %bb.686:
	v_cndmask_b32_e64 v3, 0, 1.0, s[2:3]
	s_mov_b32 s15, 0x437fffff
	v_cmp_lt_u32_e32 vcc, s15, v3
	v_readfirstlane_b32 s14, v3
	v_mov_b32_e32 v5, 0x80
	s_cbranch_vccnz .LBB94_727
; %bb.687:
	s_cmp_gt_u32 s14, 0x3bffffff
	s_cbranch_scc0 .LBB94_722
; %bb.688:
	s_bfe_u32 s15, s14, 0x10014
	s_add_i32 s14, s14, s15
	s_add_i32 s14, s14, 0x487ffff
	s_lshr_b32 s19, s14, 20
	s_mov_b64 s[16:17], 0
	s_mov_b64 s[14:15], -1
	s_branch .LBB94_723
.LBB94_689:
	s_mov_b64 s[14:15], 0
	s_cbranch_execnz .LBB94_794
.LBB94_690:
	s_andn2_b64 vcc, exec, s[14:15]
	s_cbranch_vccnz .LBB94_832
.LBB94_691:
	v_add_u32_e32 v0, s18, v2
	v_ashrrev_i32_e32 v1, 31, v0
	v_mov_b32_e32 v2, s21
	v_add_co_u32_e32 v0, vcc, s20, v0
	v_addc_co_u32_e32 v1, vcc, v2, v1, vcc
	s_and_b64 vcc, exec, s[0:1]
	s_cbranch_vccnz .LBB94_720
; %bb.692:
	v_cmp_lt_i16_e32 vcc, 25, v8
	s_mov_b64 s[12:13], -1
	s_mov_b64 s[10:11], 0
	s_mov_b64 s[0:1], 0
	s_cbranch_vccz .LBB94_744
; %bb.693:
	v_cmp_lt_i16_e32 vcc, 28, v8
	s_cbranch_vccz .LBB94_709
; %bb.694:
	v_cmp_lt_i16_e32 vcc, 43, v8
	s_cbranch_vccz .LBB94_705
; %bb.695:
	v_cmp_lt_i16_e32 vcc, 45, v8
	s_cbranch_vccz .LBB94_699
; %bb.696:
	v_cmp_eq_u16_e32 vcc, 46, v8
	s_mov_b64 s[0:1], -1
	s_cbranch_vccz .LBB94_698
; %bb.697:
	v_cndmask_b32_e64 v2, 0, 1.0, s[2:3]
	v_bfe_u32 v3, v2, 16, 1
	v_add_u32_e32 v2, v2, v3
	v_add_u32_e32 v2, 0x7fff, v2
	v_lshrrev_b32_e32 v2, 16, v2
	global_store_dword v[0:1], v2, off
	s_mov_b64 s[0:1], 0
.LBB94_698:
	s_mov_b64 s[12:13], 0
.LBB94_699:
	s_and_b64 vcc, exec, s[12:13]
	s_cbranch_vccz .LBB94_704
; %bb.700:
	v_cmp_eq_u16_e32 vcc, 44, v8
	s_mov_b64 s[0:1], -1
	s_cbranch_vccz .LBB94_704
; %bb.701:
	v_cndmask_b32_e64 v2, 0, 1.0, s[2:3]
	v_readfirstlane_b32 s1, v2
	s_lshr_b32 s0, s1, 23
	s_cmpk_eq_i32 s0, 0xff
	v_mov_b32_e32 v2, 0xff
	s_cbranch_scc1 .LBB94_703
; %bb.702:
	s_bitcmp1_b32 s1, 22
	s_cselect_b64 s[12:13], -1, 0
	s_and_b32 s1, s1, 0x3fffff
	s_or_b32 s1, s0, s1
	s_cmp_lg_u32 s1, 0
	s_cselect_b64 s[14:15], -1, 0
	s_and_b64 s[12:13], s[12:13], s[14:15]
	v_cndmask_b32_e64 v2, 0, 1, s[12:13]
	v_add_u32_e32 v2, s0, v2
.LBB94_703:
	s_mov_b64 s[0:1], 0
	global_store_byte v[0:1], v2, off
.LBB94_704:
	s_mov_b64 s[12:13], 0
.LBB94_705:
	s_and_b64 vcc, exec, s[12:13]
	s_cbranch_vccz .LBB94_708
; %bb.706:
	v_cmp_eq_u16_e32 vcc, 29, v8
	s_mov_b64 s[0:1], -1
	s_cbranch_vccz .LBB94_708
; %bb.707:
	s_and_b32 s0, s23, 0xff
	v_mov_b32_e32 v2, s0
	v_mov_b32_e32 v3, 0
	global_store_dwordx2 v[0:1], v[2:3], off
	s_mov_b64 s[0:1], 0
.LBB94_708:
	s_mov_b64 s[12:13], 0
.LBB94_709:
	s_and_b64 vcc, exec, s[12:13]
	s_cbranch_vccz .LBB94_743
; %bb.710:
	v_cmp_gt_i16_e32 vcc, 27, v8
	s_mov_b64 s[12:13], -1
	s_cbranch_vccnz .LBB94_716
; %bb.711:
	v_cmp_lt_i16_e32 vcc, 27, v8
	s_cbranch_vccz .LBB94_713
; %bb.712:
	s_and_b32 s12, s23, 0xff
	v_mov_b32_e32 v2, s12
	global_store_dword v[0:1], v2, off
	s_mov_b64 s[12:13], 0
.LBB94_713:
	s_andn2_b64 vcc, exec, s[12:13]
	s_cbranch_vccnz .LBB94_715
; %bb.714:
	v_mov_b32_e32 v2, 0xff
	v_and_b32_e32 v2, s23, v2
	global_store_short v[0:1], v2, off
.LBB94_715:
	s_mov_b64 s[12:13], 0
.LBB94_716:
	s_andn2_b64 vcc, exec, s[12:13]
	s_cbranch_vccnz .LBB94_743
; %bb.717:
	v_cndmask_b32_e64 v2, 0, 1.0, s[2:3]
	s_mov_b32 s13, 0x437fffff
	v_cmp_lt_u32_e32 vcc, s13, v2
	v_readfirstlane_b32 s12, v2
	v_mov_b32_e32 v4, 0x80
	s_cbranch_vccnz .LBB94_742
; %bb.718:
	s_cmp_gt_u32 s12, 0x3bffffff
	s_cbranch_scc0 .LBB94_737
; %bb.719:
	s_bfe_u32 s13, s12, 0x10014
	s_add_i32 s12, s12, s13
	s_add_i32 s12, s12, 0x487ffff
	s_lshr_b32 s16, s12, 20
	s_mov_b64 s[14:15], 0
	s_mov_b64 s[12:13], -1
	s_branch .LBB94_738
.LBB94_720:
	s_mov_b64 s[10:11], 0
	s_mov_b64 s[0:1], -1
	s_branch .LBB94_833
.LBB94_721:
	s_trap 2
	s_or_b64 s[8:9], s[8:9], exec
	s_cbranch_execz .LBB94_621
	s_branch .LBB94_622
.LBB94_722:
	s_mov_b64 s[16:17], -1
	s_mov_b64 s[14:15], 0
                                        ; implicit-def: $sgpr19
.LBB94_723:
	s_andn2_b64 vcc, exec, s[16:17]
	v_mov_b32_e32 v4, s19
                                        ; implicit-def: $sgpr16
	s_cbranch_vccnz .LBB94_725
; %bb.724:
	v_add_f32_e32 v3, 0x46000000, v3
	v_and_b32_e32 v4, 0xff, v3
	s_mov_b32 s16, 0
	v_cmp_ne_u32_e64 s[14:15], 0, v4
.LBB94_725:
	s_andn2_b64 vcc, exec, s[14:15]
	v_mov_b32_e32 v5, s16
	s_cbranch_vccnz .LBB94_727
; %bb.726:
	v_mov_b32_e32 v5, v4
.LBB94_727:
	global_store_byte v[0:1], v5, off
.LBB94_728:
	s_mov_b64 s[14:15], -1
.LBB94_729:
	s_mov_b64 s[16:17], 0
.LBB94_730:
	s_and_b64 vcc, exec, s[16:17]
	s_cbranch_vccz .LBB94_790
; %bb.731:
	v_cmp_lt_i16_e32 vcc, 22, v8
	s_mov_b64 s[12:13], -1
	s_cbranch_vccz .LBB94_783
; %bb.732:
	v_cmp_gt_i16_e32 vcc, 24, v8
	s_cbranch_vccnz .LBB94_770
; %bb.733:
	v_cmp_lt_i16_e32 vcc, 24, v8
	s_cbranch_vccz .LBB94_757
; %bb.734:
	v_cndmask_b32_e64 v3, 0, 1.0, s[2:3]
	s_mov_b32 s13, 0x477fffff
	v_cmp_lt_u32_e32 vcc, s13, v3
	v_readfirstlane_b32 s12, v3
	v_mov_b32_e32 v5, 0x80
	s_cbranch_vccnz .LBB94_756
; %bb.735:
	s_cmp_gt_u32 s12, 0x37ffffff
	s_cbranch_scc0 .LBB94_751
; %bb.736:
	s_bfe_u32 s13, s12, 0x10015
	s_add_i32 s12, s12, s13
	s_add_i32 s12, s12, 0x88fffff
	s_lshr_b32 s16, s12, 21
	s_mov_b64 s[14:15], 0
	s_mov_b64 s[12:13], -1
	s_branch .LBB94_752
.LBB94_737:
	s_mov_b64 s[14:15], -1
	s_mov_b64 s[12:13], 0
                                        ; implicit-def: $sgpr16
.LBB94_738:
	s_andn2_b64 vcc, exec, s[14:15]
	v_mov_b32_e32 v3, s16
                                        ; implicit-def: $sgpr14
	s_cbranch_vccnz .LBB94_740
; %bb.739:
	v_add_f32_e32 v2, 0x46000000, v2
	v_and_b32_e32 v3, 0xff, v2
	s_mov_b32 s14, 0
	v_cmp_ne_u32_e64 s[12:13], 0, v3
.LBB94_740:
	s_andn2_b64 vcc, exec, s[12:13]
	v_mov_b32_e32 v4, s14
	s_cbranch_vccnz .LBB94_742
; %bb.741:
	v_mov_b32_e32 v4, v3
.LBB94_742:
	global_store_byte v[0:1], v4, off
.LBB94_743:
	s_mov_b64 s[12:13], 0
.LBB94_744:
	s_and_b64 vcc, exec, s[12:13]
	s_cbranch_vccz .LBB94_914
; %bb.745:
	v_cmp_lt_i16_e32 vcc, 22, v8
	s_mov_b64 s[10:11], -1
	s_cbranch_vccz .LBB94_907
; %bb.746:
	v_cmp_gt_i16_e32 vcc, 24, v8
	s_cbranch_vccnz .LBB94_894
; %bb.747:
	v_cmp_lt_i16_e32 vcc, 24, v8
	s_cbranch_vccz .LBB94_881
; %bb.748:
	v_cndmask_b32_e64 v2, 0, 1.0, s[2:3]
	s_mov_b32 s11, 0x477fffff
	v_cmp_lt_u32_e32 vcc, s11, v2
	v_readfirstlane_b32 s10, v2
	v_mov_b32_e32 v4, 0x80
	s_cbranch_vccnz .LBB94_880
; %bb.749:
	s_cmp_gt_u32 s10, 0x37ffffff
	s_cbranch_scc0 .LBB94_875
; %bb.750:
	s_bfe_u32 s11, s10, 0x10015
	s_add_i32 s10, s10, s11
	s_add_i32 s10, s10, 0x88fffff
	s_lshr_b32 s14, s10, 21
	s_mov_b64 s[12:13], 0
	s_mov_b64 s[10:11], -1
	s_branch .LBB94_876
.LBB94_751:
	s_mov_b64 s[14:15], -1
	s_mov_b64 s[12:13], 0
                                        ; implicit-def: $sgpr16
.LBB94_752:
	s_andn2_b64 vcc, exec, s[14:15]
	v_mov_b32_e32 v4, s16
                                        ; implicit-def: $sgpr14
	s_cbranch_vccnz .LBB94_754
; %bb.753:
	v_add_f32_e32 v3, 0x42800000, v3
	v_and_b32_e32 v4, 0xff, v3
	s_mov_b32 s14, 0
	v_cmp_ne_u32_e64 s[12:13], 0, v4
.LBB94_754:
	s_andn2_b64 vcc, exec, s[12:13]
	v_mov_b32_e32 v5, s14
	s_cbranch_vccnz .LBB94_756
; %bb.755:
	v_mov_b32_e32 v5, v4
.LBB94_756:
	s_mov_b64 s[12:13], 0
	global_store_byte v[0:1], v5, off
.LBB94_757:
	s_and_b64 vcc, exec, s[12:13]
	s_cbranch_vccz .LBB94_769
; %bb.758:
	v_cndmask_b32_e64 v3, 0, 1.0, s[2:3]
	s_mov_b32 s12, 0x43f00000
	v_cmp_gt_u32_e32 vcc, s12, v3
	v_readfirstlane_b32 s14, v3
	s_cbranch_vccz .LBB94_761
; %bb.759:
	s_cmp_gt_u32 s14, 0x3c7fffff
	s_cbranch_scc0 .LBB94_762
; %bb.760:
	s_bfe_u32 s12, s14, 0x10014
	s_add_i32 s12, s14, s12
	s_add_i32 s12, s12, 0x407ffff
	s_lshr_b32 s13, s12, 20
	s_and_b32 s12, s12, 0xff00000
	s_cmp_lg_u32 s12, 0x7f00000
	s_cselect_b32 s15, s13, 0x7e
	s_mov_b64 s[12:13], 0
	s_branch .LBB94_763
.LBB94_761:
	s_mov_b64 s[12:13], -1
                                        ; implicit-def: $vgpr4
	s_branch .LBB94_766
.LBB94_762:
	s_mov_b64 s[12:13], -1
                                        ; implicit-def: $sgpr15
.LBB94_763:
	s_andn2_b64 vcc, exec, s[12:13]
	v_mov_b32_e32 v4, s15
	s_cbranch_vccnz .LBB94_765
; %bb.764:
	v_add_f32_e32 v4, 0x46800000, v3
.LBB94_765:
	s_mov_b64 s[12:13], 0
.LBB94_766:
	s_andn2_b64 vcc, exec, s[12:13]
	s_cbranch_vccnz .LBB94_768
; %bb.767:
	s_cmp_gt_u32 s14, 0x7f800000
	s_movk_i32 s12, 0x7f
	s_cselect_b32 s12, s12, 0x7e
	v_mov_b32_e32 v4, s12
.LBB94_768:
	global_store_byte v[0:1], v4, off
.LBB94_769:
	s_mov_b64 s[12:13], 0
.LBB94_770:
	s_andn2_b64 vcc, exec, s[12:13]
	s_cbranch_vccnz .LBB94_782
; %bb.771:
	v_cndmask_b32_e64 v3, 0, 1.0, s[2:3]
	s_mov_b32 s12, 0x47800000
	v_cmp_gt_u32_e32 vcc, s12, v3
	v_readfirstlane_b32 s14, v3
	s_cbranch_vccz .LBB94_774
; %bb.772:
	s_cmp_gt_u32 s14, 0x387fffff
	s_cbranch_scc0 .LBB94_775
; %bb.773:
	s_bfe_u32 s12, s14, 0x10015
	s_add_i32 s12, s14, s12
	s_add_i32 s12, s12, 0x80fffff
	s_lshr_b32 s15, s12, 21
	s_mov_b64 s[12:13], 0
	s_branch .LBB94_776
.LBB94_774:
	s_mov_b64 s[12:13], -1
                                        ; implicit-def: $vgpr4
	s_branch .LBB94_779
.LBB94_775:
	s_mov_b64 s[12:13], -1
                                        ; implicit-def: $sgpr15
.LBB94_776:
	s_andn2_b64 vcc, exec, s[12:13]
	v_mov_b32_e32 v4, s15
	s_cbranch_vccnz .LBB94_778
; %bb.777:
	v_add_f32_e32 v4, 0x43000000, v3
.LBB94_778:
	s_mov_b64 s[12:13], 0
.LBB94_779:
	s_andn2_b64 vcc, exec, s[12:13]
	s_cbranch_vccnz .LBB94_781
; %bb.780:
	s_cmp_gt_u32 s14, 0x7f800000
	s_movk_i32 s12, 0x7f
	s_cselect_b32 s12, s12, 0x7c
	v_mov_b32_e32 v4, s12
.LBB94_781:
	global_store_byte v[0:1], v4, off
.LBB94_782:
	s_mov_b64 s[12:13], 0
	s_mov_b64 s[14:15], -1
.LBB94_783:
	s_andn2_b64 vcc, exec, s[12:13]
	s_mov_b64 s[12:13], 0
	s_cbranch_vccnz .LBB94_790
; %bb.784:
	v_cmp_lt_i16_e32 vcc, 14, v8
	s_mov_b64 s[16:17], -1
	s_cbranch_vccz .LBB94_788
; %bb.785:
	v_cmp_eq_u16_e32 vcc, 15, v8
	s_mov_b64 s[10:11], -1
	s_cbranch_vccz .LBB94_787
; %bb.786:
	v_cndmask_b32_e64 v3, 0, 1.0, s[2:3]
	v_bfe_u32 v4, v3, 16, 1
	v_add_u32_e32 v3, v3, v4
	v_add_u32_e32 v3, 0x7fff, v3
	global_store_short_d16_hi v[0:1], v3, off
	s_mov_b64 s[10:11], 0
	s_mov_b64 s[14:15], -1
.LBB94_787:
	s_mov_b64 s[16:17], 0
.LBB94_788:
	s_and_b64 vcc, exec, s[16:17]
	s_cbranch_vccz .LBB94_790
; %bb.789:
	v_cmp_ne_u16_e64 s[10:11], 11, v8
	s_mov_b64 s[12:13], -1
.LBB94_790:
	s_and_b64 vcc, exec, s[10:11]
	s_cbranch_vccnz .LBB94_874
; %bb.791:
	s_andn2_b64 vcc, exec, s[12:13]
	s_cbranch_vccnz .LBB94_793
.LBB94_792:
	v_mov_b32_e32 v3, s23
	s_mov_b64 s[14:15], -1
	global_store_byte v[0:1], v3, off
.LBB94_793:
	s_branch .LBB94_690
.LBB94_794:
	v_cmp_gt_i16_e32 vcc, 5, v8
	s_mov_b64 s[10:11], -1
	s_cbranch_vccnz .LBB94_815
; %bb.795:
	v_cmp_gt_i16_e32 vcc, 8, v8
	s_cbranch_vccnz .LBB94_805
; %bb.796:
	v_cmp_gt_i16_e32 vcc, 9, v8
	s_cbranch_vccnz .LBB94_802
; %bb.797:
	v_cmp_lt_i16_e32 vcc, 9, v8
	s_cbranch_vccz .LBB94_799
; %bb.798:
	v_cndmask_b32_e64 v3, 0, 1, s[2:3]
	v_mov_b32_e32 v6, 0
	v_cvt_f64_u32_e32 v[4:5], v3
	v_mov_b32_e32 v7, v6
	global_store_dwordx4 v[0:1], v[4:7], off
	s_mov_b64 s[10:11], 0
.LBB94_799:
	s_andn2_b64 vcc, exec, s[10:11]
	s_cbranch_vccnz .LBB94_801
; %bb.800:
	v_cndmask_b32_e64 v4, 0, 1.0, s[2:3]
	v_mov_b32_e32 v5, 0
	global_store_dwordx2 v[0:1], v[4:5], off
.LBB94_801:
	s_mov_b64 s[10:11], 0
.LBB94_802:
	s_andn2_b64 vcc, exec, s[10:11]
	s_cbranch_vccnz .LBB94_804
; %bb.803:
	v_cndmask_b32_e64 v3, 0, 1.0, s[2:3]
	v_cvt_f16_f32_e32 v3, v3
	global_store_dword v[0:1], v3, off
.LBB94_804:
	s_mov_b64 s[10:11], 0
.LBB94_805:
	s_andn2_b64 vcc, exec, s[10:11]
	s_cbranch_vccnz .LBB94_814
; %bb.806:
	v_cmp_gt_i16_e32 vcc, 6, v8
	s_mov_b64 s[10:11], -1
	s_cbranch_vccnz .LBB94_812
; %bb.807:
	v_cmp_lt_i16_e32 vcc, 6, v8
	s_cbranch_vccz .LBB94_809
; %bb.808:
	v_cndmask_b32_e64 v3, 0, 1, s[2:3]
	v_cvt_f64_u32_e32 v[4:5], v3
	global_store_dwordx2 v[0:1], v[4:5], off
	s_mov_b64 s[10:11], 0
.LBB94_809:
	s_andn2_b64 vcc, exec, s[10:11]
	s_cbranch_vccnz .LBB94_811
; %bb.810:
	v_cndmask_b32_e64 v3, 0, 1.0, s[2:3]
	global_store_dword v[0:1], v3, off
.LBB94_811:
	s_mov_b64 s[10:11], 0
.LBB94_812:
	s_andn2_b64 vcc, exec, s[10:11]
	s_cbranch_vccnz .LBB94_814
; %bb.813:
	v_cndmask_b32_e64 v3, 0, 1.0, s[2:3]
	v_cvt_f16_f32_e32 v3, v3
	global_store_short v[0:1], v3, off
.LBB94_814:
	s_mov_b64 s[10:11], 0
.LBB94_815:
	s_andn2_b64 vcc, exec, s[10:11]
	s_cbranch_vccnz .LBB94_831
; %bb.816:
	v_cmp_gt_i16_e32 vcc, 2, v8
	s_mov_b64 s[10:11], -1
	s_cbranch_vccnz .LBB94_826
; %bb.817:
	v_cmp_gt_i16_e32 vcc, 3, v8
	s_cbranch_vccnz .LBB94_823
; %bb.818:
	v_cmp_lt_i16_e32 vcc, 3, v8
	s_cbranch_vccz .LBB94_820
; %bb.819:
	s_and_b32 s10, s23, 0xff
	v_mov_b32_e32 v4, s10
	v_mov_b32_e32 v5, 0
	global_store_dwordx2 v[0:1], v[4:5], off
	s_mov_b64 s[10:11], 0
.LBB94_820:
	s_andn2_b64 vcc, exec, s[10:11]
	s_cbranch_vccnz .LBB94_822
; %bb.821:
	s_and_b32 s10, s23, 0xff
	v_mov_b32_e32 v3, s10
	global_store_dword v[0:1], v3, off
.LBB94_822:
	s_mov_b64 s[10:11], 0
.LBB94_823:
	s_andn2_b64 vcc, exec, s[10:11]
	s_cbranch_vccnz .LBB94_825
; %bb.824:
	v_mov_b32_e32 v3, 0xff
	v_and_b32_e32 v3, s23, v3
	global_store_short v[0:1], v3, off
.LBB94_825:
	s_mov_b64 s[10:11], 0
.LBB94_826:
	s_andn2_b64 vcc, exec, s[10:11]
	s_cbranch_vccnz .LBB94_831
; %bb.827:
	v_cmp_lt_i16_e32 vcc, 0, v8
	s_mov_b64 s[10:11], -1
	s_cbranch_vccz .LBB94_829
; %bb.828:
	v_mov_b32_e32 v3, s23
	global_store_byte v[0:1], v3, off
	s_mov_b64 s[10:11], 0
.LBB94_829:
	s_andn2_b64 vcc, exec, s[10:11]
	s_cbranch_vccnz .LBB94_831
; %bb.830:
	v_mov_b32_e32 v3, s23
	global_store_byte v[0:1], v3, off
.LBB94_831:
	s_branch .LBB94_691
.LBB94_832:
	s_mov_b64 s[0:1], 0
	s_mov_b64 s[10:11], 0
                                        ; implicit-def: $vgpr8
                                        ; implicit-def: $vgpr0_vgpr1
.LBB94_833:
	s_andn2_b64 s[4:5], s[4:5], exec
	s_and_b64 s[8:9], s[8:9], exec
	s_and_b64 s[0:1], s[0:1], exec
	;; [unrolled: 1-line block ×3, first 2 shown]
	s_or_b64 s[4:5], s[4:5], s[8:9]
	s_or_b64 exec, exec, s[6:7]
	s_and_saveexec_b64 s[6:7], s[4:5]
	s_cbranch_execnz .LBB94_434
.LBB94_834:
	s_or_b64 exec, exec, s[6:7]
	s_and_saveexec_b64 s[4:5], s[18:19]
	s_xor_b64 s[4:5], exec, s[4:5]
	s_cbranch_execz .LBB94_435
.LBB94_835:
	v_mov_b32_e32 v2, s23
	global_store_byte v[0:1], v2, off
	s_or_b64 exec, exec, s[4:5]
	s_and_saveexec_b64 s[4:5], s[0:1]
	s_cbranch_execz .LBB94_873
.LBB94_836:
	v_cmp_gt_i16_e32 vcc, 5, v8
	s_mov_b64 s[0:1], -1
	s_cbranch_vccnz .LBB94_857
; %bb.837:
	v_cmp_gt_i16_e32 vcc, 8, v8
	s_cbranch_vccnz .LBB94_847
; %bb.838:
	v_cmp_gt_i16_e32 vcc, 9, v8
	s_cbranch_vccnz .LBB94_844
; %bb.839:
	v_cmp_lt_i16_e32 vcc, 9, v8
	s_cbranch_vccz .LBB94_841
; %bb.840:
	v_cndmask_b32_e64 v2, 0, 1, s[2:3]
	v_mov_b32_e32 v4, 0
	v_cvt_f64_u32_e32 v[2:3], v2
	v_mov_b32_e32 v5, v4
	global_store_dwordx4 v[0:1], v[2:5], off
	s_mov_b64 s[0:1], 0
.LBB94_841:
	s_andn2_b64 vcc, exec, s[0:1]
	s_cbranch_vccnz .LBB94_843
; %bb.842:
	v_cndmask_b32_e64 v2, 0, 1.0, s[2:3]
	v_mov_b32_e32 v3, 0
	global_store_dwordx2 v[0:1], v[2:3], off
.LBB94_843:
	s_mov_b64 s[0:1], 0
.LBB94_844:
	s_andn2_b64 vcc, exec, s[0:1]
	s_cbranch_vccnz .LBB94_846
; %bb.845:
	v_cndmask_b32_e64 v2, 0, 1.0, s[2:3]
	v_cvt_f16_f32_e32 v2, v2
	global_store_dword v[0:1], v2, off
.LBB94_846:
	s_mov_b64 s[0:1], 0
.LBB94_847:
	s_andn2_b64 vcc, exec, s[0:1]
	s_cbranch_vccnz .LBB94_856
; %bb.848:
	v_cmp_gt_i16_e32 vcc, 6, v8
	s_mov_b64 s[0:1], -1
	s_cbranch_vccnz .LBB94_854
; %bb.849:
	v_cmp_lt_i16_e32 vcc, 6, v8
	s_cbranch_vccz .LBB94_851
; %bb.850:
	v_cndmask_b32_e64 v2, 0, 1, s[2:3]
	v_cvt_f64_u32_e32 v[2:3], v2
	global_store_dwordx2 v[0:1], v[2:3], off
	s_mov_b64 s[0:1], 0
.LBB94_851:
	s_andn2_b64 vcc, exec, s[0:1]
	s_cbranch_vccnz .LBB94_853
; %bb.852:
	v_cndmask_b32_e64 v2, 0, 1.0, s[2:3]
	global_store_dword v[0:1], v2, off
.LBB94_853:
	s_mov_b64 s[0:1], 0
.LBB94_854:
	s_andn2_b64 vcc, exec, s[0:1]
	s_cbranch_vccnz .LBB94_856
; %bb.855:
	v_cndmask_b32_e64 v2, 0, 1.0, s[2:3]
	v_cvt_f16_f32_e32 v2, v2
	global_store_short v[0:1], v2, off
.LBB94_856:
	s_mov_b64 s[0:1], 0
.LBB94_857:
	s_andn2_b64 vcc, exec, s[0:1]
	s_cbranch_vccnz .LBB94_873
; %bb.858:
	v_cmp_gt_i16_e32 vcc, 2, v8
	s_mov_b64 s[0:1], -1
	s_cbranch_vccnz .LBB94_868
; %bb.859:
	v_cmp_gt_i16_e32 vcc, 3, v8
	s_cbranch_vccnz .LBB94_865
; %bb.860:
	v_cmp_lt_i16_e32 vcc, 3, v8
	s_cbranch_vccz .LBB94_862
; %bb.861:
	s_and_b32 s0, s23, 0xff
	v_mov_b32_e32 v2, s0
	v_mov_b32_e32 v3, 0
	global_store_dwordx2 v[0:1], v[2:3], off
	s_mov_b64 s[0:1], 0
.LBB94_862:
	s_andn2_b64 vcc, exec, s[0:1]
	s_cbranch_vccnz .LBB94_864
; %bb.863:
	s_and_b32 s0, s23, 0xff
	v_mov_b32_e32 v2, s0
	global_store_dword v[0:1], v2, off
.LBB94_864:
	s_mov_b64 s[0:1], 0
.LBB94_865:
	s_andn2_b64 vcc, exec, s[0:1]
	s_cbranch_vccnz .LBB94_867
; %bb.866:
	v_mov_b32_e32 v2, 0xff
	v_and_b32_e32 v2, s23, v2
	global_store_short v[0:1], v2, off
.LBB94_867:
	s_mov_b64 s[0:1], 0
.LBB94_868:
	s_andn2_b64 vcc, exec, s[0:1]
	s_cbranch_vccnz .LBB94_873
; %bb.869:
	v_cmp_lt_i16_e32 vcc, 0, v8
	s_mov_b64 s[0:1], -1
	s_cbranch_vccz .LBB94_871
; %bb.870:
	v_mov_b32_e32 v2, s23
	global_store_byte v[0:1], v2, off
	s_mov_b64 s[0:1], 0
.LBB94_871:
	s_andn2_b64 vcc, exec, s[0:1]
	s_cbranch_vccnz .LBB94_873
; %bb.872:
	v_mov_b32_e32 v2, s23
	global_store_byte v[0:1], v2, off
	s_endpgm
.LBB94_873:
	s_endpgm
.LBB94_874:
	s_trap 2
	s_or_b64 s[8:9], s[8:9], exec
	s_cbranch_execz .LBB94_792
	s_branch .LBB94_793
.LBB94_875:
	s_mov_b64 s[12:13], -1
	s_mov_b64 s[10:11], 0
                                        ; implicit-def: $sgpr14
.LBB94_876:
	s_andn2_b64 vcc, exec, s[12:13]
	v_mov_b32_e32 v3, s14
                                        ; implicit-def: $sgpr12
	s_cbranch_vccnz .LBB94_878
; %bb.877:
	v_add_f32_e32 v2, 0x42800000, v2
	v_and_b32_e32 v3, 0xff, v2
	s_mov_b32 s12, 0
	v_cmp_ne_u32_e64 s[10:11], 0, v3
.LBB94_878:
	s_andn2_b64 vcc, exec, s[10:11]
	v_mov_b32_e32 v4, s12
	s_cbranch_vccnz .LBB94_880
; %bb.879:
	v_mov_b32_e32 v4, v3
.LBB94_880:
	s_mov_b64 s[10:11], 0
	global_store_byte v[0:1], v4, off
.LBB94_881:
	s_and_b64 vcc, exec, s[10:11]
	s_cbranch_vccz .LBB94_893
; %bb.882:
	v_cndmask_b32_e64 v2, 0, 1.0, s[2:3]
	s_mov_b32 s10, 0x43f00000
	v_cmp_gt_u32_e32 vcc, s10, v2
	v_readfirstlane_b32 s12, v2
	s_cbranch_vccz .LBB94_885
; %bb.883:
	s_cmp_gt_u32 s12, 0x3c7fffff
	s_cbranch_scc0 .LBB94_886
; %bb.884:
	s_bfe_u32 s10, s12, 0x10014
	s_add_i32 s10, s12, s10
	s_add_i32 s10, s10, 0x407ffff
	s_lshr_b32 s11, s10, 20
	s_and_b32 s10, s10, 0xff00000
	s_cmp_lg_u32 s10, 0x7f00000
	s_cselect_b32 s13, s11, 0x7e
	s_mov_b64 s[10:11], 0
	s_branch .LBB94_887
.LBB94_885:
	s_mov_b64 s[10:11], -1
                                        ; implicit-def: $vgpr3
	s_branch .LBB94_890
.LBB94_886:
	s_mov_b64 s[10:11], -1
                                        ; implicit-def: $sgpr13
.LBB94_887:
	s_andn2_b64 vcc, exec, s[10:11]
	v_mov_b32_e32 v3, s13
	s_cbranch_vccnz .LBB94_889
; %bb.888:
	v_add_f32_e32 v3, 0x46800000, v2
.LBB94_889:
	s_mov_b64 s[10:11], 0
.LBB94_890:
	s_andn2_b64 vcc, exec, s[10:11]
	s_cbranch_vccnz .LBB94_892
; %bb.891:
	s_cmp_gt_u32 s12, 0x7f800000
	s_movk_i32 s10, 0x7f
	s_cselect_b32 s10, s10, 0x7e
	v_mov_b32_e32 v3, s10
.LBB94_892:
	global_store_byte v[0:1], v3, off
.LBB94_893:
	s_mov_b64 s[10:11], 0
.LBB94_894:
	s_andn2_b64 vcc, exec, s[10:11]
	s_cbranch_vccnz .LBB94_906
; %bb.895:
	v_cndmask_b32_e64 v2, 0, 1.0, s[2:3]
	s_mov_b32 s10, 0x47800000
	v_cmp_gt_u32_e32 vcc, s10, v2
	v_readfirstlane_b32 s12, v2
	s_cbranch_vccz .LBB94_898
; %bb.896:
	s_cmp_gt_u32 s12, 0x387fffff
	s_cbranch_scc0 .LBB94_899
; %bb.897:
	s_bfe_u32 s10, s12, 0x10015
	s_add_i32 s10, s12, s10
	s_add_i32 s10, s10, 0x80fffff
	s_lshr_b32 s13, s10, 21
	s_mov_b64 s[10:11], 0
	s_branch .LBB94_900
.LBB94_898:
	s_mov_b64 s[10:11], -1
                                        ; implicit-def: $vgpr3
	s_branch .LBB94_903
.LBB94_899:
	s_mov_b64 s[10:11], -1
                                        ; implicit-def: $sgpr13
.LBB94_900:
	s_andn2_b64 vcc, exec, s[10:11]
	v_mov_b32_e32 v3, s13
	s_cbranch_vccnz .LBB94_902
; %bb.901:
	v_add_f32_e32 v3, 0x43000000, v2
.LBB94_902:
	s_mov_b64 s[10:11], 0
.LBB94_903:
	s_andn2_b64 vcc, exec, s[10:11]
	s_cbranch_vccnz .LBB94_905
; %bb.904:
	s_cmp_gt_u32 s12, 0x7f800000
	s_movk_i32 s10, 0x7f
	s_cselect_b32 s10, s10, 0x7c
	v_mov_b32_e32 v3, s10
.LBB94_905:
	global_store_byte v[0:1], v3, off
.LBB94_906:
	s_mov_b64 s[10:11], 0
.LBB94_907:
	s_andn2_b64 vcc, exec, s[10:11]
	s_mov_b64 s[10:11], 0
	s_cbranch_vccnz .LBB94_914
; %bb.908:
	v_cmp_lt_i16_e32 vcc, 14, v8
	s_mov_b64 s[12:13], -1
	s_cbranch_vccz .LBB94_912
; %bb.909:
	v_cmp_eq_u16_e32 vcc, 15, v8
	s_mov_b64 s[0:1], -1
	s_cbranch_vccz .LBB94_911
; %bb.910:
	v_cndmask_b32_e64 v2, 0, 1.0, s[2:3]
	v_bfe_u32 v3, v2, 16, 1
	v_add_u32_e32 v2, v2, v3
	v_add_u32_e32 v2, 0x7fff, v2
	global_store_short_d16_hi v[0:1], v2, off
	s_mov_b64 s[0:1], 0
.LBB94_911:
	s_mov_b64 s[12:13], 0
.LBB94_912:
	s_and_b64 vcc, exec, s[12:13]
	s_cbranch_vccz .LBB94_914
; %bb.913:
	v_cmp_ne_u16_e64 s[0:1], 11, v8
	s_mov_b64 s[10:11], -1
.LBB94_914:
	s_and_b64 vcc, exec, s[0:1]
	s_cbranch_vccnz .LBB94_916
.LBB94_915:
	s_mov_b64 s[0:1], 0
	s_branch .LBB94_833
.LBB94_916:
	s_mov_b64 s[10:11], 0
	s_or_b64 s[8:9], s[8:9], exec
	s_trap 2
	s_branch .LBB94_915
	.section	.rodata,"a",@progbits
	.p2align	6, 0x0
	.amdhsa_kernel _ZN2at6native32elementwise_kernel_manual_unrollILi128ELi4EZNS0_15gpu_kernel_implINS0_11FillFunctorIbEEEEvRNS_18TensorIteratorBaseERKT_EUlibE_EEviT1_
		.amdhsa_group_segment_fixed_size 0
		.amdhsa_private_segment_fixed_size 0
		.amdhsa_kernarg_size 24
		.amdhsa_user_sgpr_count 6
		.amdhsa_user_sgpr_private_segment_buffer 1
		.amdhsa_user_sgpr_dispatch_ptr 0
		.amdhsa_user_sgpr_queue_ptr 0
		.amdhsa_user_sgpr_kernarg_segment_ptr 1
		.amdhsa_user_sgpr_dispatch_id 0
		.amdhsa_user_sgpr_flat_scratch_init 0
		.amdhsa_user_sgpr_kernarg_preload_length 0
		.amdhsa_user_sgpr_kernarg_preload_offset 0
		.amdhsa_user_sgpr_private_segment_size 0
		.amdhsa_uses_dynamic_stack 0
		.amdhsa_system_sgpr_private_segment_wavefront_offset 0
		.amdhsa_system_sgpr_workgroup_id_x 1
		.amdhsa_system_sgpr_workgroup_id_y 0
		.amdhsa_system_sgpr_workgroup_id_z 0
		.amdhsa_system_sgpr_workgroup_info 0
		.amdhsa_system_vgpr_workitem_id 0
		.amdhsa_next_free_vgpr 24
		.amdhsa_next_free_sgpr 54
		.amdhsa_accum_offset 24
		.amdhsa_reserve_vcc 1
		.amdhsa_reserve_flat_scratch 0
		.amdhsa_float_round_mode_32 0
		.amdhsa_float_round_mode_16_64 0
		.amdhsa_float_denorm_mode_32 3
		.amdhsa_float_denorm_mode_16_64 3
		.amdhsa_dx10_clamp 1
		.amdhsa_ieee_mode 1
		.amdhsa_fp16_overflow 0
		.amdhsa_tg_split 0
		.amdhsa_exception_fp_ieee_invalid_op 0
		.amdhsa_exception_fp_denorm_src 0
		.amdhsa_exception_fp_ieee_div_zero 0
		.amdhsa_exception_fp_ieee_overflow 0
		.amdhsa_exception_fp_ieee_underflow 0
		.amdhsa_exception_fp_ieee_inexact 0
		.amdhsa_exception_int_div_zero 0
	.end_amdhsa_kernel
	.section	.text._ZN2at6native32elementwise_kernel_manual_unrollILi128ELi4EZNS0_15gpu_kernel_implINS0_11FillFunctorIbEEEEvRNS_18TensorIteratorBaseERKT_EUlibE_EEviT1_,"axG",@progbits,_ZN2at6native32elementwise_kernel_manual_unrollILi128ELi4EZNS0_15gpu_kernel_implINS0_11FillFunctorIbEEEEvRNS_18TensorIteratorBaseERKT_EUlibE_EEviT1_,comdat
.Lfunc_end94:
	.size	_ZN2at6native32elementwise_kernel_manual_unrollILi128ELi4EZNS0_15gpu_kernel_implINS0_11FillFunctorIbEEEEvRNS_18TensorIteratorBaseERKT_EUlibE_EEviT1_, .Lfunc_end94-_ZN2at6native32elementwise_kernel_manual_unrollILi128ELi4EZNS0_15gpu_kernel_implINS0_11FillFunctorIbEEEEvRNS_18TensorIteratorBaseERKT_EUlibE_EEviT1_
                                        ; -- End function
	.section	.AMDGPU.csdata,"",@progbits
; Kernel info:
; codeLenInByte = 11904
; NumSgprs: 58
; NumVgprs: 24
; NumAgprs: 0
; TotalNumVgprs: 24
; ScratchSize: 0
; MemoryBound: 0
; FloatMode: 240
; IeeeMode: 1
; LDSByteSize: 0 bytes/workgroup (compile time only)
; SGPRBlocks: 7
; VGPRBlocks: 2
; NumSGPRsForWavesPerEU: 58
; NumVGPRsForWavesPerEU: 24
; AccumOffset: 24
; Occupancy: 8
; WaveLimiterHint : 0
; COMPUTE_PGM_RSRC2:SCRATCH_EN: 0
; COMPUTE_PGM_RSRC2:USER_SGPR: 6
; COMPUTE_PGM_RSRC2:TRAP_HANDLER: 0
; COMPUTE_PGM_RSRC2:TGID_X_EN: 1
; COMPUTE_PGM_RSRC2:TGID_Y_EN: 0
; COMPUTE_PGM_RSRC2:TGID_Z_EN: 0
; COMPUTE_PGM_RSRC2:TIDIG_COMP_CNT: 0
; COMPUTE_PGM_RSRC3_GFX90A:ACCUM_OFFSET: 5
; COMPUTE_PGM_RSRC3_GFX90A:TG_SPLIT: 0
	.section	.text._ZN2at6native32elementwise_kernel_manual_unrollILi128ELi4EZNS0_15gpu_kernel_implINS0_11FillFunctorIbEEEEvRNS_18TensorIteratorBaseERKT_EUlibE0_EEviT1_,"axG",@progbits,_ZN2at6native32elementwise_kernel_manual_unrollILi128ELi4EZNS0_15gpu_kernel_implINS0_11FillFunctorIbEEEEvRNS_18TensorIteratorBaseERKT_EUlibE0_EEviT1_,comdat
	.protected	_ZN2at6native32elementwise_kernel_manual_unrollILi128ELi4EZNS0_15gpu_kernel_implINS0_11FillFunctorIbEEEEvRNS_18TensorIteratorBaseERKT_EUlibE0_EEviT1_ ; -- Begin function _ZN2at6native32elementwise_kernel_manual_unrollILi128ELi4EZNS0_15gpu_kernel_implINS0_11FillFunctorIbEEEEvRNS_18TensorIteratorBaseERKT_EUlibE0_EEviT1_
	.globl	_ZN2at6native32elementwise_kernel_manual_unrollILi128ELi4EZNS0_15gpu_kernel_implINS0_11FillFunctorIbEEEEvRNS_18TensorIteratorBaseERKT_EUlibE0_EEviT1_
	.p2align	8
	.type	_ZN2at6native32elementwise_kernel_manual_unrollILi128ELi4EZNS0_15gpu_kernel_implINS0_11FillFunctorIbEEEEvRNS_18TensorIteratorBaseERKT_EUlibE0_EEviT1_,@function
_ZN2at6native32elementwise_kernel_manual_unrollILi128ELi4EZNS0_15gpu_kernel_implINS0_11FillFunctorIbEEEEvRNS_18TensorIteratorBaseERKT_EUlibE0_EEviT1_: ; @_ZN2at6native32elementwise_kernel_manual_unrollILi128ELi4EZNS0_15gpu_kernel_implINS0_11FillFunctorIbEEEEvRNS_18TensorIteratorBaseERKT_EUlibE0_EEviT1_
; %bb.0:
	s_load_dword s82, s[4:5], 0x0
	s_load_dword s33, s[4:5], 0x8
	s_or_b32 s4, s4, 8
	v_lshl_or_b32 v11, s6, 9, v0
	v_or_b32_e32 v9, 0x180, v11
	s_waitcnt lgkmcnt(0)
	v_cmp_le_i32_e32 vcc, s82, v9
	s_add_i32 s80, s33, -1
	s_cmp_gt_u32 s80, 1
	s_cselect_b64 s[44:45], -1, 0
	s_mov_b64 s[34:35], 0
	s_mov_b64 s[6:7], 0
	s_and_saveexec_b64 s[0:1], vcc
	s_xor_b64 s[46:47], exec, s[0:1]
	s_cbranch_execz .LBB95_462
; %bb.1:
	s_cmp_lg_u32 s33, 0
	s_cselect_b64 s[64:65], -1, 0
	s_add_u32 s62, s4, 0xc4
	s_load_dwordx2 s[56:57], s[4:5], 0xc4
	s_load_dwordx2 s[54:55], s[4:5], 0x108
	s_load_dword s81, s[4:5], 0x110
	s_load_dwordx4 s[28:31], s[4:5], 0x4
	s_load_dwordx2 s[58:59], s[4:5], 0x14
	s_addc_u32 s63, s5, 0
	s_min_u32 s83, s80, 15
	s_cmp_gt_u32 s33, 1
	s_cselect_b64 s[60:61], -1, 0
	s_waitcnt lgkmcnt(0)
	s_bitcmp1_b32 s81, 0
	s_cselect_b64 s[20:21], -1, 0
	v_cndmask_b32_e64 v4, 0, 1.0, s[20:21]
	v_mov_b32_e32 v0, 0xff
	v_and_b32_e32 v1, 0x400000, v4
	v_and_b32_e32 v9, s81, v0
	v_lshrrev_b32_e32 v0, 23, v4
	v_cmp_ne_u32_e32 vcc, 0, v1
	v_and_b32_e32 v1, 0x3fffff, v4
	s_movk_i32 s0, 0xff
	v_or_b32_e32 v1, v0, v1
	v_cmp_eq_u32_e64 s[18:19], s0, v0
	v_cmp_ne_u32_e64 s[0:1], 0, v1
	s_and_b64 s[0:1], vcc, s[0:1]
	v_cndmask_b32_e64 v1, 0, 1, s[0:1]
	s_mov_b32 s0, 0x43800000
	v_cmp_gt_u32_e64 s[16:17], s0, v4
	s_mov_b32 s0, 0x3bffffff
	v_add_f32_e32 v22, 0x46000000, v4
	v_add_u32_e32 v23, v0, v1
	v_cmp_lt_u32_e64 s[14:15], s0, v4
	v_bfe_u32 v0, v4, 20, 1
	v_readfirstlane_b32 s0, v22
	s_mov_b32 s2, 0x47800000
	s_and_b32 s48, s81, 0xff
	v_add_u32_e32 v0, v4, v0
	s_and_b32 s0, s0, 0xff
	v_cmp_gt_u32_e64 s[12:13], s2, v4
	s_mov_b32 s2, 0x37ffffff
	v_add_f32_e32 v19, 0x42800000, v4
	v_add_u32_e32 v1, 0x487ffff, v0
	s_cmp_lg_u32 s0, 0
	v_cmp_lt_u32_e64 s[10:11], s2, v4
	v_readfirstlane_b32 s2, v19
	v_lshrrev_b32_e32 v21, 20, v1
	s_cselect_b64 s[52:53], -1, 0
	v_bfe_u32 v1, v4, 21, 1
	s_and_b32 s2, s2, 0xff
	v_add_u32_e32 v1, v4, v1
	s_cmp_lg_u32 s2, 0
	s_mov_b32 s2, 0x43efffff
	v_add_u32_e32 v2, 0x88fffff, v1
	v_cmp_lt_u32_e64 s[6:7], s2, v4
	s_mov_b32 s2, 0x3c800000
	v_add_u32_e32 v0, 0x407ffff, v0
	v_lshrrev_b32_e32 v18, 21, v2
	v_cmp_gt_u32_e64 s[8:9], s2, v4
	v_lshrrev_b32_e32 v2, 20, v0
	v_and_b32_e32 v0, 0xff00000, v0
	s_mov_b32 s2, 0x7f00000
	v_mov_b32_e32 v3, 0x7e
	v_cmp_ne_u32_e32 vcc, s2, v0
	v_add_u32_e32 v0, 0x80fffff, v1
	s_mov_b32 s22, 0x7f800000
	v_cndmask_b32_e32 v16, v3, v2, vcc
	v_lshrrev_b32_e32 v13, 21, v0
	v_mov_b32_e32 v0, 0x7f
	v_cmp_lt_u32_e32 vcc, s22, v4
	v_mov_b32_e32 v1, 0x7c
	v_cndmask_b32_e32 v20, v3, v0, vcc
	v_cndmask_b32_e32 v15, v1, v0, vcc
	v_bfe_u32 v0, v4, 16, 1
	v_add_u32_e32 v0, v4, v0
	v_cvt_f16_f32_e32 v10, v4
	v_add_u32_e32 v0, 0x7fff, v0
	s_mov_b32 s0, 0x477fffff
	s_mov_b32 s2, 0x38800000
	v_lshrrev_b32_e32 v12, 16, v0
	v_cndmask_b32_e64 v0, 0, 1, s[20:21]
	s_mov_b32 s49, 0
	v_lshrrev_b16_e64 v8, 8, s81
	v_cmp_lt_u32_e64 s[0:1], s0, v4
	s_cselect_b64 s[50:51], -1, 0
	v_add_f32_e32 v17, 0x46800000, v4
	v_cmp_gt_u32_e64 s[2:3], s2, v4
	v_add_f32_e32 v14, 0x43000000, v4
	v_cvt_f64_u32_e32 v[0:1], v0
	v_cmp_gt_i32_e32 vcc, s82, v11
	s_mov_b64 s[22:23], -1
	s_mov_b64 s[72:73], 0
	s_mov_b64 s[66:67], 0
	s_and_saveexec_b64 s[68:69], vcc
	s_cbranch_execz .LBB95_114
; %bb.2:
	s_andn2_b64 vcc, exec, s[44:45]
	s_cbranch_vccnz .LBB95_7
; %bb.3:
	s_andn2_b64 vcc, exec, s[64:65]
	s_cbranch_vccnz .LBB95_8
; %bb.4:
	s_add_i32 s75, s83, 1
	s_mov_b32 s74, 0
	s_cmp_eq_u32 s80, 2
	v_mov_b32_e32 v2, 0
	s_cbranch_scc1 .LBB95_9
; %bb.5:
	s_and_b32 s74, s75, 28
	s_mov_b32 s76, 0
	v_mov_b32_e32 v2, 0
	s_mov_b64 s[66:67], s[4:5]
	s_mov_b64 s[70:71], s[62:63]
	v_mov_b32_e32 v5, v11
.LBB95_6:                               ; =>This Inner Loop Header: Depth=1
	s_load_dwordx8 s[20:27], s[66:67], 0x4
	s_load_dwordx4 s[36:39], s[66:67], 0x24
	s_load_dwordx4 s[40:43], s[70:71], 0x0
	s_add_u32 s66, s66, 48
	s_addc_u32 s67, s67, 0
	s_waitcnt lgkmcnt(0)
	v_mul_hi_u32 v3, s21, v5
	v_add_u32_e32 v3, v5, v3
	v_lshrrev_b32_e32 v3, s22, v3
	v_mul_lo_u32 v6, v3, s20
	v_mul_hi_u32 v7, s24, v3
	v_sub_u32_e32 v5, v5, v6
	v_add_u32_e32 v6, v3, v7
	v_lshrrev_b32_e32 v6, s25, v6
	v_mul_lo_u32 v7, v6, s23
	v_mul_hi_u32 v24, s27, v6
	v_sub_u32_e32 v3, v3, v7
	v_add_u32_e32 v7, v6, v24
	v_mul_lo_u32 v5, v5, s40
	v_mul_lo_u32 v3, v3, s41
	v_lshrrev_b32_e32 v7, s36, v7
	v_add3_u32 v2, v5, v2, v3
	v_mul_hi_u32 v5, s38, v7
	v_add_u32_e32 v5, v7, v5
	v_mul_lo_u32 v3, v7, s26
	v_lshrrev_b32_e32 v5, s39, v5
	s_add_i32 s76, s76, 4
	v_sub_u32_e32 v3, v6, v3
	v_mul_lo_u32 v6, v5, s37
	s_add_u32 s70, s70, 16
	v_sub_u32_e32 v6, v7, v6
	s_addc_u32 s71, s71, 0
	v_mul_lo_u32 v3, v3, s42
	v_mul_lo_u32 v6, v6, s43
	s_cmp_lg_u32 s74, s76
	v_add3_u32 v2, v3, v2, v6
	s_cbranch_scc1 .LBB95_6
	s_branch .LBB95_10
.LBB95_7:
                                        ; implicit-def: $vgpr2
	s_branch .LBB95_14
.LBB95_8:
	v_mov_b32_e32 v2, 0
	s_branch .LBB95_13
.LBB95_9:
	v_mov_b32_e32 v5, v11
.LBB95_10:
	s_and_b32 s24, s75, 3
	s_cmp_eq_u32 s24, 0
	s_cbranch_scc1 .LBB95_13
; %bb.11:
	s_lshl_b32 s20, s74, 2
	s_add_u32 s20, s20, s4
	s_addc_u32 s21, s5, 0
	s_add_u32 s20, s20, 0xc4
	s_addc_u32 s21, s21, 0
	s_mul_i32 s22, s74, 12
	s_add_u32 s22, s4, s22
	s_addc_u32 s23, s5, 0
.LBB95_12:                              ; =>This Inner Loop Header: Depth=1
	s_load_dwordx2 s[26:27], s[22:23], 0x4
	s_load_dword s25, s[22:23], 0xc
	s_load_dword s36, s[20:21], 0x0
	s_add_u32 s22, s22, 12
	s_addc_u32 s23, s23, 0
	s_waitcnt lgkmcnt(0)
	v_mul_hi_u32 v3, s27, v5
	v_add_u32_e32 v3, v5, v3
	v_lshrrev_b32_e32 v3, s25, v3
	s_add_u32 s20, s20, 4
	v_mul_lo_u32 v6, v3, s26
	s_addc_u32 s21, s21, 0
	s_add_i32 s24, s24, -1
	v_sub_u32_e32 v6, v5, v6
	s_cmp_lg_u32 s24, 0
	v_mov_b32_e32 v5, v3
	v_mad_u64_u32 v[2:3], s[26:27], v6, s36, v[2:3]
	s_cbranch_scc1 .LBB95_12
.LBB95_13:
	s_cbranch_execnz .LBB95_16
.LBB95_14:
	v_mul_hi_u32 v2, s29, v11
	v_add_u32_e32 v2, v11, v2
	v_lshrrev_b32_e32 v3, s30, v2
	v_mul_lo_u32 v2, v3, s28
	v_sub_u32_e32 v2, v11, v2
	s_andn2_b64 vcc, exec, s[60:61]
	v_mul_lo_u32 v2, v2, s56
	s_cbranch_vccnz .LBB95_16
; %bb.15:
	v_mul_hi_u32 v5, s58, v3
	v_add_u32_e32 v5, v3, v5
	v_lshrrev_b32_e32 v5, s59, v5
	v_mul_lo_u32 v5, v5, s31
	v_sub_u32_e32 v3, v3, v5
	v_mad_u64_u32 v[2:3], s[20:21], v3, s57, v[2:3]
.LBB95_16:
	v_mov_b32_e32 v3, s55
	v_add_co_u32_e32 v6, vcc, s54, v2
	v_addc_co_u32_e32 v7, vcc, 0, v3, vcc
	v_cmp_gt_i16_e32 vcc, 11, v8
	s_cbranch_vccnz .LBB95_23
; %bb.17:
	v_cmp_lt_i16_e32 vcc, 25, v8
	s_cbranch_vccz .LBB95_26
; %bb.18:
	v_cmp_lt_i16_e32 vcc, 28, v8
	s_cbranch_vccz .LBB95_27
	;; [unrolled: 3-line block ×4, first 2 shown]
; %bb.21:
	v_cmp_eq_u16_e32 vcc, 46, v8
	s_mov_b64 s[24:25], 0
	s_mov_b64 s[20:21], -1
	s_mov_b64 s[22:23], 0
	s_cbranch_vccz .LBB95_30
; %bb.22:
	global_store_dword v[6:7], v12, off
	s_mov_b64 s[22:23], -1
	s_mov_b64 s[20:21], 0
	s_branch .LBB95_30
.LBB95_23:
	s_mov_b64 s[20:21], 0
	s_mov_b64 s[22:23], 0
	s_cbranch_execnz .LBB95_74
.LBB95_24:
	s_andn2_b64 vcc, exec, s[22:23]
	s_cbranch_vccnz .LBB95_112
.LBB95_25:
	v_add_u32_e32 v11, 0x80, v11
	s_mov_b64 s[22:23], -1
	s_branch .LBB95_113
.LBB95_26:
	s_mov_b64 s[20:21], 0
	s_mov_b64 s[22:23], 0
	s_cbranch_execnz .LBB95_52
	s_branch .LBB95_73
.LBB95_27:
	s_mov_b64 s[24:25], -1
	s_mov_b64 s[20:21], 0
	s_mov_b64 s[22:23], 0
	s_branch .LBB95_38
.LBB95_28:
	s_mov_b64 s[24:25], -1
	s_mov_b64 s[20:21], 0
	s_mov_b64 s[22:23], 0
	s_branch .LBB95_34
.LBB95_29:
	s_mov_b64 s[24:25], -1
	s_mov_b64 s[20:21], 0
	s_mov_b64 s[22:23], 0
.LBB95_30:
	s_and_b64 vcc, exec, s[24:25]
	s_cbranch_vccz .LBB95_33
; %bb.31:
	v_cmp_eq_u16_e32 vcc, 44, v8
	s_mov_b64 s[20:21], -1
	s_cbranch_vccz .LBB95_33
; %bb.32:
	v_mov_b32_e32 v2, 0xff
	v_cndmask_b32_e64 v2, v23, v2, s[18:19]
	global_store_byte v[6:7], v2, off
	s_mov_b64 s[22:23], -1
	s_mov_b64 s[20:21], 0
.LBB95_33:
	s_mov_b64 s[24:25], 0
.LBB95_34:
	s_and_b64 vcc, exec, s[24:25]
	s_cbranch_vccz .LBB95_37
; %bb.35:
	v_cmp_eq_u16_e32 vcc, 29, v8
	s_mov_b64 s[20:21], -1
	s_cbranch_vccz .LBB95_37
; %bb.36:
	v_pk_mov_b32 v[2:3], s[48:49], s[48:49] op_sel:[0,1]
	global_store_dwordx2 v[6:7], v[2:3], off
	s_mov_b64 s[22:23], -1
	s_mov_b64 s[20:21], 0
.LBB95_37:
	s_mov_b64 s[24:25], 0
.LBB95_38:
	s_and_b64 vcc, exec, s[24:25]
	s_cbranch_vccz .LBB95_51
; %bb.39:
	v_cmp_gt_i16_e32 vcc, 27, v8
	s_mov_b64 s[22:23], -1
	s_cbranch_vccnz .LBB95_45
; %bb.40:
	v_cmp_lt_i16_e32 vcc, 27, v8
	s_cbranch_vccz .LBB95_42
; %bb.41:
	v_mov_b32_e32 v2, s48
	s_mov_b64 s[22:23], 0
	global_store_dword v[6:7], v2, off
.LBB95_42:
	s_andn2_b64 vcc, exec, s[22:23]
	s_cbranch_vccnz .LBB95_44
; %bb.43:
	global_store_short v[6:7], v9, off
.LBB95_44:
	s_mov_b64 s[22:23], 0
.LBB95_45:
	s_andn2_b64 vcc, exec, s[22:23]
	s_cbranch_vccnz .LBB95_50
; %bb.46:
	s_andn2_b64 vcc, exec, s[16:17]
	v_mov_b32_e32 v2, 0x80
	s_cbranch_vccnz .LBB95_49
; %bb.47:
	s_or_b64 s[22:23], s[14:15], s[52:53]
	s_andn2_b64 vcc, exec, s[22:23]
	v_mov_b32_e32 v2, 0
	s_cbranch_vccnz .LBB95_49
; %bb.48:
	v_cndmask_b32_e64 v2, v22, v21, s[14:15]
.LBB95_49:
	global_store_byte v[6:7], v2, off
.LBB95_50:
	s_mov_b64 s[22:23], -1
.LBB95_51:
	s_branch .LBB95_73
.LBB95_52:
	v_cmp_lt_i16_e32 vcc, 22, v8
	s_mov_b64 s[24:25], -1
	s_cbranch_vccz .LBB95_65
; %bb.53:
	v_cmp_gt_i16_e32 vcc, 24, v8
	s_mov_b64 s[22:23], -1
	s_cbranch_vccnz .LBB95_62
; %bb.54:
	v_cmp_lt_i16_e32 vcc, 24, v8
	s_cbranch_vccz .LBB95_59
; %bb.55:
	s_andn2_b64 vcc, exec, s[12:13]
	v_mov_b32_e32 v2, 0x80
	s_cbranch_vccnz .LBB95_58
; %bb.56:
	s_or_b64 s[22:23], s[10:11], s[50:51]
	s_andn2_b64 vcc, exec, s[22:23]
	v_mov_b32_e32 v2, 0
	s_cbranch_vccnz .LBB95_58
; %bb.57:
	v_cndmask_b32_e64 v2, v19, v18, s[10:11]
.LBB95_58:
	s_mov_b64 s[22:23], 0
	global_store_byte v[6:7], v2, off
.LBB95_59:
	s_and_b64 vcc, exec, s[22:23]
	s_cbranch_vccz .LBB95_61
; %bb.60:
	v_cndmask_b32_e64 v2, v16, v17, s[8:9]
	v_cndmask_b32_e64 v2, v2, v20, s[6:7]
	global_store_byte v[6:7], v2, off
.LBB95_61:
	s_mov_b64 s[22:23], 0
.LBB95_62:
	s_andn2_b64 vcc, exec, s[22:23]
	s_cbranch_vccnz .LBB95_64
; %bb.63:
	v_cndmask_b32_e64 v2, v13, v14, s[2:3]
	v_cndmask_b32_e64 v2, v2, v15, s[0:1]
	global_store_byte v[6:7], v2, off
.LBB95_64:
	s_mov_b64 s[24:25], 0
	s_mov_b64 s[22:23], -1
.LBB95_65:
	s_andn2_b64 vcc, exec, s[24:25]
	s_cbranch_vccnz .LBB95_73
; %bb.66:
	v_cmp_lt_i16_e32 vcc, 14, v8
	s_mov_b64 s[24:25], -1
	s_cbranch_vccz .LBB95_70
; %bb.67:
	v_cmp_eq_u16_e32 vcc, 15, v8
	s_mov_b64 s[20:21], -1
	s_cbranch_vccz .LBB95_69
; %bb.68:
	global_store_short v[6:7], v12, off
	s_mov_b64 s[22:23], -1
	s_mov_b64 s[20:21], 0
.LBB95_69:
	s_mov_b64 s[24:25], 0
.LBB95_70:
	s_and_b64 vcc, exec, s[24:25]
	s_cbranch_vccz .LBB95_73
; %bb.71:
	v_cmp_eq_u16_e32 vcc, 11, v8
	s_mov_b64 s[20:21], -1
	s_cbranch_vccz .LBB95_73
; %bb.72:
	v_mov_b32_e32 v2, s81
	s_mov_b64 s[22:23], -1
	s_mov_b64 s[20:21], 0
	global_store_byte v[6:7], v2, off
.LBB95_73:
	s_branch .LBB95_24
.LBB95_74:
	v_cmp_gt_i16_e32 vcc, 5, v8
	s_mov_b64 s[22:23], -1
	s_cbranch_vccnz .LBB95_95
; %bb.75:
	v_cmp_gt_i16_e32 vcc, 8, v8
	s_cbranch_vccnz .LBB95_85
; %bb.76:
	v_cmp_gt_i16_e32 vcc, 9, v8
	s_cbranch_vccnz .LBB95_82
; %bb.77:
	v_cmp_lt_i16_e32 vcc, 9, v8
	s_cbranch_vccz .LBB95_79
; %bb.78:
	v_mov_b32_e32 v2, 0
	v_mov_b32_e32 v3, v2
	global_store_dwordx4 v[6:7], v[0:3], off
	s_mov_b64 s[22:23], 0
.LBB95_79:
	s_andn2_b64 vcc, exec, s[22:23]
	s_cbranch_vccnz .LBB95_81
; %bb.80:
	v_mov_b32_e32 v5, 0
	global_store_dwordx2 v[6:7], v[4:5], off
.LBB95_81:
	s_mov_b64 s[22:23], 0
.LBB95_82:
	s_andn2_b64 vcc, exec, s[22:23]
	s_cbranch_vccnz .LBB95_84
; %bb.83:
	global_store_dword v[6:7], v10, off
.LBB95_84:
	s_mov_b64 s[22:23], 0
.LBB95_85:
	s_andn2_b64 vcc, exec, s[22:23]
	s_cbranch_vccnz .LBB95_94
; %bb.86:
	v_cmp_gt_i16_e32 vcc, 6, v8
	s_mov_b64 s[22:23], -1
	s_cbranch_vccnz .LBB95_92
; %bb.87:
	v_cmp_lt_i16_e32 vcc, 6, v8
	s_cbranch_vccz .LBB95_89
; %bb.88:
	global_store_dwordx2 v[6:7], v[0:1], off
	s_mov_b64 s[22:23], 0
.LBB95_89:
	s_andn2_b64 vcc, exec, s[22:23]
	s_cbranch_vccnz .LBB95_91
; %bb.90:
	global_store_dword v[6:7], v4, off
.LBB95_91:
	s_mov_b64 s[22:23], 0
.LBB95_92:
	s_andn2_b64 vcc, exec, s[22:23]
	s_cbranch_vccnz .LBB95_94
; %bb.93:
	global_store_short v[6:7], v10, off
.LBB95_94:
	s_mov_b64 s[22:23], 0
.LBB95_95:
	s_andn2_b64 vcc, exec, s[22:23]
	s_cbranch_vccnz .LBB95_111
; %bb.96:
	v_cmp_gt_i16_e32 vcc, 2, v8
	s_mov_b64 s[22:23], -1
	s_cbranch_vccnz .LBB95_106
; %bb.97:
	v_cmp_gt_i16_e32 vcc, 3, v8
	s_cbranch_vccnz .LBB95_103
; %bb.98:
	v_cmp_lt_i16_e32 vcc, 3, v8
	s_cbranch_vccz .LBB95_100
; %bb.99:
	v_pk_mov_b32 v[2:3], s[48:49], s[48:49] op_sel:[0,1]
	global_store_dwordx2 v[6:7], v[2:3], off
	s_mov_b64 s[22:23], 0
.LBB95_100:
	s_andn2_b64 vcc, exec, s[22:23]
	s_cbranch_vccnz .LBB95_102
; %bb.101:
	v_mov_b32_e32 v2, s48
	global_store_dword v[6:7], v2, off
.LBB95_102:
	s_mov_b64 s[22:23], 0
.LBB95_103:
	s_andn2_b64 vcc, exec, s[22:23]
	s_cbranch_vccnz .LBB95_105
; %bb.104:
	global_store_short v[6:7], v9, off
.LBB95_105:
	s_mov_b64 s[22:23], 0
.LBB95_106:
	s_andn2_b64 vcc, exec, s[22:23]
	s_cbranch_vccnz .LBB95_111
; %bb.107:
	v_cmp_lt_i16_e32 vcc, 0, v8
	s_mov_b64 s[22:23], -1
	s_cbranch_vccz .LBB95_109
; %bb.108:
	v_mov_b32_e32 v2, s81
	global_store_byte v[6:7], v2, off
	s_mov_b64 s[22:23], 0
.LBB95_109:
	s_andn2_b64 vcc, exec, s[22:23]
	s_cbranch_vccnz .LBB95_111
; %bb.110:
	v_mov_b32_e32 v2, s81
	global_store_byte v[6:7], v2, off
.LBB95_111:
	s_branch .LBB95_25
.LBB95_112:
	s_mov_b64 s[22:23], 0
                                        ; implicit-def: $vgpr11
.LBB95_113:
	s_and_b64 s[66:67], s[20:21], exec
	s_orn2_b64 s[22:23], s[22:23], exec
.LBB95_114:
	s_or_b64 exec, exec, s[68:69]
	s_mov_b64 s[20:21], 0
                                        ; implicit-def: $vgpr6_vgpr7
	s_and_saveexec_b64 s[68:69], s[22:23]
	s_cbranch_execz .LBB95_121
; %bb.115:
	v_cmp_gt_i32_e32 vcc, s82, v11
	s_mov_b64 s[20:21], -1
	s_mov_b64 s[70:71], s[66:67]
	s_and_saveexec_b64 s[72:73], vcc
	s_cbranch_execz .LBB95_232
; %bb.116:
	s_andn2_b64 vcc, exec, s[44:45]
	s_cbranch_vccnz .LBB95_124
; %bb.117:
	s_andn2_b64 vcc, exec, s[64:65]
	s_cbranch_vccnz .LBB95_125
; %bb.118:
	s_add_i32 s77, s83, 1
	s_mov_b32 s76, 0
	s_cmp_eq_u32 s80, 2
	v_mov_b32_e32 v2, 0
	s_cbranch_scc1 .LBB95_126
; %bb.119:
	s_and_b32 s76, s77, 28
	s_mov_b32 s78, 0
	v_mov_b32_e32 v2, 0
	s_mov_b64 s[70:71], s[4:5]
	s_mov_b64 s[74:75], s[62:63]
	v_mov_b32_e32 v5, v11
.LBB95_120:                             ; =>This Inner Loop Header: Depth=1
	s_load_dwordx8 s[20:27], s[70:71], 0x4
	s_load_dwordx4 s[36:39], s[70:71], 0x24
	s_load_dwordx4 s[40:43], s[74:75], 0x0
	s_add_u32 s70, s70, 48
	s_addc_u32 s71, s71, 0
	s_waitcnt lgkmcnt(0)
	v_mul_hi_u32 v3, s21, v5
	v_add_u32_e32 v3, v5, v3
	v_lshrrev_b32_e32 v3, s22, v3
	v_mul_lo_u32 v6, v3, s20
	v_mul_hi_u32 v7, s24, v3
	v_sub_u32_e32 v5, v5, v6
	v_add_u32_e32 v6, v3, v7
	v_lshrrev_b32_e32 v6, s25, v6
	v_mul_lo_u32 v7, v6, s23
	v_mul_hi_u32 v24, s27, v6
	v_sub_u32_e32 v3, v3, v7
	v_add_u32_e32 v7, v6, v24
	v_mul_lo_u32 v5, v5, s40
	v_mul_lo_u32 v3, v3, s41
	v_lshrrev_b32_e32 v7, s36, v7
	v_add3_u32 v2, v5, v2, v3
	v_mul_hi_u32 v5, s38, v7
	v_add_u32_e32 v5, v7, v5
	v_mul_lo_u32 v3, v7, s26
	v_lshrrev_b32_e32 v5, s39, v5
	s_add_i32 s78, s78, 4
	v_sub_u32_e32 v3, v6, v3
	v_mul_lo_u32 v6, v5, s37
	s_add_u32 s74, s74, 16
	v_sub_u32_e32 v6, v7, v6
	s_addc_u32 s75, s75, 0
	v_mul_lo_u32 v3, v3, s42
	v_mul_lo_u32 v6, v6, s43
	s_cmp_eq_u32 s76, s78
	v_add3_u32 v2, v3, v2, v6
	s_cbranch_scc0 .LBB95_120
	s_branch .LBB95_127
.LBB95_121:
	s_or_b64 exec, exec, s[68:69]
	s_mov_b64 s[0:1], 0
	s_and_saveexec_b64 s[2:3], s[66:67]
	s_cbranch_execnz .LBB95_422
.LBB95_122:
	s_or_b64 exec, exec, s[2:3]
	s_and_saveexec_b64 s[2:3], s[72:73]
	s_xor_b64 s[2:3], exec, s[2:3]
	s_cbranch_execz .LBB95_423
.LBB95_123:
	v_mov_b32_e32 v2, s81
	global_store_byte v[6:7], v2, off
	s_or_b64 exec, exec, s[2:3]
	s_and_saveexec_b64 s[2:3], s[20:21]
	s_xor_b64 s[2:3], exec, s[2:3]
	s_cbranch_execz .LBB95_461
	s_branch .LBB95_424
.LBB95_124:
                                        ; implicit-def: $vgpr2
	s_andn2_b64 vcc, exec, s[20:21]
	s_cbranch_vccz .LBB95_131
	s_branch .LBB95_133
.LBB95_125:
	v_mov_b32_e32 v2, 0
	s_branch .LBB95_130
.LBB95_126:
	v_mov_b32_e32 v5, v11
.LBB95_127:
	s_and_b32 s24, s77, 3
	s_cmp_eq_u32 s24, 0
	s_cbranch_scc1 .LBB95_130
; %bb.128:
	s_lshl_b32 s20, s76, 2
	s_add_u32 s20, s20, s4
	s_addc_u32 s21, s5, 0
	s_add_u32 s20, s20, 0xc4
	s_addc_u32 s21, s21, 0
	s_mul_i32 s22, s76, 12
	s_add_u32 s22, s4, s22
	s_addc_u32 s23, s5, 0
.LBB95_129:                             ; =>This Inner Loop Header: Depth=1
	s_load_dwordx2 s[26:27], s[22:23], 0x4
	s_load_dword s25, s[22:23], 0xc
	s_load_dword s36, s[20:21], 0x0
	s_add_u32 s22, s22, 12
	s_addc_u32 s23, s23, 0
	s_waitcnt lgkmcnt(0)
	v_mul_hi_u32 v3, s27, v5
	v_add_u32_e32 v3, v5, v3
	v_lshrrev_b32_e32 v3, s25, v3
	s_add_u32 s20, s20, 4
	v_mul_lo_u32 v6, v3, s26
	s_addc_u32 s21, s21, 0
	s_add_i32 s24, s24, -1
	v_sub_u32_e32 v6, v5, v6
	s_cmp_lg_u32 s24, 0
	v_mov_b32_e32 v5, v3
	v_mad_u64_u32 v[2:3], s[26:27], v6, s36, v[2:3]
	s_cbranch_scc1 .LBB95_129
.LBB95_130:
	s_cbranch_execnz .LBB95_133
.LBB95_131:
	v_mul_hi_u32 v2, s29, v11
	v_add_u32_e32 v2, v11, v2
	v_lshrrev_b32_e32 v3, s30, v2
	v_mul_lo_u32 v2, v3, s28
	v_sub_u32_e32 v2, v11, v2
	s_andn2_b64 vcc, exec, s[60:61]
	v_mul_lo_u32 v2, v2, s56
	s_cbranch_vccnz .LBB95_133
; %bb.132:
	v_mul_hi_u32 v5, s58, v3
	v_add_u32_e32 v5, v3, v5
	v_lshrrev_b32_e32 v5, s59, v5
	v_mul_lo_u32 v5, v5, s31
	v_sub_u32_e32 v3, v3, v5
	v_mad_u64_u32 v[2:3], s[20:21], v3, s57, v[2:3]
.LBB95_133:
	v_mov_b32_e32 v3, s55
	v_add_co_u32_e32 v6, vcc, s54, v2
	v_addc_co_u32_e32 v7, vcc, 0, v3, vcc
	v_cmp_gt_i16_e32 vcc, 11, v8
	s_cbranch_vccnz .LBB95_140
; %bb.134:
	v_cmp_lt_i16_e32 vcc, 25, v8
	s_cbranch_vccz .LBB95_143
; %bb.135:
	v_cmp_lt_i16_e32 vcc, 28, v8
	s_cbranch_vccz .LBB95_144
	;; [unrolled: 3-line block ×4, first 2 shown]
; %bb.138:
	v_cmp_eq_u16_e32 vcc, 46, v8
	s_mov_b64 s[24:25], 0
	s_mov_b64 s[20:21], -1
	s_mov_b64 s[22:23], 0
	s_cbranch_vccz .LBB95_147
; %bb.139:
	global_store_dword v[6:7], v12, off
	s_mov_b64 s[22:23], -1
	s_mov_b64 s[20:21], 0
	s_branch .LBB95_147
.LBB95_140:
	s_mov_b64 s[22:23], 0
	s_mov_b64 s[20:21], s[66:67]
	s_cbranch_execnz .LBB95_192
.LBB95_141:
	s_andn2_b64 vcc, exec, s[22:23]
	s_cbranch_vccnz .LBB95_230
.LBB95_142:
	v_add_u32_e32 v11, 0x80, v11
	s_mov_b64 s[22:23], -1
	s_branch .LBB95_231
.LBB95_143:
	s_mov_b64 s[24:25], -1
	s_mov_b64 s[22:23], 0
	s_mov_b64 s[20:21], s[66:67]
	s_branch .LBB95_169
.LBB95_144:
	s_mov_b64 s[24:25], -1
	s_mov_b64 s[22:23], 0
	s_mov_b64 s[20:21], s[66:67]
	s_branch .LBB95_155
.LBB95_145:
	s_mov_b64 s[24:25], -1
	s_mov_b64 s[22:23], 0
	s_mov_b64 s[20:21], s[66:67]
	s_branch .LBB95_151
.LBB95_146:
	s_mov_b64 s[24:25], -1
	s_mov_b64 s[22:23], 0
	s_mov_b64 s[20:21], s[66:67]
.LBB95_147:
	s_and_b64 vcc, exec, s[24:25]
	s_cbranch_vccz .LBB95_150
; %bb.148:
	v_cmp_eq_u16_e32 vcc, 44, v8
	s_mov_b64 s[20:21], -1
	s_cbranch_vccz .LBB95_150
; %bb.149:
	v_mov_b32_e32 v2, 0xff
	v_cndmask_b32_e64 v2, v23, v2, s[18:19]
	s_mov_b64 s[22:23], -1
	s_mov_b64 s[20:21], 0
	global_store_byte v[6:7], v2, off
.LBB95_150:
	s_mov_b64 s[24:25], 0
.LBB95_151:
	s_and_b64 vcc, exec, s[24:25]
	s_cbranch_vccz .LBB95_154
; %bb.152:
	v_cmp_eq_u16_e32 vcc, 29, v8
	s_mov_b64 s[20:21], -1
	s_cbranch_vccz .LBB95_154
; %bb.153:
	v_pk_mov_b32 v[2:3], s[48:49], s[48:49] op_sel:[0,1]
	global_store_dwordx2 v[6:7], v[2:3], off
	s_mov_b64 s[22:23], -1
	s_mov_b64 s[20:21], 0
.LBB95_154:
	s_mov_b64 s[24:25], 0
.LBB95_155:
	s_and_b64 vcc, exec, s[24:25]
	s_cbranch_vccz .LBB95_168
; %bb.156:
	v_cmp_gt_i16_e32 vcc, 27, v8
	s_mov_b64 s[22:23], -1
	s_cbranch_vccnz .LBB95_162
; %bb.157:
	v_cmp_lt_i16_e32 vcc, 27, v8
	s_cbranch_vccz .LBB95_159
; %bb.158:
	v_mov_b32_e32 v2, s48
	s_mov_b64 s[22:23], 0
	global_store_dword v[6:7], v2, off
.LBB95_159:
	s_andn2_b64 vcc, exec, s[22:23]
	s_cbranch_vccnz .LBB95_161
; %bb.160:
	global_store_short v[6:7], v9, off
.LBB95_161:
	s_mov_b64 s[22:23], 0
.LBB95_162:
	s_andn2_b64 vcc, exec, s[22:23]
	s_cbranch_vccnz .LBB95_167
; %bb.163:
	s_andn2_b64 vcc, exec, s[16:17]
	v_mov_b32_e32 v2, 0x80
	s_cbranch_vccnz .LBB95_166
; %bb.164:
	s_or_b64 s[22:23], s[14:15], s[52:53]
	s_andn2_b64 vcc, exec, s[22:23]
	v_mov_b32_e32 v2, 0
	s_cbranch_vccnz .LBB95_166
; %bb.165:
	v_cndmask_b32_e64 v2, v22, v21, s[14:15]
.LBB95_166:
	global_store_byte v[6:7], v2, off
.LBB95_167:
	s_mov_b64 s[22:23], -1
.LBB95_168:
	s_mov_b64 s[24:25], 0
.LBB95_169:
	s_and_b64 vcc, exec, s[24:25]
	s_cbranch_vccz .LBB95_191
; %bb.170:
	v_cmp_lt_i16_e32 vcc, 22, v8
	s_mov_b64 s[24:25], -1
	s_cbranch_vccz .LBB95_183
; %bb.171:
	v_cmp_gt_i16_e32 vcc, 24, v8
	s_mov_b64 s[22:23], -1
	s_cbranch_vccnz .LBB95_180
; %bb.172:
	v_cmp_lt_i16_e32 vcc, 24, v8
	s_cbranch_vccz .LBB95_177
; %bb.173:
	s_andn2_b64 vcc, exec, s[12:13]
	v_mov_b32_e32 v2, 0x80
	s_cbranch_vccnz .LBB95_176
; %bb.174:
	s_or_b64 s[22:23], s[10:11], s[50:51]
	s_andn2_b64 vcc, exec, s[22:23]
	v_mov_b32_e32 v2, 0
	s_cbranch_vccnz .LBB95_176
; %bb.175:
	v_cndmask_b32_e64 v2, v19, v18, s[10:11]
.LBB95_176:
	s_mov_b64 s[22:23], 0
	global_store_byte v[6:7], v2, off
.LBB95_177:
	s_and_b64 vcc, exec, s[22:23]
	s_cbranch_vccz .LBB95_179
; %bb.178:
	v_cndmask_b32_e64 v2, v16, v17, s[8:9]
	v_cndmask_b32_e64 v2, v2, v20, s[6:7]
	global_store_byte v[6:7], v2, off
.LBB95_179:
	s_mov_b64 s[22:23], 0
.LBB95_180:
	s_andn2_b64 vcc, exec, s[22:23]
	s_cbranch_vccnz .LBB95_182
; %bb.181:
	v_cndmask_b32_e64 v2, v13, v14, s[2:3]
	v_cndmask_b32_e64 v2, v2, v15, s[0:1]
	global_store_byte v[6:7], v2, off
.LBB95_182:
	s_mov_b64 s[24:25], 0
	s_mov_b64 s[22:23], -1
.LBB95_183:
	s_andn2_b64 vcc, exec, s[24:25]
	s_cbranch_vccnz .LBB95_191
; %bb.184:
	v_cmp_lt_i16_e32 vcc, 14, v8
	s_mov_b64 s[24:25], -1
	s_cbranch_vccz .LBB95_188
; %bb.185:
	v_cmp_eq_u16_e32 vcc, 15, v8
	s_mov_b64 s[20:21], -1
	s_cbranch_vccz .LBB95_187
; %bb.186:
	global_store_short v[6:7], v12, off
	s_mov_b64 s[22:23], -1
	s_mov_b64 s[20:21], 0
.LBB95_187:
	s_mov_b64 s[24:25], 0
.LBB95_188:
	s_and_b64 vcc, exec, s[24:25]
	s_cbranch_vccz .LBB95_191
; %bb.189:
	v_cmp_eq_u16_e32 vcc, 11, v8
	s_mov_b64 s[20:21], -1
	s_cbranch_vccz .LBB95_191
; %bb.190:
	v_mov_b32_e32 v2, s81
	s_mov_b64 s[22:23], -1
	s_mov_b64 s[20:21], 0
	global_store_byte v[6:7], v2, off
.LBB95_191:
	s_branch .LBB95_141
.LBB95_192:
	v_cmp_gt_i16_e32 vcc, 5, v8
	s_mov_b64 s[22:23], -1
	s_cbranch_vccnz .LBB95_213
; %bb.193:
	v_cmp_gt_i16_e32 vcc, 8, v8
	s_cbranch_vccnz .LBB95_203
; %bb.194:
	v_cmp_gt_i16_e32 vcc, 9, v8
	s_cbranch_vccnz .LBB95_200
; %bb.195:
	v_cmp_lt_i16_e32 vcc, 9, v8
	s_cbranch_vccz .LBB95_197
; %bb.196:
	v_mov_b32_e32 v2, 0
	v_mov_b32_e32 v3, v2
	s_mov_b64 s[22:23], 0
	global_store_dwordx4 v[6:7], v[0:3], off
.LBB95_197:
	s_andn2_b64 vcc, exec, s[22:23]
	s_cbranch_vccnz .LBB95_199
; %bb.198:
	v_mov_b32_e32 v5, 0
	global_store_dwordx2 v[6:7], v[4:5], off
.LBB95_199:
	s_mov_b64 s[22:23], 0
.LBB95_200:
	s_andn2_b64 vcc, exec, s[22:23]
	s_cbranch_vccnz .LBB95_202
; %bb.201:
	global_store_dword v[6:7], v10, off
.LBB95_202:
	s_mov_b64 s[22:23], 0
.LBB95_203:
	s_andn2_b64 vcc, exec, s[22:23]
	s_cbranch_vccnz .LBB95_212
; %bb.204:
	v_cmp_gt_i16_e32 vcc, 6, v8
	s_mov_b64 s[22:23], -1
	s_cbranch_vccnz .LBB95_210
; %bb.205:
	v_cmp_lt_i16_e32 vcc, 6, v8
	s_cbranch_vccz .LBB95_207
; %bb.206:
	s_mov_b64 s[22:23], 0
	global_store_dwordx2 v[6:7], v[0:1], off
.LBB95_207:
	s_andn2_b64 vcc, exec, s[22:23]
	s_cbranch_vccnz .LBB95_209
; %bb.208:
	global_store_dword v[6:7], v4, off
.LBB95_209:
	s_mov_b64 s[22:23], 0
.LBB95_210:
	s_andn2_b64 vcc, exec, s[22:23]
	s_cbranch_vccnz .LBB95_212
; %bb.211:
	global_store_short v[6:7], v10, off
.LBB95_212:
	s_mov_b64 s[22:23], 0
.LBB95_213:
	s_andn2_b64 vcc, exec, s[22:23]
	s_cbranch_vccnz .LBB95_229
; %bb.214:
	v_cmp_gt_i16_e32 vcc, 2, v8
	s_mov_b64 s[22:23], -1
	s_cbranch_vccnz .LBB95_224
; %bb.215:
	v_cmp_gt_i16_e32 vcc, 3, v8
	s_cbranch_vccnz .LBB95_221
; %bb.216:
	v_cmp_lt_i16_e32 vcc, 3, v8
	s_cbranch_vccz .LBB95_218
; %bb.217:
	v_pk_mov_b32 v[2:3], s[48:49], s[48:49] op_sel:[0,1]
	s_mov_b64 s[22:23], 0
	global_store_dwordx2 v[6:7], v[2:3], off
.LBB95_218:
	s_andn2_b64 vcc, exec, s[22:23]
	s_cbranch_vccnz .LBB95_220
; %bb.219:
	v_mov_b32_e32 v2, s48
	global_store_dword v[6:7], v2, off
.LBB95_220:
	s_mov_b64 s[22:23], 0
.LBB95_221:
	s_andn2_b64 vcc, exec, s[22:23]
	s_cbranch_vccnz .LBB95_223
; %bb.222:
	global_store_short v[6:7], v9, off
.LBB95_223:
	s_mov_b64 s[22:23], 0
.LBB95_224:
	s_andn2_b64 vcc, exec, s[22:23]
	s_cbranch_vccnz .LBB95_229
; %bb.225:
	v_cmp_lt_i16_e32 vcc, 0, v8
	s_mov_b64 s[22:23], -1
	s_cbranch_vccz .LBB95_227
; %bb.226:
	v_mov_b32_e32 v2, s81
	s_mov_b64 s[22:23], 0
	global_store_byte v[6:7], v2, off
.LBB95_227:
	s_andn2_b64 vcc, exec, s[22:23]
	s_cbranch_vccnz .LBB95_229
; %bb.228:
	v_mov_b32_e32 v2, s81
	global_store_byte v[6:7], v2, off
.LBB95_229:
	s_branch .LBB95_142
.LBB95_230:
	s_mov_b64 s[22:23], 0
                                        ; implicit-def: $vgpr11
.LBB95_231:
	s_andn2_b64 s[24:25], s[66:67], exec
	s_and_b64 s[20:21], s[20:21], exec
	s_or_b64 s[70:71], s[24:25], s[20:21]
	s_orn2_b64 s[20:21], s[22:23], exec
.LBB95_232:
	s_or_b64 exec, exec, s[72:73]
	s_mov_b64 s[22:23], 0
	s_mov_b64 s[24:25], 0
                                        ; implicit-def: $vgpr6_vgpr7
	s_and_saveexec_b64 s[72:73], s[20:21]
	s_cbranch_execz .LBB95_421
; %bb.233:
	v_cmp_gt_i32_e32 vcc, s82, v11
	s_mov_b64 s[22:23], -1
	s_mov_b64 s[76:77], s[70:71]
	s_and_saveexec_b64 s[74:75], vcc
	s_cbranch_execz .LBB95_349
; %bb.234:
	s_andn2_b64 vcc, exec, s[44:45]
	s_cbranch_vccnz .LBB95_239
; %bb.235:
	s_andn2_b64 vcc, exec, s[64:65]
	s_cbranch_vccnz .LBB95_240
; %bb.236:
	s_add_i32 s85, s83, 1
	s_mov_b32 s84, 0
	s_cmp_eq_u32 s80, 2
	v_mov_b32_e32 v2, 0
	s_cbranch_scc1 .LBB95_241
; %bb.237:
	s_and_b32 s84, s85, 28
	s_mov_b32 s86, 0
	v_mov_b32_e32 v2, 0
	s_mov_b64 s[76:77], s[4:5]
	s_mov_b64 s[78:79], s[62:63]
	v_mov_b32_e32 v5, v11
.LBB95_238:                             ; =>This Inner Loop Header: Depth=1
	s_load_dwordx8 s[20:27], s[76:77], 0x4
	s_load_dwordx4 s[36:39], s[76:77], 0x24
	s_load_dwordx4 s[40:43], s[78:79], 0x0
	s_add_u32 s76, s76, 48
	s_addc_u32 s77, s77, 0
	s_waitcnt lgkmcnt(0)
	v_mul_hi_u32 v3, s21, v5
	v_add_u32_e32 v3, v5, v3
	v_lshrrev_b32_e32 v3, s22, v3
	v_mul_lo_u32 v6, v3, s20
	v_mul_hi_u32 v7, s24, v3
	v_sub_u32_e32 v5, v5, v6
	v_add_u32_e32 v6, v3, v7
	v_lshrrev_b32_e32 v6, s25, v6
	v_mul_lo_u32 v7, v6, s23
	v_mul_hi_u32 v24, s27, v6
	v_sub_u32_e32 v3, v3, v7
	v_add_u32_e32 v7, v6, v24
	v_mul_lo_u32 v5, v5, s40
	v_mul_lo_u32 v3, v3, s41
	v_lshrrev_b32_e32 v7, s36, v7
	v_add3_u32 v2, v5, v2, v3
	v_mul_hi_u32 v5, s38, v7
	v_add_u32_e32 v5, v7, v5
	v_mul_lo_u32 v3, v7, s26
	v_lshrrev_b32_e32 v5, s39, v5
	s_add_i32 s86, s86, 4
	v_sub_u32_e32 v3, v6, v3
	v_mul_lo_u32 v6, v5, s37
	s_add_u32 s78, s78, 16
	v_sub_u32_e32 v6, v7, v6
	s_addc_u32 s79, s79, 0
	v_mul_lo_u32 v3, v3, s42
	v_mul_lo_u32 v6, v6, s43
	s_cmp_eq_u32 s84, s86
	v_add3_u32 v2, v3, v2, v6
	s_cbranch_scc0 .LBB95_238
	s_branch .LBB95_242
.LBB95_239:
	s_mov_b64 s[20:21], -1
                                        ; implicit-def: $vgpr2
	s_branch .LBB95_246
.LBB95_240:
	v_mov_b32_e32 v2, 0
	s_branch .LBB95_245
.LBB95_241:
	v_mov_b32_e32 v5, v11
.LBB95_242:
	s_and_b32 s24, s85, 3
	s_cmp_eq_u32 s24, 0
	s_cbranch_scc1 .LBB95_245
; %bb.243:
	s_lshl_b32 s20, s84, 2
	s_add_u32 s20, s20, s4
	s_addc_u32 s21, s5, 0
	s_add_u32 s20, s20, 0xc4
	s_addc_u32 s21, s21, 0
	s_mul_i32 s22, s84, 12
	s_add_u32 s22, s4, s22
	s_addc_u32 s23, s5, 0
.LBB95_244:                             ; =>This Inner Loop Header: Depth=1
	s_load_dwordx2 s[26:27], s[22:23], 0x4
	s_load_dword s25, s[22:23], 0xc
	s_load_dword s36, s[20:21], 0x0
	s_add_u32 s22, s22, 12
	s_addc_u32 s23, s23, 0
	s_waitcnt lgkmcnt(0)
	v_mul_hi_u32 v3, s27, v5
	v_add_u32_e32 v3, v5, v3
	v_lshrrev_b32_e32 v3, s25, v3
	s_add_u32 s20, s20, 4
	v_mul_lo_u32 v6, v3, s26
	s_addc_u32 s21, s21, 0
	s_add_i32 s24, s24, -1
	v_sub_u32_e32 v6, v5, v6
	s_cmp_lg_u32 s24, 0
	v_mov_b32_e32 v5, v3
	v_mad_u64_u32 v[2:3], s[26:27], v6, s36, v[2:3]
	s_cbranch_scc1 .LBB95_244
.LBB95_245:
	s_mov_b64 s[20:21], 0
.LBB95_246:
	s_andn2_b64 vcc, exec, s[20:21]
	s_cbranch_vccnz .LBB95_249
; %bb.247:
	v_mul_hi_u32 v2, s29, v11
	v_add_u32_e32 v2, v11, v2
	v_lshrrev_b32_e32 v3, s30, v2
	v_mul_lo_u32 v2, v3, s28
	v_sub_u32_e32 v2, v11, v2
	s_andn2_b64 vcc, exec, s[60:61]
	v_mul_lo_u32 v2, v2, s56
	s_cbranch_vccnz .LBB95_249
; %bb.248:
	v_mul_hi_u32 v5, s58, v3
	v_add_u32_e32 v5, v3, v5
	v_lshrrev_b32_e32 v5, s59, v5
	v_mul_lo_u32 v5, v5, s31
	v_sub_u32_e32 v3, v3, v5
	v_mad_u64_u32 v[2:3], s[20:21], v3, s57, v[2:3]
.LBB95_249:
	v_mov_b32_e32 v3, s55
	v_add_co_u32_e32 v6, vcc, s54, v2
	v_addc_co_u32_e32 v7, vcc, 0, v3, vcc
	v_cmp_gt_i16_e32 vcc, 11, v8
	s_cbranch_vccnz .LBB95_256
; %bb.250:
	v_cmp_lt_i16_e32 vcc, 25, v8
	s_cbranch_vccz .LBB95_257
; %bb.251:
	v_cmp_lt_i16_e32 vcc, 28, v8
	s_cbranch_vccz .LBB95_258
	;; [unrolled: 3-line block ×4, first 2 shown]
; %bb.254:
	v_cmp_eq_u16_e32 vcc, 46, v8
	s_mov_b64 s[24:25], 0
	s_mov_b64 s[20:21], -1
	s_mov_b64 s[22:23], 0
	s_cbranch_vccz .LBB95_261
; %bb.255:
	global_store_dword v[6:7], v12, off
	s_mov_b64 s[22:23], -1
	s_mov_b64 s[20:21], 0
	s_branch .LBB95_261
.LBB95_256:
	s_mov_b64 s[24:25], -1
	s_mov_b64 s[22:23], 0
	s_mov_b64 s[20:21], s[70:71]
	s_branch .LBB95_306
.LBB95_257:
	s_mov_b64 s[24:25], -1
	s_mov_b64 s[22:23], 0
	s_mov_b64 s[20:21], s[70:71]
	s_branch .LBB95_283
.LBB95_258:
	s_mov_b64 s[24:25], -1
	s_mov_b64 s[22:23], 0
	s_mov_b64 s[20:21], s[70:71]
	s_branch .LBB95_269
.LBB95_259:
	s_mov_b64 s[24:25], -1
	s_mov_b64 s[22:23], 0
	s_mov_b64 s[20:21], s[70:71]
	s_branch .LBB95_265
.LBB95_260:
	s_mov_b64 s[24:25], -1
	s_mov_b64 s[22:23], 0
	s_mov_b64 s[20:21], s[70:71]
.LBB95_261:
	s_and_b64 vcc, exec, s[24:25]
	s_cbranch_vccz .LBB95_264
; %bb.262:
	v_cmp_eq_u16_e32 vcc, 44, v8
	s_mov_b64 s[20:21], -1
	s_cbranch_vccz .LBB95_264
; %bb.263:
	v_mov_b32_e32 v2, 0xff
	v_cndmask_b32_e64 v2, v23, v2, s[18:19]
	s_mov_b64 s[22:23], -1
	s_mov_b64 s[20:21], 0
	global_store_byte v[6:7], v2, off
.LBB95_264:
	s_mov_b64 s[24:25], 0
.LBB95_265:
	s_and_b64 vcc, exec, s[24:25]
	s_cbranch_vccz .LBB95_268
; %bb.266:
	v_cmp_eq_u16_e32 vcc, 29, v8
	s_mov_b64 s[20:21], -1
	s_cbranch_vccz .LBB95_268
; %bb.267:
	v_pk_mov_b32 v[2:3], s[48:49], s[48:49] op_sel:[0,1]
	global_store_dwordx2 v[6:7], v[2:3], off
	s_mov_b64 s[22:23], -1
	s_mov_b64 s[20:21], 0
.LBB95_268:
	s_mov_b64 s[24:25], 0
.LBB95_269:
	s_and_b64 vcc, exec, s[24:25]
	s_cbranch_vccz .LBB95_282
; %bb.270:
	v_cmp_gt_i16_e32 vcc, 27, v8
	s_mov_b64 s[22:23], -1
	s_cbranch_vccnz .LBB95_276
; %bb.271:
	v_cmp_lt_i16_e32 vcc, 27, v8
	s_cbranch_vccz .LBB95_273
; %bb.272:
	v_mov_b32_e32 v2, s48
	s_mov_b64 s[22:23], 0
	global_store_dword v[6:7], v2, off
.LBB95_273:
	s_andn2_b64 vcc, exec, s[22:23]
	s_cbranch_vccnz .LBB95_275
; %bb.274:
	global_store_short v[6:7], v9, off
.LBB95_275:
	s_mov_b64 s[22:23], 0
.LBB95_276:
	s_andn2_b64 vcc, exec, s[22:23]
	s_cbranch_vccnz .LBB95_281
; %bb.277:
	s_andn2_b64 vcc, exec, s[16:17]
	v_mov_b32_e32 v2, 0x80
	s_cbranch_vccnz .LBB95_280
; %bb.278:
	s_or_b64 s[22:23], s[14:15], s[52:53]
	s_andn2_b64 vcc, exec, s[22:23]
	v_mov_b32_e32 v2, 0
	s_cbranch_vccnz .LBB95_280
; %bb.279:
	v_cndmask_b32_e64 v2, v22, v21, s[14:15]
.LBB95_280:
	global_store_byte v[6:7], v2, off
.LBB95_281:
	s_mov_b64 s[22:23], -1
.LBB95_282:
	s_mov_b64 s[24:25], 0
.LBB95_283:
	s_and_b64 vcc, exec, s[24:25]
	s_cbranch_vccz .LBB95_305
; %bb.284:
	v_cmp_lt_i16_e32 vcc, 22, v8
	s_mov_b64 s[24:25], -1
	s_cbranch_vccz .LBB95_297
; %bb.285:
	v_cmp_gt_i16_e32 vcc, 24, v8
	s_mov_b64 s[22:23], -1
	s_cbranch_vccnz .LBB95_294
; %bb.286:
	v_cmp_lt_i16_e32 vcc, 24, v8
	s_cbranch_vccz .LBB95_291
; %bb.287:
	s_andn2_b64 vcc, exec, s[12:13]
	v_mov_b32_e32 v2, 0x80
	s_cbranch_vccnz .LBB95_290
; %bb.288:
	s_or_b64 s[22:23], s[10:11], s[50:51]
	s_andn2_b64 vcc, exec, s[22:23]
	v_mov_b32_e32 v2, 0
	s_cbranch_vccnz .LBB95_290
; %bb.289:
	v_cndmask_b32_e64 v2, v19, v18, s[10:11]
.LBB95_290:
	s_mov_b64 s[22:23], 0
	global_store_byte v[6:7], v2, off
.LBB95_291:
	s_and_b64 vcc, exec, s[22:23]
	s_cbranch_vccz .LBB95_293
; %bb.292:
	v_cndmask_b32_e64 v2, v16, v17, s[8:9]
	v_cndmask_b32_e64 v2, v2, v20, s[6:7]
	global_store_byte v[6:7], v2, off
.LBB95_293:
	s_mov_b64 s[22:23], 0
.LBB95_294:
	s_andn2_b64 vcc, exec, s[22:23]
	s_cbranch_vccnz .LBB95_296
; %bb.295:
	v_cndmask_b32_e64 v2, v13, v14, s[2:3]
	v_cndmask_b32_e64 v2, v2, v15, s[0:1]
	global_store_byte v[6:7], v2, off
.LBB95_296:
	s_mov_b64 s[24:25], 0
	s_mov_b64 s[22:23], -1
.LBB95_297:
	s_andn2_b64 vcc, exec, s[24:25]
	s_cbranch_vccnz .LBB95_305
; %bb.298:
	v_cmp_lt_i16_e32 vcc, 14, v8
	s_mov_b64 s[24:25], -1
	s_cbranch_vccz .LBB95_302
; %bb.299:
	v_cmp_eq_u16_e32 vcc, 15, v8
	s_mov_b64 s[20:21], -1
	s_cbranch_vccz .LBB95_301
; %bb.300:
	global_store_short v[6:7], v12, off
	s_mov_b64 s[22:23], -1
	s_mov_b64 s[20:21], 0
.LBB95_301:
	s_mov_b64 s[24:25], 0
.LBB95_302:
	s_and_b64 vcc, exec, s[24:25]
	s_cbranch_vccz .LBB95_305
; %bb.303:
	v_cmp_eq_u16_e32 vcc, 11, v8
	s_mov_b64 s[20:21], -1
	s_cbranch_vccz .LBB95_305
; %bb.304:
	v_mov_b32_e32 v2, s81
	s_mov_b64 s[22:23], -1
	s_mov_b64 s[20:21], 0
	global_store_byte v[6:7], v2, off
.LBB95_305:
	s_mov_b64 s[24:25], 0
.LBB95_306:
	s_and_b64 vcc, exec, s[24:25]
	s_cbranch_vccz .LBB95_345
; %bb.307:
	v_cmp_gt_i16_e32 vcc, 5, v8
	s_mov_b64 s[22:23], -1
	s_cbranch_vccnz .LBB95_328
; %bb.308:
	v_cmp_gt_i16_e32 vcc, 8, v8
	s_cbranch_vccnz .LBB95_318
; %bb.309:
	v_cmp_gt_i16_e32 vcc, 9, v8
	s_cbranch_vccnz .LBB95_315
; %bb.310:
	v_cmp_lt_i16_e32 vcc, 9, v8
	s_cbranch_vccz .LBB95_312
; %bb.311:
	v_mov_b32_e32 v2, 0
	v_mov_b32_e32 v3, v2
	s_mov_b64 s[22:23], 0
	global_store_dwordx4 v[6:7], v[0:3], off
.LBB95_312:
	s_andn2_b64 vcc, exec, s[22:23]
	s_cbranch_vccnz .LBB95_314
; %bb.313:
	v_mov_b32_e32 v5, 0
	global_store_dwordx2 v[6:7], v[4:5], off
.LBB95_314:
	s_mov_b64 s[22:23], 0
.LBB95_315:
	s_andn2_b64 vcc, exec, s[22:23]
	s_cbranch_vccnz .LBB95_317
; %bb.316:
	global_store_dword v[6:7], v10, off
.LBB95_317:
	s_mov_b64 s[22:23], 0
.LBB95_318:
	s_andn2_b64 vcc, exec, s[22:23]
	s_cbranch_vccnz .LBB95_327
; %bb.319:
	v_cmp_gt_i16_e32 vcc, 6, v8
	s_mov_b64 s[22:23], -1
	s_cbranch_vccnz .LBB95_325
; %bb.320:
	v_cmp_lt_i16_e32 vcc, 6, v8
	s_cbranch_vccz .LBB95_322
; %bb.321:
	s_mov_b64 s[22:23], 0
	global_store_dwordx2 v[6:7], v[0:1], off
.LBB95_322:
	s_andn2_b64 vcc, exec, s[22:23]
	s_cbranch_vccnz .LBB95_324
; %bb.323:
	global_store_dword v[6:7], v4, off
.LBB95_324:
	s_mov_b64 s[22:23], 0
.LBB95_325:
	s_andn2_b64 vcc, exec, s[22:23]
	s_cbranch_vccnz .LBB95_327
; %bb.326:
	global_store_short v[6:7], v10, off
.LBB95_327:
	s_mov_b64 s[22:23], 0
.LBB95_328:
	s_andn2_b64 vcc, exec, s[22:23]
	s_cbranch_vccnz .LBB95_344
; %bb.329:
	v_cmp_gt_i16_e32 vcc, 2, v8
	s_mov_b64 s[22:23], -1
	s_cbranch_vccnz .LBB95_339
; %bb.330:
	v_cmp_gt_i16_e32 vcc, 3, v8
	s_cbranch_vccnz .LBB95_336
; %bb.331:
	v_cmp_lt_i16_e32 vcc, 3, v8
	s_cbranch_vccz .LBB95_333
; %bb.332:
	v_pk_mov_b32 v[2:3], s[48:49], s[48:49] op_sel:[0,1]
	s_mov_b64 s[22:23], 0
	global_store_dwordx2 v[6:7], v[2:3], off
.LBB95_333:
	s_andn2_b64 vcc, exec, s[22:23]
	s_cbranch_vccnz .LBB95_335
; %bb.334:
	v_mov_b32_e32 v2, s48
	global_store_dword v[6:7], v2, off
.LBB95_335:
	s_mov_b64 s[22:23], 0
.LBB95_336:
	s_andn2_b64 vcc, exec, s[22:23]
	s_cbranch_vccnz .LBB95_338
; %bb.337:
	global_store_short v[6:7], v9, off
.LBB95_338:
	s_mov_b64 s[22:23], 0
.LBB95_339:
	s_andn2_b64 vcc, exec, s[22:23]
	s_cbranch_vccnz .LBB95_344
; %bb.340:
	v_cmp_lt_i16_e32 vcc, 0, v8
	s_mov_b64 s[22:23], -1
	s_cbranch_vccz .LBB95_342
; %bb.341:
	v_mov_b32_e32 v2, s81
	s_mov_b64 s[22:23], 0
	global_store_byte v[6:7], v2, off
.LBB95_342:
	s_andn2_b64 vcc, exec, s[22:23]
	s_cbranch_vccnz .LBB95_344
; %bb.343:
	v_mov_b32_e32 v2, s81
	global_store_byte v[6:7], v2, off
.LBB95_344:
	s_mov_b64 s[22:23], -1
.LBB95_345:
	s_andn2_b64 vcc, exec, s[22:23]
	s_cbranch_vccnz .LBB95_347
; %bb.346:
	v_add_u32_e32 v11, 0x80, v11
	s_mov_b64 s[22:23], -1
	s_branch .LBB95_348
.LBB95_347:
	s_mov_b64 s[22:23], 0
                                        ; implicit-def: $vgpr11
.LBB95_348:
	s_andn2_b64 s[24:25], s[70:71], exec
	s_and_b64 s[20:21], s[20:21], exec
	s_or_b64 s[76:77], s[24:25], s[20:21]
	s_orn2_b64 s[22:23], s[22:23], exec
.LBB95_349:
	s_or_b64 exec, exec, s[74:75]
	s_mov_b64 s[20:21], 0
	s_mov_b64 s[26:27], 0
                                        ; implicit-def: $vgpr6_vgpr7
	s_and_saveexec_b64 s[74:75], s[22:23]
	s_cbranch_execz .LBB95_420
; %bb.350:
	v_cmp_gt_i32_e32 vcc, s82, v11
	s_mov_b64 s[22:23], 0
	s_mov_b64 s[24:25], s[76:77]
                                        ; implicit-def: $vgpr6_vgpr7
	s_and_saveexec_b64 s[78:79], vcc
	s_cbranch_execz .LBB95_419
; %bb.351:
	s_andn2_b64 vcc, exec, s[44:45]
	s_cbranch_vccnz .LBB95_356
; %bb.352:
	s_andn2_b64 vcc, exec, s[64:65]
	s_cbranch_vccnz .LBB95_357
; %bb.353:
	s_add_i32 s83, s83, 1
	s_mov_b32 s82, 0
	s_cmp_eq_u32 s80, 2
	v_mov_b32_e32 v2, 0
	s_cbranch_scc1 .LBB95_358
; %bb.354:
	s_and_b32 s82, s83, 28
	s_mov_b32 s84, 0
	v_mov_b32_e32 v2, 0
	s_mov_b64 s[64:65], s[4:5]
	v_mov_b32_e32 v5, v11
.LBB95_355:                             ; =>This Inner Loop Header: Depth=1
	s_load_dwordx8 s[20:27], s[64:65], 0x4
	s_load_dwordx4 s[36:39], s[64:65], 0x24
	s_load_dwordx4 s[40:43], s[62:63], 0x0
	s_add_u32 s64, s64, 48
	s_addc_u32 s65, s65, 0
	s_waitcnt lgkmcnt(0)
	v_mul_hi_u32 v3, s21, v5
	v_add_u32_e32 v3, v5, v3
	v_lshrrev_b32_e32 v3, s22, v3
	v_mul_lo_u32 v6, v3, s20
	v_mul_hi_u32 v7, s24, v3
	v_sub_u32_e32 v5, v5, v6
	v_add_u32_e32 v6, v3, v7
	v_lshrrev_b32_e32 v6, s25, v6
	v_mul_lo_u32 v7, v6, s23
	v_mul_hi_u32 v24, s27, v6
	v_sub_u32_e32 v3, v3, v7
	v_add_u32_e32 v7, v6, v24
	v_mul_lo_u32 v5, v5, s40
	v_mul_lo_u32 v3, v3, s41
	v_lshrrev_b32_e32 v7, s36, v7
	v_add3_u32 v2, v5, v2, v3
	v_mul_hi_u32 v5, s38, v7
	v_add_u32_e32 v5, v7, v5
	v_mul_lo_u32 v3, v7, s26
	v_lshrrev_b32_e32 v5, s39, v5
	s_add_i32 s84, s84, 4
	v_sub_u32_e32 v3, v6, v3
	v_mul_lo_u32 v6, v5, s37
	s_add_u32 s62, s62, 16
	v_sub_u32_e32 v6, v7, v6
	s_addc_u32 s63, s63, 0
	v_mul_lo_u32 v3, v3, s42
	v_mul_lo_u32 v6, v6, s43
	s_cmp_eq_u32 s82, s84
	v_add3_u32 v2, v3, v2, v6
	s_cbranch_scc0 .LBB95_355
	s_branch .LBB95_359
.LBB95_356:
	s_mov_b64 s[20:21], -1
                                        ; implicit-def: $vgpr2
	s_branch .LBB95_363
.LBB95_357:
	v_mov_b32_e32 v2, 0
	s_branch .LBB95_362
.LBB95_358:
	v_mov_b32_e32 v5, v11
.LBB95_359:
	s_and_b32 s24, s83, 3
	s_cmp_eq_u32 s24, 0
	s_cbranch_scc1 .LBB95_362
; %bb.360:
	s_lshl_b32 s20, s82, 2
	s_add_u32 s20, s20, s4
	s_addc_u32 s21, s5, 0
	s_add_u32 s20, s20, 0xc4
	s_addc_u32 s21, s21, 0
	s_mul_i32 s22, s82, 12
	s_add_u32 s22, s4, s22
	s_addc_u32 s23, s5, 0
.LBB95_361:                             ; =>This Inner Loop Header: Depth=1
	s_load_dwordx2 s[26:27], s[22:23], 0x4
	s_load_dword s25, s[22:23], 0xc
	s_load_dword s36, s[20:21], 0x0
	s_add_u32 s22, s22, 12
	s_addc_u32 s23, s23, 0
	s_waitcnt lgkmcnt(0)
	v_mul_hi_u32 v3, s27, v5
	v_add_u32_e32 v3, v5, v3
	v_lshrrev_b32_e32 v3, s25, v3
	s_add_u32 s20, s20, 4
	v_mul_lo_u32 v6, v3, s26
	s_addc_u32 s21, s21, 0
	s_add_i32 s24, s24, -1
	v_sub_u32_e32 v6, v5, v6
	s_cmp_lg_u32 s24, 0
	v_mov_b32_e32 v5, v3
	v_mad_u64_u32 v[2:3], s[26:27], v6, s36, v[2:3]
	s_cbranch_scc1 .LBB95_361
.LBB95_362:
	s_mov_b64 s[20:21], 0
.LBB95_363:
	s_andn2_b64 vcc, exec, s[20:21]
	s_cbranch_vccnz .LBB95_366
; %bb.364:
	v_mul_hi_u32 v2, s29, v11
	v_add_u32_e32 v2, v11, v2
	v_lshrrev_b32_e32 v3, s30, v2
	v_mul_lo_u32 v2, v3, s28
	v_sub_u32_e32 v2, v11, v2
	s_andn2_b64 vcc, exec, s[60:61]
	v_mul_lo_u32 v2, v2, s56
	s_cbranch_vccnz .LBB95_366
; %bb.365:
	v_mul_hi_u32 v5, s58, v3
	v_add_u32_e32 v5, v3, v5
	v_lshrrev_b32_e32 v5, s59, v5
	v_mul_lo_u32 v5, v5, s31
	v_sub_u32_e32 v3, v3, v5
	v_mad_u64_u32 v[2:3], s[20:21], v3, s57, v[2:3]
.LBB95_366:
	v_mov_b32_e32 v3, s55
	v_add_co_u32_e32 v6, vcc, s54, v2
	v_addc_co_u32_e32 v7, vcc, 0, v3, vcc
	v_cmp_gt_i16_e32 vcc, 11, v8
	s_cbranch_vccnz .LBB95_416
; %bb.367:
	v_cmp_lt_i16_e32 vcc, 25, v8
	s_mov_b64 s[22:23], -1
	s_mov_b64 s[20:21], s[76:77]
	s_cbranch_vccz .LBB95_395
; %bb.368:
	v_cmp_lt_i16_e32 vcc, 28, v8
	s_mov_b64 s[20:21], s[76:77]
	s_cbranch_vccz .LBB95_382
; %bb.369:
	v_cmp_lt_i16_e32 vcc, 43, v8
	s_mov_b64 s[20:21], s[76:77]
	s_cbranch_vccz .LBB95_378
; %bb.370:
	v_cmp_lt_i16_e32 vcc, 45, v8
	s_mov_b64 s[20:21], s[76:77]
	s_cbranch_vccz .LBB95_374
; %bb.371:
	v_cmp_eq_u16_e32 vcc, 46, v8
	s_mov_b64 s[20:21], -1
	s_cbranch_vccz .LBB95_373
; %bb.372:
	global_store_dword v[6:7], v12, off
	s_mov_b64 s[20:21], 0
.LBB95_373:
	s_mov_b64 s[22:23], 0
.LBB95_374:
	s_and_b64 vcc, exec, s[22:23]
	s_cbranch_vccz .LBB95_377
; %bb.375:
	v_cmp_eq_u16_e32 vcc, 44, v8
	s_mov_b64 s[20:21], -1
	s_cbranch_vccz .LBB95_377
; %bb.376:
	v_mov_b32_e32 v2, 0xff
	v_cndmask_b32_e64 v2, v23, v2, s[18:19]
	global_store_byte v[6:7], v2, off
	s_mov_b64 s[20:21], 0
.LBB95_377:
	s_mov_b64 s[22:23], 0
.LBB95_378:
	s_and_b64 vcc, exec, s[22:23]
	s_cbranch_vccz .LBB95_381
; %bb.379:
	v_cmp_eq_u16_e32 vcc, 29, v8
	s_mov_b64 s[20:21], -1
	s_cbranch_vccz .LBB95_381
; %bb.380:
	v_pk_mov_b32 v[2:3], s[48:49], s[48:49] op_sel:[0,1]
	global_store_dwordx2 v[6:7], v[2:3], off
	s_mov_b64 s[20:21], 0
.LBB95_381:
	s_mov_b64 s[22:23], 0
.LBB95_382:
	s_and_b64 vcc, exec, s[22:23]
	s_cbranch_vccz .LBB95_394
; %bb.383:
	v_cmp_gt_i16_e32 vcc, 27, v8
	s_mov_b64 s[18:19], -1
	s_cbranch_vccnz .LBB95_389
; %bb.384:
	v_cmp_lt_i16_e32 vcc, 27, v8
	s_cbranch_vccz .LBB95_386
; %bb.385:
	v_mov_b32_e32 v2, s48
	s_mov_b64 s[18:19], 0
	global_store_dword v[6:7], v2, off
.LBB95_386:
	s_andn2_b64 vcc, exec, s[18:19]
	s_cbranch_vccnz .LBB95_388
; %bb.387:
	global_store_short v[6:7], v9, off
.LBB95_388:
	s_mov_b64 s[18:19], 0
.LBB95_389:
	s_andn2_b64 vcc, exec, s[18:19]
	s_cbranch_vccnz .LBB95_394
; %bb.390:
	s_andn2_b64 vcc, exec, s[16:17]
	v_mov_b32_e32 v2, 0x80
	s_cbranch_vccnz .LBB95_393
; %bb.391:
	s_or_b64 s[16:17], s[14:15], s[52:53]
	s_andn2_b64 vcc, exec, s[16:17]
	v_mov_b32_e32 v2, 0
	s_cbranch_vccnz .LBB95_393
; %bb.392:
	v_cndmask_b32_e64 v2, v22, v21, s[14:15]
.LBB95_393:
	global_store_byte v[6:7], v2, off
.LBB95_394:
	s_mov_b64 s[22:23], 0
.LBB95_395:
	s_mov_b64 s[14:15], 0
	s_and_b64 vcc, exec, s[22:23]
	s_cbranch_vccz .LBB95_417
; %bb.396:
	v_cmp_lt_i16_e32 vcc, 22, v8
	s_mov_b64 s[16:17], -1
	s_cbranch_vccz .LBB95_409
; %bb.397:
	v_cmp_gt_i16_e32 vcc, 24, v8
	s_cbranch_vccnz .LBB95_406
; %bb.398:
	v_cmp_lt_i16_e32 vcc, 24, v8
	s_cbranch_vccz .LBB95_403
; %bb.399:
	s_andn2_b64 vcc, exec, s[12:13]
	v_mov_b32_e32 v2, 0x80
	s_cbranch_vccnz .LBB95_402
; %bb.400:
	s_or_b64 s[12:13], s[10:11], s[50:51]
	s_andn2_b64 vcc, exec, s[12:13]
	v_mov_b32_e32 v2, 0
	s_cbranch_vccnz .LBB95_402
; %bb.401:
	v_cndmask_b32_e64 v2, v19, v18, s[10:11]
.LBB95_402:
	s_mov_b64 s[16:17], 0
	global_store_byte v[6:7], v2, off
.LBB95_403:
	s_and_b64 vcc, exec, s[16:17]
	s_cbranch_vccz .LBB95_405
; %bb.404:
	v_cndmask_b32_e64 v2, v16, v17, s[8:9]
	v_cndmask_b32_e64 v2, v2, v20, s[6:7]
	global_store_byte v[6:7], v2, off
.LBB95_405:
	s_mov_b64 s[16:17], 0
.LBB95_406:
	s_andn2_b64 vcc, exec, s[16:17]
	s_cbranch_vccnz .LBB95_408
; %bb.407:
	v_cndmask_b32_e64 v2, v13, v14, s[2:3]
	v_cndmask_b32_e64 v2, v2, v15, s[0:1]
	global_store_byte v[6:7], v2, off
.LBB95_408:
	s_mov_b64 s[16:17], 0
.LBB95_409:
	s_andn2_b64 vcc, exec, s[16:17]
	s_mov_b64 s[0:1], 0
	s_cbranch_vccnz .LBB95_418
; %bb.410:
	v_cmp_lt_i16_e32 vcc, 14, v8
	s_mov_b64 s[2:3], -1
	s_cbranch_vccz .LBB95_414
; %bb.411:
	v_cmp_eq_u16_e32 vcc, 15, v8
	s_mov_b64 s[20:21], -1
	s_cbranch_vccz .LBB95_413
; %bb.412:
	global_store_short v[6:7], v12, off
	s_mov_b64 s[20:21], 0
.LBB95_413:
	s_mov_b64 s[2:3], 0
.LBB95_414:
	s_and_b64 vcc, exec, s[2:3]
	s_cbranch_vccz .LBB95_418
; %bb.415:
	v_cmp_ne_u16_e32 vcc, 11, v8
	s_andn2_b64 s[2:3], s[20:21], exec
	s_and_b64 s[6:7], vcc, exec
	s_mov_b64 s[0:1], -1
	s_or_b64 s[20:21], s[2:3], s[6:7]
	s_branch .LBB95_418
.LBB95_416:
	s_mov_b64 s[0:1], 0
	s_mov_b64 s[14:15], -1
	s_mov_b64 s[20:21], s[76:77]
	s_branch .LBB95_418
.LBB95_417:
	s_mov_b64 s[0:1], 0
.LBB95_418:
	s_and_b64 s[22:23], s[0:1], exec
	s_andn2_b64 s[0:1], s[76:77], exec
	s_and_b64 s[2:3], s[20:21], exec
	s_and_b64 s[26:27], s[14:15], exec
	s_or_b64 s[24:25], s[0:1], s[2:3]
.LBB95_419:
	s_or_b64 exec, exec, s[78:79]
	s_andn2_b64 s[0:1], s[76:77], exec
	s_and_b64 s[2:3], s[24:25], exec
	s_and_b64 s[26:27], s[26:27], exec
	;; [unrolled: 1-line block ×3, first 2 shown]
	s_or_b64 s[76:77], s[0:1], s[2:3]
.LBB95_420:
	s_or_b64 exec, exec, s[74:75]
	s_andn2_b64 s[0:1], s[70:71], exec
	s_and_b64 s[2:3], s[76:77], exec
	s_and_b64 s[24:25], s[26:27], exec
	;; [unrolled: 1-line block ×3, first 2 shown]
	s_or_b64 s[70:71], s[0:1], s[2:3]
.LBB95_421:
	s_or_b64 exec, exec, s[72:73]
	s_andn2_b64 s[0:1], s[66:67], exec
	s_and_b64 s[2:3], s[70:71], exec
	s_and_b64 s[20:21], s[24:25], exec
	;; [unrolled: 1-line block ×3, first 2 shown]
	s_or_b64 s[66:67], s[0:1], s[2:3]
	s_or_b64 exec, exec, s[68:69]
	s_mov_b64 s[0:1], 0
	s_and_saveexec_b64 s[2:3], s[66:67]
	s_cbranch_execz .LBB95_122
.LBB95_422:
	s_mov_b64 s[0:1], exec
	s_andn2_b64 s[72:73], s[72:73], exec
	s_trap 2
	s_or_b64 exec, exec, s[2:3]
	s_and_saveexec_b64 s[2:3], s[72:73]
	s_xor_b64 s[2:3], exec, s[2:3]
	s_cbranch_execnz .LBB95_123
.LBB95_423:
	s_or_b64 exec, exec, s[2:3]
	s_and_saveexec_b64 s[2:3], s[20:21]
	s_xor_b64 s[2:3], exec, s[2:3]
	s_cbranch_execz .LBB95_461
.LBB95_424:
	v_cmp_gt_i16_e32 vcc, 5, v8
	s_mov_b64 s[6:7], -1
	s_cbranch_vccnz .LBB95_445
; %bb.425:
	v_cmp_gt_i16_e32 vcc, 8, v8
	s_cbranch_vccnz .LBB95_435
; %bb.426:
	v_cmp_gt_i16_e32 vcc, 9, v8
	s_cbranch_vccnz .LBB95_432
; %bb.427:
	v_cmp_lt_i16_e32 vcc, 9, v8
	s_cbranch_vccz .LBB95_429
; %bb.428:
	v_mov_b32_e32 v2, 0
	v_mov_b32_e32 v3, v2
	s_mov_b64 s[6:7], 0
	global_store_dwordx4 v[6:7], v[0:3], off
.LBB95_429:
	s_andn2_b64 vcc, exec, s[6:7]
	s_cbranch_vccnz .LBB95_431
; %bb.430:
	v_mov_b32_e32 v5, 0
	global_store_dwordx2 v[6:7], v[4:5], off
.LBB95_431:
	s_mov_b64 s[6:7], 0
.LBB95_432:
	s_andn2_b64 vcc, exec, s[6:7]
	s_cbranch_vccnz .LBB95_434
; %bb.433:
	global_store_dword v[6:7], v10, off
.LBB95_434:
	s_mov_b64 s[6:7], 0
.LBB95_435:
	s_andn2_b64 vcc, exec, s[6:7]
	s_cbranch_vccnz .LBB95_444
; %bb.436:
	v_cmp_gt_i16_e32 vcc, 6, v8
	s_mov_b64 s[6:7], -1
	s_cbranch_vccnz .LBB95_442
; %bb.437:
	v_cmp_lt_i16_e32 vcc, 6, v8
	s_cbranch_vccz .LBB95_439
; %bb.438:
	s_mov_b64 s[6:7], 0
	global_store_dwordx2 v[6:7], v[0:1], off
.LBB95_439:
	s_andn2_b64 vcc, exec, s[6:7]
	s_cbranch_vccnz .LBB95_441
; %bb.440:
	global_store_dword v[6:7], v4, off
.LBB95_441:
	s_mov_b64 s[6:7], 0
.LBB95_442:
	s_andn2_b64 vcc, exec, s[6:7]
	s_cbranch_vccnz .LBB95_444
; %bb.443:
	global_store_short v[6:7], v10, off
.LBB95_444:
	s_mov_b64 s[6:7], 0
.LBB95_445:
	s_andn2_b64 vcc, exec, s[6:7]
	s_cbranch_vccnz .LBB95_461
; %bb.446:
	v_cmp_gt_i16_e32 vcc, 2, v8
	s_mov_b64 s[6:7], -1
	s_cbranch_vccnz .LBB95_456
; %bb.447:
	v_cmp_gt_i16_e32 vcc, 3, v8
	s_cbranch_vccnz .LBB95_453
; %bb.448:
	v_cmp_lt_i16_e32 vcc, 3, v8
	s_cbranch_vccz .LBB95_450
; %bb.449:
	v_pk_mov_b32 v[0:1], s[48:49], s[48:49] op_sel:[0,1]
	s_mov_b64 s[6:7], 0
	global_store_dwordx2 v[6:7], v[0:1], off
.LBB95_450:
	s_andn2_b64 vcc, exec, s[6:7]
	s_cbranch_vccnz .LBB95_452
; %bb.451:
	v_mov_b32_e32 v0, s48
	global_store_dword v[6:7], v0, off
.LBB95_452:
	s_mov_b64 s[6:7], 0
.LBB95_453:
	s_andn2_b64 vcc, exec, s[6:7]
	s_cbranch_vccnz .LBB95_455
; %bb.454:
	global_store_short v[6:7], v9, off
.LBB95_455:
	s_mov_b64 s[6:7], 0
.LBB95_456:
	s_andn2_b64 vcc, exec, s[6:7]
	s_cbranch_vccnz .LBB95_461
; %bb.457:
	v_cmp_lt_i16_e32 vcc, 0, v8
	s_mov_b64 s[6:7], -1
	s_cbranch_vccz .LBB95_459
; %bb.458:
	v_mov_b32_e32 v0, s81
	s_mov_b64 s[6:7], 0
	global_store_byte v[6:7], v0, off
.LBB95_459:
	s_andn2_b64 vcc, exec, s[6:7]
	s_cbranch_vccnz .LBB95_461
; %bb.460:
	v_mov_b32_e32 v0, s81
	global_store_byte v[6:7], v0, off
.LBB95_461:
	s_or_b64 exec, exec, s[2:3]
	s_and_b64 s[6:7], s[0:1], exec
                                        ; implicit-def: $vgpr9
                                        ; implicit-def: $vgpr11
.LBB95_462:
	s_or_saveexec_b64 s[24:25], s[46:47]
	s_mov_b64 s[0:1], 0
                                        ; implicit-def: $vgpr8
                                        ; implicit-def: $vgpr0_vgpr1
                                        ; implicit-def: $sgpr2_sgpr3
                                        ; implicit-def: $sgpr18
	s_xor_b64 exec, exec, s[24:25]
	s_cbranch_execz .LBB95_941
; %bb.463:
	v_cndmask_b32_e64 v0, 0, 1, s[44:45]
	v_cmp_ne_u32_e64 s[0:1], 1, v0
	s_andn2_b64 vcc, exec, s[44:45]
	s_cbranch_vccnz .LBB95_469
; %bb.464:
	s_mov_b32 s28, 0
	s_cmp_eq_u32 s33, 0
	v_mov_b32_e32 v6, 0
	s_cbranch_scc1 .LBB95_473
; %bb.465:
	s_min_u32 s29, s80, 15
	s_add_i32 s29, s29, 1
	s_cmp_eq_u32 s80, 2
	v_mov_b32_e32 v6, 0
	s_cbranch_scc1 .LBB95_470
; %bb.466:
	s_add_u32 s2, s4, 0xc4
	s_addc_u32 s3, s5, 0
	s_and_b32 s28, s29, 28
	s_mov_b32 s30, 0
	v_mov_b32_e32 v6, 0
	s_mov_b64 s[26:27], s[4:5]
	v_mov_b32_e32 v0, v11
.LBB95_467:                             ; =>This Inner Loop Header: Depth=1
	s_load_dwordx8 s[8:15], s[26:27], 0x4
	s_load_dwordx4 s[16:19], s[26:27], 0x24
	s_load_dwordx4 s[20:23], s[2:3], 0x0
	s_add_u32 s26, s26, 48
	s_addc_u32 s27, s27, 0
	s_waitcnt lgkmcnt(0)
	v_mul_hi_u32 v1, s9, v0
	v_add_u32_e32 v1, v0, v1
	v_lshrrev_b32_e32 v1, s10, v1
	v_mul_lo_u32 v2, v1, s8
	v_mul_hi_u32 v3, s12, v1
	v_sub_u32_e32 v0, v0, v2
	v_add_u32_e32 v2, v1, v3
	v_lshrrev_b32_e32 v2, s13, v2
	v_mul_lo_u32 v3, v2, s11
	v_mul_hi_u32 v4, s15, v2
	v_sub_u32_e32 v1, v1, v3
	v_add_u32_e32 v3, v2, v4
	v_mul_lo_u32 v0, v0, s20
	v_mul_lo_u32 v1, v1, s21
	v_lshrrev_b32_e32 v3, s16, v3
	v_add3_u32 v1, v0, v6, v1
	v_mul_lo_u32 v0, v3, s14
	v_mul_hi_u32 v4, s18, v3
	v_sub_u32_e32 v0, v2, v0
	v_add_u32_e32 v2, v3, v4
	v_mul_lo_u32 v4, v0, s22
	v_lshrrev_b32_e32 v0, s19, v2
	s_add_i32 s30, s30, 4
	v_mul_lo_u32 v2, v0, s17
	s_add_u32 s2, s2, 16
	v_sub_u32_e32 v2, v3, v2
	s_addc_u32 s3, s3, 0
	v_mul_lo_u32 v2, v2, s23
	s_cmp_lg_u32 s28, s30
	v_add3_u32 v6, v4, v1, v2
	s_cbranch_scc1 .LBB95_467
; %bb.468:
	s_and_b32 s10, s29, 3
	s_cmp_eq_u32 s10, 0
	s_cbranch_scc0 .LBB95_471
	s_branch .LBB95_473
.LBB95_469:
                                        ; implicit-def: $vgpr6
	s_branch .LBB95_474
.LBB95_470:
	v_mov_b32_e32 v0, v11
	s_and_b32 s10, s29, 3
	s_cmp_eq_u32 s10, 0
	s_cbranch_scc1 .LBB95_473
.LBB95_471:
	s_lshl_b32 s2, s28, 2
	s_add_u32 s2, s2, s4
	s_addc_u32 s3, 0, s5
	s_add_u32 s2, s2, 0xc4
	s_addc_u32 s3, s3, 0
	s_mul_i32 s8, s28, 12
	s_add_u32 s8, s4, s8
	s_addc_u32 s9, 0, s5
.LBB95_472:                             ; =>This Inner Loop Header: Depth=1
	s_load_dwordx2 s[12:13], s[8:9], 0x4
	s_load_dword s11, s[8:9], 0xc
	s_load_dword s14, s[2:3], 0x0
	s_add_u32 s8, s8, 12
	s_addc_u32 s9, s9, 0
	s_waitcnt lgkmcnt(0)
	v_mul_hi_u32 v1, s13, v0
	v_add_u32_e32 v1, v0, v1
	v_lshrrev_b32_e32 v1, s11, v1
	s_add_u32 s2, s2, 4
	v_mul_lo_u32 v2, v1, s12
	s_addc_u32 s3, s3, 0
	s_add_i32 s10, s10, -1
	v_sub_u32_e32 v2, v0, v2
	s_cmp_lg_u32 s10, 0
	v_mov_b32_e32 v0, v1
	v_mad_u64_u32 v[6:7], s[12:13], v2, s14, v[6:7]
	s_cbranch_scc1 .LBB95_472
.LBB95_473:
	s_cbranch_execnz .LBB95_476
.LBB95_474:
	s_load_dwordx4 s[8:11], s[4:5], 0x4
	s_load_dword s2, s[4:5], 0xc4
	s_cmp_lt_u32 s33, 2
	s_waitcnt lgkmcnt(0)
	v_mul_hi_u32 v0, s9, v11
	v_add_u32_e32 v0, v11, v0
	v_lshrrev_b32_e32 v0, s10, v0
	v_mul_lo_u32 v1, v0, s8
	v_sub_u32_e32 v1, v11, v1
	v_mul_lo_u32 v6, v1, s2
	s_cbranch_scc1 .LBB95_476
; %bb.475:
	s_load_dwordx4 s[8:11], s[4:5], 0x10
	s_load_dword s2, s[4:5], 0xc8
	s_waitcnt lgkmcnt(0)
	v_mul_hi_u32 v1, s9, v0
	v_add_u32_e32 v1, v0, v1
	v_lshrrev_b32_e32 v1, s10, v1
	v_mul_lo_u32 v1, v1, s8
	v_sub_u32_e32 v0, v0, v1
	v_mad_u64_u32 v[6:7], s[2:3], v0, s2, v[6:7]
.LBB95_476:
	s_and_b64 vcc, exec, s[0:1]
	v_add_u32_e32 v0, 0x80, v11
	s_cbranch_vccnz .LBB95_482
; %bb.477:
	s_mov_b32 s28, 0
	s_cmp_eq_u32 s33, 0
	v_mov_b32_e32 v4, 0
	s_cbranch_scc1 .LBB95_486
; %bb.478:
	s_min_u32 s29, s80, 15
	s_add_i32 s29, s29, 1
	s_cmp_eq_u32 s80, 2
	v_mov_b32_e32 v4, 0
	s_cbranch_scc1 .LBB95_483
; %bb.479:
	s_add_u32 s2, s4, 0xc4
	s_addc_u32 s3, s5, 0
	s_and_b32 s28, s29, 28
	s_mov_b32 s30, 0
	v_mov_b32_e32 v4, 0
	s_mov_b64 s[26:27], s[4:5]
	v_mov_b32_e32 v1, v0
.LBB95_480:                             ; =>This Inner Loop Header: Depth=1
	s_load_dwordx8 s[8:15], s[26:27], 0x4
	s_load_dwordx4 s[16:19], s[26:27], 0x24
	s_load_dwordx4 s[20:23], s[2:3], 0x0
	s_add_u32 s26, s26, 48
	s_addc_u32 s27, s27, 0
	s_waitcnt lgkmcnt(0)
	v_mul_hi_u32 v2, s9, v1
	v_add_u32_e32 v2, v1, v2
	v_lshrrev_b32_e32 v2, s10, v2
	v_mul_lo_u32 v3, v2, s8
	v_mul_hi_u32 v5, s12, v2
	v_sub_u32_e32 v1, v1, v3
	v_add_u32_e32 v3, v2, v5
	v_lshrrev_b32_e32 v3, s13, v3
	v_mul_lo_u32 v5, v3, s11
	v_mul_hi_u32 v7, s15, v3
	v_sub_u32_e32 v2, v2, v5
	v_add_u32_e32 v5, v3, v7
	v_mul_lo_u32 v1, v1, s20
	v_mul_lo_u32 v2, v2, s21
	v_lshrrev_b32_e32 v5, s16, v5
	v_add3_u32 v2, v1, v4, v2
	v_mul_lo_u32 v1, v5, s14
	v_mul_hi_u32 v4, s18, v5
	v_sub_u32_e32 v1, v3, v1
	v_add_u32_e32 v3, v5, v4
	v_mul_lo_u32 v4, v1, s22
	v_lshrrev_b32_e32 v1, s19, v3
	s_add_i32 s30, s30, 4
	v_mul_lo_u32 v3, v1, s17
	s_add_u32 s2, s2, 16
	v_sub_u32_e32 v3, v5, v3
	s_addc_u32 s3, s3, 0
	v_mul_lo_u32 v3, v3, s23
	s_cmp_lg_u32 s28, s30
	v_add3_u32 v4, v4, v2, v3
	s_cbranch_scc1 .LBB95_480
; %bb.481:
	s_and_b32 s10, s29, 3
	s_cmp_eq_u32 s10, 0
	s_cbranch_scc0 .LBB95_484
	s_branch .LBB95_486
.LBB95_482:
                                        ; implicit-def: $vgpr4
	s_branch .LBB95_487
.LBB95_483:
	v_mov_b32_e32 v1, v0
	s_and_b32 s10, s29, 3
	s_cmp_eq_u32 s10, 0
	s_cbranch_scc1 .LBB95_486
.LBB95_484:
	s_lshl_b32 s2, s28, 2
	s_add_u32 s2, s2, s4
	s_addc_u32 s3, 0, s5
	s_add_u32 s2, s2, 0xc4
	s_addc_u32 s3, s3, 0
	s_mul_i32 s8, s28, 12
	s_add_u32 s8, s4, s8
	s_addc_u32 s9, 0, s5
.LBB95_485:                             ; =>This Inner Loop Header: Depth=1
	s_load_dwordx2 s[12:13], s[8:9], 0x4
	s_load_dword s11, s[8:9], 0xc
	s_load_dword s14, s[2:3], 0x0
	s_add_u32 s8, s8, 12
	s_addc_u32 s9, s9, 0
	s_waitcnt lgkmcnt(0)
	v_mul_hi_u32 v2, s13, v1
	v_add_u32_e32 v2, v1, v2
	v_lshrrev_b32_e32 v2, s11, v2
	s_add_u32 s2, s2, 4
	v_mul_lo_u32 v3, v2, s12
	s_addc_u32 s3, s3, 0
	s_add_i32 s10, s10, -1
	v_sub_u32_e32 v3, v1, v3
	s_cmp_lg_u32 s10, 0
	v_mov_b32_e32 v1, v2
	v_mad_u64_u32 v[4:5], s[12:13], v3, s14, v[4:5]
	s_cbranch_scc1 .LBB95_485
.LBB95_486:
	s_cbranch_execnz .LBB95_489
.LBB95_487:
	s_load_dwordx4 s[8:11], s[4:5], 0x4
	s_load_dword s2, s[4:5], 0xc4
	s_cmp_lt_u32 s33, 2
	s_waitcnt lgkmcnt(0)
	v_mul_hi_u32 v1, s9, v0
	v_add_u32_e32 v1, v0, v1
	v_lshrrev_b32_e32 v1, s10, v1
	v_mul_lo_u32 v2, v1, s8
	v_sub_u32_e32 v0, v0, v2
	v_mul_lo_u32 v4, v0, s2
	s_cbranch_scc1 .LBB95_489
; %bb.488:
	s_load_dwordx4 s[8:11], s[4:5], 0x10
	s_load_dword s2, s[4:5], 0xc8
	s_waitcnt lgkmcnt(0)
	v_mul_hi_u32 v0, s9, v1
	v_add_u32_e32 v0, v1, v0
	v_lshrrev_b32_e32 v0, s10, v0
	v_mul_lo_u32 v0, v0, s8
	v_sub_u32_e32 v0, v1, v0
	v_mad_u64_u32 v[4:5], s[2:3], v0, s2, v[4:5]
.LBB95_489:
	s_and_b64 vcc, exec, s[0:1]
	v_add_u32_e32 v0, 0x100, v11
	s_cbranch_vccnz .LBB95_495
; %bb.490:
	s_mov_b32 s28, 0
	s_cmp_eq_u32 s33, 0
	v_mov_b32_e32 v2, 0
	s_cbranch_scc1 .LBB95_499
; %bb.491:
	s_min_u32 s29, s80, 15
	s_add_i32 s29, s29, 1
	s_cmp_eq_u32 s80, 2
	v_mov_b32_e32 v2, 0
	s_cbranch_scc1 .LBB95_496
; %bb.492:
	s_add_u32 s2, s4, 0xc4
	s_addc_u32 s3, s5, 0
	s_and_b32 s28, s29, 28
	s_mov_b32 s30, 0
	v_mov_b32_e32 v2, 0
	s_mov_b64 s[26:27], s[4:5]
	v_mov_b32_e32 v1, v0
.LBB95_493:                             ; =>This Inner Loop Header: Depth=1
	s_load_dwordx8 s[8:15], s[26:27], 0x4
	s_load_dwordx4 s[16:19], s[26:27], 0x24
	s_load_dwordx4 s[20:23], s[2:3], 0x0
	s_add_u32 s26, s26, 48
	s_addc_u32 s27, s27, 0
	s_waitcnt lgkmcnt(0)
	v_mul_hi_u32 v3, s9, v1
	v_add_u32_e32 v3, v1, v3
	v_lshrrev_b32_e32 v3, s10, v3
	v_mul_lo_u32 v5, v3, s8
	v_mul_hi_u32 v7, s12, v3
	v_sub_u32_e32 v1, v1, v5
	v_add_u32_e32 v5, v3, v7
	v_lshrrev_b32_e32 v5, s13, v5
	v_mul_lo_u32 v7, v5, s11
	v_mul_hi_u32 v8, s15, v5
	v_sub_u32_e32 v3, v3, v7
	v_add_u32_e32 v7, v5, v8
	v_mul_lo_u32 v1, v1, s20
	v_mul_lo_u32 v3, v3, s21
	v_lshrrev_b32_e32 v7, s16, v7
	v_add3_u32 v2, v1, v2, v3
	v_mul_lo_u32 v1, v7, s14
	v_mul_hi_u32 v3, s18, v7
	v_sub_u32_e32 v1, v5, v1
	v_add_u32_e32 v3, v7, v3
	v_mul_lo_u32 v5, v1, s22
	v_lshrrev_b32_e32 v1, s19, v3
	s_add_i32 s30, s30, 4
	v_mul_lo_u32 v3, v1, s17
	s_add_u32 s2, s2, 16
	v_sub_u32_e32 v3, v7, v3
	s_addc_u32 s3, s3, 0
	v_mul_lo_u32 v3, v3, s23
	s_cmp_lg_u32 s28, s30
	v_add3_u32 v2, v5, v2, v3
	s_cbranch_scc1 .LBB95_493
; %bb.494:
	s_and_b32 s10, s29, 3
	s_cmp_eq_u32 s10, 0
	s_cbranch_scc0 .LBB95_497
	s_branch .LBB95_499
.LBB95_495:
                                        ; implicit-def: $vgpr2
	s_branch .LBB95_500
.LBB95_496:
	v_mov_b32_e32 v1, v0
	s_and_b32 s10, s29, 3
	s_cmp_eq_u32 s10, 0
	s_cbranch_scc1 .LBB95_499
.LBB95_497:
	s_lshl_b32 s2, s28, 2
	s_add_u32 s2, s2, s4
	s_addc_u32 s3, 0, s5
	s_add_u32 s2, s2, 0xc4
	s_addc_u32 s3, s3, 0
	s_mul_i32 s8, s28, 12
	s_add_u32 s8, s4, s8
	s_addc_u32 s9, 0, s5
.LBB95_498:                             ; =>This Inner Loop Header: Depth=1
	s_load_dwordx2 s[12:13], s[8:9], 0x4
	s_load_dword s11, s[8:9], 0xc
	s_load_dword s14, s[2:3], 0x0
	s_add_u32 s8, s8, 12
	s_addc_u32 s9, s9, 0
	s_waitcnt lgkmcnt(0)
	v_mul_hi_u32 v3, s13, v1
	v_add_u32_e32 v3, v1, v3
	v_lshrrev_b32_e32 v3, s11, v3
	s_add_u32 s2, s2, 4
	v_mul_lo_u32 v5, v3, s12
	s_addc_u32 s3, s3, 0
	s_add_i32 s10, s10, -1
	v_sub_u32_e32 v5, v1, v5
	s_cmp_lg_u32 s10, 0
	v_mov_b32_e32 v1, v3
	v_mad_u64_u32 v[2:3], s[12:13], v5, s14, v[2:3]
	s_cbranch_scc1 .LBB95_498
.LBB95_499:
	s_cbranch_execnz .LBB95_502
.LBB95_500:
	s_load_dwordx4 s[8:11], s[4:5], 0x4
	s_load_dword s2, s[4:5], 0xc4
	s_cmp_lt_u32 s33, 2
	s_waitcnt lgkmcnt(0)
	v_mul_hi_u32 v1, s9, v0
	v_add_u32_e32 v1, v0, v1
	v_lshrrev_b32_e32 v1, s10, v1
	v_mul_lo_u32 v2, v1, s8
	v_sub_u32_e32 v0, v0, v2
	v_mul_lo_u32 v2, v0, s2
	s_cbranch_scc1 .LBB95_502
; %bb.501:
	s_load_dwordx4 s[8:11], s[4:5], 0x10
	s_load_dword s2, s[4:5], 0xc8
	s_waitcnt lgkmcnt(0)
	v_mul_hi_u32 v0, s9, v1
	v_add_u32_e32 v0, v1, v0
	v_lshrrev_b32_e32 v0, s10, v0
	v_mul_lo_u32 v0, v0, s8
	v_sub_u32_e32 v0, v1, v0
	v_mad_u64_u32 v[2:3], s[2:3], v0, s2, v[2:3]
.LBB95_502:
	s_and_b64 vcc, exec, s[0:1]
	s_cbranch_vccnz .LBB95_508
; %bb.503:
	s_mov_b32 s26, 0
	s_cmp_eq_u32 s33, 0
	v_mov_b32_e32 v0, 0
	s_cbranch_scc1 .LBB95_512
; %bb.504:
	s_min_u32 s27, s80, 15
	s_add_i32 s27, s27, 1
	s_cmp_eq_u32 s80, 2
	v_mov_b32_e32 v0, 0
	s_cbranch_scc1 .LBB95_509
; %bb.505:
	s_add_u32 s20, s4, 0xc4
	s_addc_u32 s21, s5, 0
	s_and_b32 s26, s27, 28
	s_mov_b32 s28, 0
	v_mov_b32_e32 v0, 0
	s_mov_b64 s[22:23], s[4:5]
	v_mov_b32_e32 v3, v9
.LBB95_506:                             ; =>This Inner Loop Header: Depth=1
	s_load_dwordx8 s[8:15], s[22:23], 0x4
	s_load_dwordx4 s[0:3], s[22:23], 0x24
	s_load_dwordx4 s[16:19], s[20:21], 0x0
	s_add_u32 s22, s22, 48
	s_addc_u32 s23, s23, 0
	s_waitcnt lgkmcnt(0)
	v_mul_hi_u32 v1, s9, v3
	v_add_u32_e32 v1, v3, v1
	v_lshrrev_b32_e32 v1, s10, v1
	v_mul_lo_u32 v5, v1, s8
	v_mul_hi_u32 v7, s12, v1
	v_sub_u32_e32 v3, v3, v5
	v_add_u32_e32 v5, v1, v7
	v_lshrrev_b32_e32 v5, s13, v5
	v_mul_lo_u32 v7, v5, s11
	v_mul_hi_u32 v8, s15, v5
	v_sub_u32_e32 v1, v1, v7
	v_add_u32_e32 v7, v5, v8
	v_mul_lo_u32 v3, v3, s16
	v_mul_lo_u32 v1, v1, s17
	v_lshrrev_b32_e32 v7, s0, v7
	v_add3_u32 v0, v3, v0, v1
	v_mul_hi_u32 v3, s2, v7
	v_add_u32_e32 v3, v7, v3
	v_mul_lo_u32 v1, v7, s14
	v_lshrrev_b32_e32 v3, s3, v3
	s_add_i32 s28, s28, 4
	v_sub_u32_e32 v1, v5, v1
	v_mul_lo_u32 v5, v3, s1
	s_add_u32 s20, s20, 16
	v_sub_u32_e32 v5, v7, v5
	s_addc_u32 s21, s21, 0
	v_mul_lo_u32 v1, v1, s18
	v_mul_lo_u32 v5, v5, s19
	s_cmp_lg_u32 s26, s28
	v_add3_u32 v0, v1, v0, v5
	s_cbranch_scc1 .LBB95_506
; %bb.507:
	s_and_b32 s8, s27, 3
	s_cmp_eq_u32 s8, 0
	s_cbranch_scc0 .LBB95_510
	s_branch .LBB95_512
.LBB95_508:
                                        ; implicit-def: $vgpr0
	s_branch .LBB95_513
.LBB95_509:
	v_mov_b32_e32 v3, v9
	s_and_b32 s8, s27, 3
	s_cmp_eq_u32 s8, 0
	s_cbranch_scc1 .LBB95_512
.LBB95_510:
	s_lshl_b32 s0, s26, 2
	s_add_u32 s0, s0, s4
	s_addc_u32 s1, 0, s5
	s_add_u32 s0, s0, 0xc4
	s_addc_u32 s1, s1, 0
	s_mul_i32 s2, s26, 12
	s_add_u32 s2, s4, s2
	s_addc_u32 s3, 0, s5
.LBB95_511:                             ; =>This Inner Loop Header: Depth=1
	s_load_dwordx2 s[10:11], s[2:3], 0x4
	s_load_dword s9, s[2:3], 0xc
	s_load_dword s12, s[0:1], 0x0
	s_add_u32 s2, s2, 12
	s_addc_u32 s3, s3, 0
	s_waitcnt lgkmcnt(0)
	v_mul_hi_u32 v1, s11, v3
	v_add_u32_e32 v1, v3, v1
	v_lshrrev_b32_e32 v1, s9, v1
	s_add_u32 s0, s0, 4
	v_mul_lo_u32 v5, v1, s10
	s_addc_u32 s1, s1, 0
	s_add_i32 s8, s8, -1
	v_sub_u32_e32 v5, v3, v5
	s_cmp_lg_u32 s8, 0
	v_mov_b32_e32 v3, v1
	v_mad_u64_u32 v[0:1], s[10:11], v5, s12, v[0:1]
	s_cbranch_scc1 .LBB95_511
.LBB95_512:
	s_cbranch_execnz .LBB95_515
.LBB95_513:
	s_load_dwordx4 s[0:3], s[4:5], 0x4
	s_waitcnt lgkmcnt(0)
	s_load_dword s3, s[4:5], 0xc4
	s_cmp_lt_u32 s33, 2
	v_mul_hi_u32 v0, s1, v9
	v_add_u32_e32 v0, v9, v0
	v_lshrrev_b32_e32 v1, s2, v0
	v_mul_lo_u32 v0, v1, s0
	v_sub_u32_e32 v0, v9, v0
	s_waitcnt lgkmcnt(0)
	v_mul_lo_u32 v0, v0, s3
	s_cbranch_scc1 .LBB95_515
; %bb.514:
	s_load_dwordx4 s[0:3], s[4:5], 0x10
	s_waitcnt lgkmcnt(0)
	s_load_dword s3, s[4:5], 0xc8
	v_mul_hi_u32 v3, s1, v1
	v_add_u32_e32 v3, v1, v3
	v_lshrrev_b32_e32 v3, s2, v3
	v_mul_lo_u32 v3, v3, s0
	v_sub_u32_e32 v1, v1, v3
	s_waitcnt lgkmcnt(0)
	v_mad_u64_u32 v[0:1], s[0:1], v1, s3, v[0:1]
.LBB95_515:
	s_load_dwordx2 s[8:9], s[4:5], 0x108
	s_load_dword s18, s[4:5], 0x110
	s_waitcnt lgkmcnt(0)
	v_mov_b32_e32 v1, s9
	v_add_co_u32_e32 v6, vcc, s8, v6
	v_lshrrev_b16_e64 v8, 8, s18
	v_addc_co_u32_e32 v7, vcc, 0, v1, vcc
	s_bitcmp1_b32 s18, 0
	v_cmp_gt_i16_e64 s[0:1], 11, v8
	s_cselect_b64 s[2:3], -1, 0
	s_and_b64 vcc, exec, s[0:1]
	s_cbranch_vccnz .LBB95_543
; %bb.516:
	v_cmp_lt_i16_e32 vcc, 25, v8
	s_mov_b64 s[14:15], -1
	s_mov_b64 s[10:11], 0
	s_mov_b64 s[12:13], 0
	;; [unrolled: 1-line block ×3, first 2 shown]
	s_cbranch_vccz .LBB95_553
; %bb.517:
	v_cmp_lt_i16_e32 vcc, 28, v8
	s_cbranch_vccz .LBB95_532
; %bb.518:
	v_cmp_lt_i16_e32 vcc, 43, v8
	;; [unrolled: 3-line block ×3, first 2 shown]
	s_cbranch_vccz .LBB95_522
; %bb.520:
	v_cmp_eq_u16_e32 vcc, 46, v8
	s_mov_b64 s[4:5], -1
	s_mov_b64 s[14:15], 0
	s_cbranch_vccz .LBB95_522
; %bb.521:
	v_cndmask_b32_e64 v1, 0, 1.0, s[2:3]
	v_bfe_u32 v3, v1, 16, 1
	v_add_u32_e32 v1, v1, v3
	v_add_u32_e32 v1, 0x7fff, v1
	v_lshrrev_b32_e32 v1, 16, v1
	global_store_dword v[6:7], v1, off
	s_mov_b64 s[4:5], 0
	s_mov_b64 s[12:13], -1
.LBB95_522:
	s_and_b64 vcc, exec, s[14:15]
	s_cbranch_vccz .LBB95_527
; %bb.523:
	v_cmp_eq_u16_e32 vcc, 44, v8
	s_mov_b64 s[4:5], -1
	s_cbranch_vccz .LBB95_527
; %bb.524:
	v_cndmask_b32_e64 v1, 0, 1.0, s[2:3]
	v_readfirstlane_b32 s5, v1
	s_lshr_b32 s4, s5, 23
	s_cmpk_eq_i32 s4, 0xff
	v_mov_b32_e32 v1, 0xff
	s_cbranch_scc1 .LBB95_526
; %bb.525:
	s_bitcmp1_b32 s5, 22
	s_cselect_b64 s[12:13], -1, 0
	s_and_b32 s5, s5, 0x3fffff
	s_or_b32 s5, s4, s5
	s_cmp_lg_u32 s5, 0
	s_cselect_b64 s[14:15], -1, 0
	s_and_b64 s[12:13], s[12:13], s[14:15]
	v_cndmask_b32_e64 v1, 0, 1, s[12:13]
	v_add_u32_e32 v1, s4, v1
.LBB95_526:
	s_mov_b64 s[4:5], 0
	s_mov_b64 s[12:13], -1
	global_store_byte v[6:7], v1, off
.LBB95_527:
	s_mov_b64 s[14:15], 0
.LBB95_528:
	s_and_b64 vcc, exec, s[14:15]
	s_cbranch_vccz .LBB95_531
; %bb.529:
	v_cmp_eq_u16_e32 vcc, 29, v8
	s_mov_b64 s[4:5], -1
	s_cbranch_vccz .LBB95_531
; %bb.530:
	s_and_b32 s4, s18, 0xff
	v_mov_b32_e32 v10, s4
	v_mov_b32_e32 v11, 0
	global_store_dwordx2 v[6:7], v[10:11], off
	s_mov_b64 s[4:5], 0
	s_mov_b64 s[12:13], -1
.LBB95_531:
	s_mov_b64 s[14:15], 0
.LBB95_532:
	s_and_b64 vcc, exec, s[14:15]
	s_cbranch_vccz .LBB95_552
; %bb.533:
	v_cmp_gt_i16_e32 vcc, 27, v8
	s_mov_b64 s[12:13], -1
	s_cbranch_vccnz .LBB95_539
; %bb.534:
	v_cmp_lt_i16_e32 vcc, 27, v8
	s_cbranch_vccz .LBB95_536
; %bb.535:
	s_and_b32 s12, s18, 0xff
	v_mov_b32_e32 v1, s12
	s_mov_b64 s[12:13], 0
	global_store_dword v[6:7], v1, off
.LBB95_536:
	s_andn2_b64 vcc, exec, s[12:13]
	s_cbranch_vccnz .LBB95_538
; %bb.537:
	v_mov_b32_e32 v1, 0xff
	v_and_b32_e32 v1, s18, v1
	global_store_short v[6:7], v1, off
.LBB95_538:
	s_mov_b64 s[12:13], 0
.LBB95_539:
	s_andn2_b64 vcc, exec, s[12:13]
	s_cbranch_vccnz .LBB95_551
; %bb.540:
	v_cndmask_b32_e64 v1, 0, 1.0, s[2:3]
	s_mov_b32 s13, 0x437fffff
	v_cmp_lt_u32_e32 vcc, s13, v1
	v_readfirstlane_b32 s12, v1
	v_mov_b32_e32 v5, 0x80
	s_cbranch_vccnz .LBB95_550
; %bb.541:
	s_cmp_gt_u32 s12, 0x3bffffff
	s_cbranch_scc0 .LBB95_545
; %bb.542:
	s_bfe_u32 s13, s12, 0x10014
	s_add_i32 s12, s12, s13
	s_add_i32 s12, s12, 0x487ffff
	s_lshr_b32 s16, s12, 20
	s_mov_b64 s[14:15], 0
	s_mov_b64 s[12:13], -1
	s_branch .LBB95_546
.LBB95_543:
	s_mov_b64 s[12:13], 0
	s_mov_b64 s[4:5], s[6:7]
	s_cbranch_execnz .LBB95_603
.LBB95_544:
	s_andn2_b64 vcc, exec, s[12:13]
	s_cbranch_vccz .LBB95_641
	s_branch .LBB95_939
.LBB95_545:
	s_mov_b64 s[14:15], -1
	s_mov_b64 s[12:13], 0
                                        ; implicit-def: $sgpr16
.LBB95_546:
	s_andn2_b64 vcc, exec, s[14:15]
	v_mov_b32_e32 v3, s16
                                        ; implicit-def: $sgpr14
	s_cbranch_vccnz .LBB95_548
; %bb.547:
	v_add_f32_e32 v1, 0x46000000, v1
	v_and_b32_e32 v3, 0xff, v1
	s_mov_b32 s14, 0
	v_cmp_ne_u32_e64 s[12:13], 0, v3
.LBB95_548:
	s_andn2_b64 vcc, exec, s[12:13]
	v_mov_b32_e32 v5, s14
	s_cbranch_vccnz .LBB95_550
; %bb.549:
	v_mov_b32_e32 v5, v3
.LBB95_550:
	global_store_byte v[6:7], v5, off
.LBB95_551:
	s_mov_b64 s[12:13], -1
.LBB95_552:
	s_mov_b64 s[14:15], 0
.LBB95_553:
	s_and_b64 vcc, exec, s[14:15]
	s_cbranch_vccz .LBB95_599
; %bb.554:
	v_cmp_lt_i16_e32 vcc, 22, v8
	s_mov_b64 s[10:11], -1
	s_cbranch_vccz .LBB95_592
; %bb.555:
	v_cmp_gt_i16_e32 vcc, 24, v8
	s_cbranch_vccnz .LBB95_579
; %bb.556:
	v_cmp_lt_i16_e32 vcc, 24, v8
	s_cbranch_vccz .LBB95_566
; %bb.557:
	v_cndmask_b32_e64 v1, 0, 1.0, s[2:3]
	s_mov_b32 s11, 0x477fffff
	v_cmp_lt_u32_e32 vcc, s11, v1
	v_readfirstlane_b32 s10, v1
	v_mov_b32_e32 v5, 0x80
	s_cbranch_vccnz .LBB95_565
; %bb.558:
	s_cmp_gt_u32 s10, 0x37ffffff
	s_cbranch_scc0 .LBB95_560
; %bb.559:
	s_bfe_u32 s11, s10, 0x10015
	s_add_i32 s10, s10, s11
	s_add_i32 s10, s10, 0x88fffff
	s_lshr_b32 s14, s10, 21
	s_mov_b64 s[12:13], 0
	s_mov_b64 s[10:11], -1
	s_branch .LBB95_561
.LBB95_560:
	s_mov_b64 s[12:13], -1
	s_mov_b64 s[10:11], 0
                                        ; implicit-def: $sgpr14
.LBB95_561:
	s_andn2_b64 vcc, exec, s[12:13]
	v_mov_b32_e32 v3, s14
                                        ; implicit-def: $sgpr12
	s_cbranch_vccnz .LBB95_563
; %bb.562:
	v_add_f32_e32 v1, 0x42800000, v1
	v_and_b32_e32 v3, 0xff, v1
	s_mov_b32 s12, 0
	v_cmp_ne_u32_e64 s[10:11], 0, v3
.LBB95_563:
	s_andn2_b64 vcc, exec, s[10:11]
	v_mov_b32_e32 v5, s12
	s_cbranch_vccnz .LBB95_565
; %bb.564:
	v_mov_b32_e32 v5, v3
.LBB95_565:
	s_mov_b64 s[10:11], 0
	global_store_byte v[6:7], v5, off
.LBB95_566:
	s_and_b64 vcc, exec, s[10:11]
	s_cbranch_vccz .LBB95_578
; %bb.567:
	v_cndmask_b32_e64 v1, 0, 1.0, s[2:3]
	s_mov_b32 s10, 0x43f00000
	v_cmp_gt_u32_e32 vcc, s10, v1
	v_readfirstlane_b32 s12, v1
	s_cbranch_vccz .LBB95_570
; %bb.568:
	s_cmp_gt_u32 s12, 0x3c7fffff
	s_cbranch_scc0 .LBB95_571
; %bb.569:
	s_bfe_u32 s10, s12, 0x10014
	s_add_i32 s10, s12, s10
	s_add_i32 s10, s10, 0x407ffff
	s_lshr_b32 s11, s10, 20
	s_and_b32 s10, s10, 0xff00000
	s_cmp_lg_u32 s10, 0x7f00000
	s_cselect_b32 s13, s11, 0x7e
	s_mov_b64 s[10:11], 0
	s_branch .LBB95_572
.LBB95_570:
	s_mov_b64 s[10:11], -1
                                        ; implicit-def: $vgpr3
	s_branch .LBB95_575
.LBB95_571:
	s_mov_b64 s[10:11], -1
                                        ; implicit-def: $sgpr13
.LBB95_572:
	s_andn2_b64 vcc, exec, s[10:11]
	v_mov_b32_e32 v3, s13
	s_cbranch_vccnz .LBB95_574
; %bb.573:
	v_add_f32_e32 v3, 0x46800000, v1
.LBB95_574:
	s_mov_b64 s[10:11], 0
.LBB95_575:
	s_andn2_b64 vcc, exec, s[10:11]
	s_cbranch_vccnz .LBB95_577
; %bb.576:
	s_cmp_gt_u32 s12, 0x7f800000
	s_movk_i32 s10, 0x7f
	s_cselect_b32 s10, s10, 0x7e
	v_mov_b32_e32 v3, s10
.LBB95_577:
	global_store_byte v[6:7], v3, off
.LBB95_578:
	s_mov_b64 s[10:11], 0
.LBB95_579:
	s_andn2_b64 vcc, exec, s[10:11]
	s_cbranch_vccnz .LBB95_591
; %bb.580:
	v_cndmask_b32_e64 v1, 0, 1.0, s[2:3]
	s_mov_b32 s10, 0x47800000
	v_cmp_gt_u32_e32 vcc, s10, v1
	v_readfirstlane_b32 s12, v1
	s_cbranch_vccz .LBB95_583
; %bb.581:
	s_cmp_gt_u32 s12, 0x387fffff
	s_cbranch_scc0 .LBB95_584
; %bb.582:
	s_bfe_u32 s10, s12, 0x10015
	s_add_i32 s10, s12, s10
	s_add_i32 s10, s10, 0x80fffff
	s_lshr_b32 s13, s10, 21
	s_mov_b64 s[10:11], 0
	s_branch .LBB95_585
.LBB95_583:
	s_mov_b64 s[10:11], -1
                                        ; implicit-def: $vgpr3
	s_branch .LBB95_588
.LBB95_584:
	s_mov_b64 s[10:11], -1
                                        ; implicit-def: $sgpr13
.LBB95_585:
	s_andn2_b64 vcc, exec, s[10:11]
	v_mov_b32_e32 v3, s13
	s_cbranch_vccnz .LBB95_587
; %bb.586:
	v_add_f32_e32 v3, 0x43000000, v1
.LBB95_587:
	s_mov_b64 s[10:11], 0
.LBB95_588:
	s_andn2_b64 vcc, exec, s[10:11]
	s_cbranch_vccnz .LBB95_590
; %bb.589:
	s_cmp_gt_u32 s12, 0x7f800000
	s_movk_i32 s10, 0x7f
	s_cselect_b32 s10, s10, 0x7c
	v_mov_b32_e32 v3, s10
.LBB95_590:
	global_store_byte v[6:7], v3, off
.LBB95_591:
	s_mov_b64 s[10:11], 0
	s_mov_b64 s[12:13], -1
.LBB95_592:
	s_andn2_b64 vcc, exec, s[10:11]
	s_mov_b64 s[10:11], 0
	s_cbranch_vccnz .LBB95_599
; %bb.593:
	v_cmp_lt_i16_e32 vcc, 14, v8
	s_mov_b64 s[14:15], -1
	s_cbranch_vccz .LBB95_597
; %bb.594:
	v_cmp_eq_u16_e32 vcc, 15, v8
	s_mov_b64 s[4:5], -1
	s_cbranch_vccz .LBB95_596
; %bb.595:
	v_cndmask_b32_e64 v1, 0, 1.0, s[2:3]
	v_bfe_u32 v3, v1, 16, 1
	v_add_u32_e32 v1, v1, v3
	v_add_u32_e32 v1, 0x7fff, v1
	global_store_short_d16_hi v[6:7], v1, off
	s_mov_b64 s[4:5], 0
	s_mov_b64 s[12:13], -1
.LBB95_596:
	s_mov_b64 s[14:15], 0
.LBB95_597:
	s_and_b64 vcc, exec, s[14:15]
	s_cbranch_vccz .LBB95_599
; %bb.598:
	v_cmp_ne_u16_e64 s[4:5], 11, v8
	s_mov_b64 s[10:11], -1
.LBB95_599:
	s_and_b64 vcc, exec, s[4:5]
	s_mov_b64 s[4:5], s[6:7]
	s_cbranch_vccnz .LBB95_671
; %bb.600:
	s_andn2_b64 vcc, exec, s[10:11]
	s_cbranch_vccnz .LBB95_602
.LBB95_601:
	v_mov_b32_e32 v1, s18
	global_store_byte v[6:7], v1, off
	s_mov_b64 s[12:13], -1
.LBB95_602:
	s_branch .LBB95_544
.LBB95_603:
	v_cmp_gt_i16_e32 vcc, 5, v8
	s_mov_b64 s[10:11], -1
	s_cbranch_vccnz .LBB95_624
; %bb.604:
	v_cmp_gt_i16_e32 vcc, 8, v8
	s_cbranch_vccnz .LBB95_614
; %bb.605:
	v_cmp_gt_i16_e32 vcc, 9, v8
	s_cbranch_vccnz .LBB95_611
; %bb.606:
	v_cmp_lt_i16_e32 vcc, 9, v8
	s_cbranch_vccz .LBB95_608
; %bb.607:
	v_cndmask_b32_e64 v1, 0, 1, s[2:3]
	v_mov_b32_e32 v12, 0
	v_cvt_f64_u32_e32 v[10:11], v1
	v_mov_b32_e32 v13, v12
	global_store_dwordx4 v[6:7], v[10:13], off
	s_mov_b64 s[10:11], 0
.LBB95_608:
	s_andn2_b64 vcc, exec, s[10:11]
	s_cbranch_vccnz .LBB95_610
; %bb.609:
	v_cndmask_b32_e64 v10, 0, 1.0, s[2:3]
	v_mov_b32_e32 v11, 0
	global_store_dwordx2 v[6:7], v[10:11], off
.LBB95_610:
	s_mov_b64 s[10:11], 0
.LBB95_611:
	s_andn2_b64 vcc, exec, s[10:11]
	s_cbranch_vccnz .LBB95_613
; %bb.612:
	v_cndmask_b32_e64 v1, 0, 1.0, s[2:3]
	v_cvt_f16_f32_e32 v1, v1
	global_store_dword v[6:7], v1, off
.LBB95_613:
	s_mov_b64 s[10:11], 0
.LBB95_614:
	s_andn2_b64 vcc, exec, s[10:11]
	s_cbranch_vccnz .LBB95_623
; %bb.615:
	v_cmp_gt_i16_e32 vcc, 6, v8
	s_mov_b64 s[10:11], -1
	s_cbranch_vccnz .LBB95_621
; %bb.616:
	v_cmp_lt_i16_e32 vcc, 6, v8
	s_cbranch_vccz .LBB95_618
; %bb.617:
	v_cndmask_b32_e64 v1, 0, 1, s[2:3]
	v_cvt_f64_u32_e32 v[10:11], v1
	global_store_dwordx2 v[6:7], v[10:11], off
	s_mov_b64 s[10:11], 0
.LBB95_618:
	s_andn2_b64 vcc, exec, s[10:11]
	s_cbranch_vccnz .LBB95_620
; %bb.619:
	v_cndmask_b32_e64 v1, 0, 1.0, s[2:3]
	global_store_dword v[6:7], v1, off
.LBB95_620:
	s_mov_b64 s[10:11], 0
.LBB95_621:
	s_andn2_b64 vcc, exec, s[10:11]
	s_cbranch_vccnz .LBB95_623
; %bb.622:
	v_cndmask_b32_e64 v1, 0, 1.0, s[2:3]
	v_cvt_f16_f32_e32 v1, v1
	global_store_short v[6:7], v1, off
.LBB95_623:
	s_mov_b64 s[10:11], 0
.LBB95_624:
	s_andn2_b64 vcc, exec, s[10:11]
	s_cbranch_vccnz .LBB95_640
; %bb.625:
	v_cmp_gt_i16_e32 vcc, 2, v8
	s_mov_b64 s[10:11], -1
	s_cbranch_vccnz .LBB95_635
; %bb.626:
	v_cmp_gt_i16_e32 vcc, 3, v8
	s_cbranch_vccnz .LBB95_632
; %bb.627:
	v_cmp_lt_i16_e32 vcc, 3, v8
	s_cbranch_vccz .LBB95_629
; %bb.628:
	s_and_b32 s10, s18, 0xff
	v_mov_b32_e32 v10, s10
	v_mov_b32_e32 v11, 0
	global_store_dwordx2 v[6:7], v[10:11], off
	s_mov_b64 s[10:11], 0
.LBB95_629:
	s_andn2_b64 vcc, exec, s[10:11]
	s_cbranch_vccnz .LBB95_631
; %bb.630:
	s_and_b32 s10, s18, 0xff
	v_mov_b32_e32 v1, s10
	global_store_dword v[6:7], v1, off
.LBB95_631:
	s_mov_b64 s[10:11], 0
.LBB95_632:
	s_andn2_b64 vcc, exec, s[10:11]
	s_cbranch_vccnz .LBB95_634
; %bb.633:
	v_mov_b32_e32 v1, 0xff
	v_and_b32_e32 v1, s18, v1
	global_store_short v[6:7], v1, off
.LBB95_634:
	s_mov_b64 s[10:11], 0
.LBB95_635:
	s_andn2_b64 vcc, exec, s[10:11]
	s_cbranch_vccnz .LBB95_640
; %bb.636:
	v_cmp_lt_i16_e32 vcc, 0, v8
	s_mov_b64 s[10:11], -1
	s_cbranch_vccz .LBB95_638
; %bb.637:
	v_mov_b32_e32 v1, s18
	global_store_byte v[6:7], v1, off
	s_mov_b64 s[10:11], 0
.LBB95_638:
	s_andn2_b64 vcc, exec, s[10:11]
	s_cbranch_vccnz .LBB95_640
; %bb.639:
	v_mov_b32_e32 v1, s18
	global_store_byte v[6:7], v1, off
.LBB95_640:
.LBB95_641:
	v_mov_b32_e32 v1, s9
	v_add_co_u32_e32 v4, vcc, s8, v4
	v_addc_co_u32_e32 v5, vcc, 0, v1, vcc
	s_and_b64 vcc, exec, s[0:1]
	s_cbranch_vccnz .LBB95_669
; %bb.642:
	v_cmp_lt_i16_e32 vcc, 25, v8
	s_mov_b64 s[16:17], -1
	s_mov_b64 s[12:13], 0
	s_mov_b64 s[14:15], 0
	;; [unrolled: 1-line block ×3, first 2 shown]
	s_cbranch_vccz .LBB95_680
; %bb.643:
	v_cmp_lt_i16_e32 vcc, 28, v8
	s_cbranch_vccz .LBB95_658
; %bb.644:
	v_cmp_lt_i16_e32 vcc, 43, v8
	;; [unrolled: 3-line block ×3, first 2 shown]
	s_cbranch_vccz .LBB95_648
; %bb.646:
	v_cmp_eq_u16_e32 vcc, 46, v8
	s_mov_b64 s[10:11], -1
	s_mov_b64 s[16:17], 0
	s_cbranch_vccz .LBB95_648
; %bb.647:
	v_cndmask_b32_e64 v1, 0, 1.0, s[2:3]
	v_bfe_u32 v3, v1, 16, 1
	v_add_u32_e32 v1, v1, v3
	v_add_u32_e32 v1, 0x7fff, v1
	v_lshrrev_b32_e32 v1, 16, v1
	global_store_dword v[4:5], v1, off
	s_mov_b64 s[10:11], 0
	s_mov_b64 s[14:15], -1
.LBB95_648:
	s_and_b64 vcc, exec, s[16:17]
	s_cbranch_vccz .LBB95_653
; %bb.649:
	v_cmp_eq_u16_e32 vcc, 44, v8
	s_mov_b64 s[10:11], -1
	s_cbranch_vccz .LBB95_653
; %bb.650:
	v_cndmask_b32_e64 v1, 0, 1.0, s[2:3]
	v_readfirstlane_b32 s11, v1
	s_lshr_b32 s10, s11, 23
	s_cmpk_eq_i32 s10, 0xff
	v_mov_b32_e32 v1, 0xff
	s_cbranch_scc1 .LBB95_652
; %bb.651:
	s_bitcmp1_b32 s11, 22
	s_cselect_b64 s[14:15], -1, 0
	s_and_b32 s11, s11, 0x3fffff
	s_or_b32 s11, s10, s11
	s_cmp_lg_u32 s11, 0
	s_cselect_b64 s[16:17], -1, 0
	s_and_b64 s[14:15], s[14:15], s[16:17]
	v_cndmask_b32_e64 v1, 0, 1, s[14:15]
	v_add_u32_e32 v1, s10, v1
.LBB95_652:
	s_mov_b64 s[10:11], 0
	s_mov_b64 s[14:15], -1
	global_store_byte v[4:5], v1, off
.LBB95_653:
	s_mov_b64 s[16:17], 0
.LBB95_654:
	s_and_b64 vcc, exec, s[16:17]
	s_cbranch_vccz .LBB95_657
; %bb.655:
	v_cmp_eq_u16_e32 vcc, 29, v8
	s_mov_b64 s[10:11], -1
	s_cbranch_vccz .LBB95_657
; %bb.656:
	s_and_b32 s10, s18, 0xff
	v_mov_b32_e32 v6, s10
	v_mov_b32_e32 v7, 0
	global_store_dwordx2 v[4:5], v[6:7], off
	s_mov_b64 s[10:11], 0
	s_mov_b64 s[14:15], -1
.LBB95_657:
	s_mov_b64 s[16:17], 0
.LBB95_658:
	s_and_b64 vcc, exec, s[16:17]
	s_cbranch_vccz .LBB95_679
; %bb.659:
	v_cmp_gt_i16_e32 vcc, 27, v8
	s_mov_b64 s[14:15], -1
	s_cbranch_vccnz .LBB95_665
; %bb.660:
	v_cmp_lt_i16_e32 vcc, 27, v8
	s_cbranch_vccz .LBB95_662
; %bb.661:
	s_and_b32 s14, s18, 0xff
	v_mov_b32_e32 v1, s14
	s_mov_b64 s[14:15], 0
	global_store_dword v[4:5], v1, off
.LBB95_662:
	s_andn2_b64 vcc, exec, s[14:15]
	s_cbranch_vccnz .LBB95_664
; %bb.663:
	v_mov_b32_e32 v1, 0xff
	v_and_b32_e32 v1, s18, v1
	global_store_short v[4:5], v1, off
.LBB95_664:
	s_mov_b64 s[14:15], 0
.LBB95_665:
	s_andn2_b64 vcc, exec, s[14:15]
	s_cbranch_vccnz .LBB95_678
; %bb.666:
	v_cndmask_b32_e64 v1, 0, 1.0, s[2:3]
	s_mov_b32 s15, 0x437fffff
	v_cmp_lt_u32_e32 vcc, s15, v1
	v_readfirstlane_b32 s14, v1
	v_mov_b32_e32 v6, 0x80
	s_cbranch_vccnz .LBB95_677
; %bb.667:
	s_cmp_gt_u32 s14, 0x3bffffff
	s_cbranch_scc0 .LBB95_672
; %bb.668:
	s_bfe_u32 s15, s14, 0x10014
	s_add_i32 s14, s14, s15
	s_add_i32 s14, s14, 0x487ffff
	s_lshr_b32 s19, s14, 20
	s_mov_b64 s[16:17], 0
	s_mov_b64 s[14:15], -1
	s_branch .LBB95_673
.LBB95_669:
	s_mov_b64 s[14:15], 0
	s_cbranch_execnz .LBB95_730
.LBB95_670:
	s_andn2_b64 vcc, exec, s[14:15]
	s_cbranch_vccz .LBB95_768
	s_branch .LBB95_939
.LBB95_671:
	s_or_b64 s[4:5], s[6:7], exec
	s_trap 2
	s_cbranch_execz .LBB95_601
	s_branch .LBB95_602
.LBB95_672:
	s_mov_b64 s[16:17], -1
	s_mov_b64 s[14:15], 0
                                        ; implicit-def: $sgpr19
.LBB95_673:
	s_andn2_b64 vcc, exec, s[16:17]
	v_mov_b32_e32 v3, s19
                                        ; implicit-def: $sgpr16
	s_cbranch_vccnz .LBB95_675
; %bb.674:
	v_add_f32_e32 v1, 0x46000000, v1
	v_and_b32_e32 v3, 0xff, v1
	s_mov_b32 s16, 0
	v_cmp_ne_u32_e64 s[14:15], 0, v3
.LBB95_675:
	s_andn2_b64 vcc, exec, s[14:15]
	v_mov_b32_e32 v6, s16
	s_cbranch_vccnz .LBB95_677
; %bb.676:
	v_mov_b32_e32 v6, v3
.LBB95_677:
	global_store_byte v[4:5], v6, off
.LBB95_678:
	s_mov_b64 s[14:15], -1
.LBB95_679:
	s_mov_b64 s[16:17], 0
.LBB95_680:
	s_and_b64 vcc, exec, s[16:17]
	s_cbranch_vccz .LBB95_726
; %bb.681:
	v_cmp_lt_i16_e32 vcc, 22, v8
	s_mov_b64 s[12:13], -1
	s_cbranch_vccz .LBB95_719
; %bb.682:
	v_cmp_gt_i16_e32 vcc, 24, v8
	s_cbranch_vccnz .LBB95_706
; %bb.683:
	v_cmp_lt_i16_e32 vcc, 24, v8
	s_cbranch_vccz .LBB95_693
; %bb.684:
	v_cndmask_b32_e64 v1, 0, 1.0, s[2:3]
	s_mov_b32 s13, 0x477fffff
	v_cmp_lt_u32_e32 vcc, s13, v1
	v_readfirstlane_b32 s12, v1
	v_mov_b32_e32 v6, 0x80
	s_cbranch_vccnz .LBB95_692
; %bb.685:
	s_cmp_gt_u32 s12, 0x37ffffff
	s_cbranch_scc0 .LBB95_687
; %bb.686:
	s_bfe_u32 s13, s12, 0x10015
	s_add_i32 s12, s12, s13
	s_add_i32 s12, s12, 0x88fffff
	s_lshr_b32 s16, s12, 21
	s_mov_b64 s[14:15], 0
	s_mov_b64 s[12:13], -1
	s_branch .LBB95_688
.LBB95_687:
	s_mov_b64 s[14:15], -1
	s_mov_b64 s[12:13], 0
                                        ; implicit-def: $sgpr16
.LBB95_688:
	s_andn2_b64 vcc, exec, s[14:15]
	v_mov_b32_e32 v3, s16
                                        ; implicit-def: $sgpr14
	s_cbranch_vccnz .LBB95_690
; %bb.689:
	v_add_f32_e32 v1, 0x42800000, v1
	v_and_b32_e32 v3, 0xff, v1
	s_mov_b32 s14, 0
	v_cmp_ne_u32_e64 s[12:13], 0, v3
.LBB95_690:
	s_andn2_b64 vcc, exec, s[12:13]
	v_mov_b32_e32 v6, s14
	s_cbranch_vccnz .LBB95_692
; %bb.691:
	v_mov_b32_e32 v6, v3
.LBB95_692:
	s_mov_b64 s[12:13], 0
	global_store_byte v[4:5], v6, off
.LBB95_693:
	s_and_b64 vcc, exec, s[12:13]
	s_cbranch_vccz .LBB95_705
; %bb.694:
	v_cndmask_b32_e64 v1, 0, 1.0, s[2:3]
	s_mov_b32 s12, 0x43f00000
	v_cmp_gt_u32_e32 vcc, s12, v1
	v_readfirstlane_b32 s14, v1
	s_cbranch_vccz .LBB95_697
; %bb.695:
	s_cmp_gt_u32 s14, 0x3c7fffff
	s_cbranch_scc0 .LBB95_698
; %bb.696:
	s_bfe_u32 s12, s14, 0x10014
	s_add_i32 s12, s14, s12
	s_add_i32 s12, s12, 0x407ffff
	s_lshr_b32 s13, s12, 20
	s_and_b32 s12, s12, 0xff00000
	s_cmp_lg_u32 s12, 0x7f00000
	s_cselect_b32 s15, s13, 0x7e
	s_mov_b64 s[12:13], 0
	s_branch .LBB95_699
.LBB95_697:
	s_mov_b64 s[12:13], -1
                                        ; implicit-def: $vgpr3
	s_branch .LBB95_702
.LBB95_698:
	s_mov_b64 s[12:13], -1
                                        ; implicit-def: $sgpr15
.LBB95_699:
	s_andn2_b64 vcc, exec, s[12:13]
	v_mov_b32_e32 v3, s15
	s_cbranch_vccnz .LBB95_701
; %bb.700:
	v_add_f32_e32 v3, 0x46800000, v1
.LBB95_701:
	s_mov_b64 s[12:13], 0
.LBB95_702:
	s_andn2_b64 vcc, exec, s[12:13]
	s_cbranch_vccnz .LBB95_704
; %bb.703:
	s_cmp_gt_u32 s14, 0x7f800000
	s_movk_i32 s12, 0x7f
	s_cselect_b32 s12, s12, 0x7e
	v_mov_b32_e32 v3, s12
.LBB95_704:
	global_store_byte v[4:5], v3, off
.LBB95_705:
	s_mov_b64 s[12:13], 0
.LBB95_706:
	s_andn2_b64 vcc, exec, s[12:13]
	s_cbranch_vccnz .LBB95_718
; %bb.707:
	v_cndmask_b32_e64 v1, 0, 1.0, s[2:3]
	s_mov_b32 s12, 0x47800000
	v_cmp_gt_u32_e32 vcc, s12, v1
	v_readfirstlane_b32 s14, v1
	s_cbranch_vccz .LBB95_710
; %bb.708:
	s_cmp_gt_u32 s14, 0x387fffff
	s_cbranch_scc0 .LBB95_711
; %bb.709:
	s_bfe_u32 s12, s14, 0x10015
	s_add_i32 s12, s14, s12
	s_add_i32 s12, s12, 0x80fffff
	s_lshr_b32 s15, s12, 21
	s_mov_b64 s[12:13], 0
	s_branch .LBB95_712
.LBB95_710:
	s_mov_b64 s[12:13], -1
                                        ; implicit-def: $vgpr3
	s_branch .LBB95_715
.LBB95_711:
	s_mov_b64 s[12:13], -1
                                        ; implicit-def: $sgpr15
.LBB95_712:
	s_andn2_b64 vcc, exec, s[12:13]
	v_mov_b32_e32 v3, s15
	s_cbranch_vccnz .LBB95_714
; %bb.713:
	v_add_f32_e32 v3, 0x43000000, v1
.LBB95_714:
	s_mov_b64 s[12:13], 0
.LBB95_715:
	s_andn2_b64 vcc, exec, s[12:13]
	s_cbranch_vccnz .LBB95_717
; %bb.716:
	s_cmp_gt_u32 s14, 0x7f800000
	s_movk_i32 s12, 0x7f
	s_cselect_b32 s12, s12, 0x7c
	v_mov_b32_e32 v3, s12
.LBB95_717:
	global_store_byte v[4:5], v3, off
.LBB95_718:
	s_mov_b64 s[12:13], 0
	s_mov_b64 s[14:15], -1
.LBB95_719:
	s_andn2_b64 vcc, exec, s[12:13]
	s_mov_b64 s[12:13], 0
	s_cbranch_vccnz .LBB95_726
; %bb.720:
	v_cmp_lt_i16_e32 vcc, 14, v8
	s_mov_b64 s[16:17], -1
	s_cbranch_vccz .LBB95_724
; %bb.721:
	v_cmp_eq_u16_e32 vcc, 15, v8
	s_mov_b64 s[10:11], -1
	s_cbranch_vccz .LBB95_723
; %bb.722:
	v_cndmask_b32_e64 v1, 0, 1.0, s[2:3]
	v_bfe_u32 v3, v1, 16, 1
	v_add_u32_e32 v1, v1, v3
	v_add_u32_e32 v1, 0x7fff, v1
	global_store_short_d16_hi v[4:5], v1, off
	s_mov_b64 s[10:11], 0
	s_mov_b64 s[14:15], -1
.LBB95_723:
	s_mov_b64 s[16:17], 0
.LBB95_724:
	s_and_b64 vcc, exec, s[16:17]
	s_cbranch_vccz .LBB95_726
; %bb.725:
	v_cmp_ne_u16_e64 s[10:11], 11, v8
	s_mov_b64 s[12:13], -1
.LBB95_726:
	s_and_b64 vcc, exec, s[10:11]
	s_cbranch_vccnz .LBB95_828
; %bb.727:
	s_andn2_b64 vcc, exec, s[12:13]
	s_cbranch_vccnz .LBB95_729
.LBB95_728:
	v_mov_b32_e32 v1, s18
	s_mov_b64 s[14:15], -1
	global_store_byte v[4:5], v1, off
.LBB95_729:
	s_branch .LBB95_670
.LBB95_730:
	v_cmp_gt_i16_e32 vcc, 5, v8
	s_mov_b64 s[10:11], -1
	s_cbranch_vccnz .LBB95_751
; %bb.731:
	v_cmp_gt_i16_e32 vcc, 8, v8
	s_cbranch_vccnz .LBB95_741
; %bb.732:
	v_cmp_gt_i16_e32 vcc, 9, v8
	s_cbranch_vccnz .LBB95_738
; %bb.733:
	v_cmp_lt_i16_e32 vcc, 9, v8
	s_cbranch_vccz .LBB95_735
; %bb.734:
	v_cndmask_b32_e64 v1, 0, 1, s[2:3]
	v_mov_b32_e32 v12, 0
	v_cvt_f64_u32_e32 v[10:11], v1
	v_mov_b32_e32 v13, v12
	global_store_dwordx4 v[4:5], v[10:13], off
	s_mov_b64 s[10:11], 0
.LBB95_735:
	s_andn2_b64 vcc, exec, s[10:11]
	s_cbranch_vccnz .LBB95_737
; %bb.736:
	v_cndmask_b32_e64 v6, 0, 1.0, s[2:3]
	v_mov_b32_e32 v7, 0
	global_store_dwordx2 v[4:5], v[6:7], off
.LBB95_737:
	s_mov_b64 s[10:11], 0
.LBB95_738:
	s_andn2_b64 vcc, exec, s[10:11]
	s_cbranch_vccnz .LBB95_740
; %bb.739:
	v_cndmask_b32_e64 v1, 0, 1.0, s[2:3]
	v_cvt_f16_f32_e32 v1, v1
	global_store_dword v[4:5], v1, off
.LBB95_740:
	s_mov_b64 s[10:11], 0
.LBB95_741:
	s_andn2_b64 vcc, exec, s[10:11]
	s_cbranch_vccnz .LBB95_750
; %bb.742:
	v_cmp_gt_i16_e32 vcc, 6, v8
	s_mov_b64 s[10:11], -1
	s_cbranch_vccnz .LBB95_748
; %bb.743:
	v_cmp_lt_i16_e32 vcc, 6, v8
	s_cbranch_vccz .LBB95_745
; %bb.744:
	v_cndmask_b32_e64 v1, 0, 1, s[2:3]
	v_cvt_f64_u32_e32 v[6:7], v1
	global_store_dwordx2 v[4:5], v[6:7], off
	s_mov_b64 s[10:11], 0
.LBB95_745:
	s_andn2_b64 vcc, exec, s[10:11]
	s_cbranch_vccnz .LBB95_747
; %bb.746:
	v_cndmask_b32_e64 v1, 0, 1.0, s[2:3]
	global_store_dword v[4:5], v1, off
.LBB95_747:
	s_mov_b64 s[10:11], 0
.LBB95_748:
	s_andn2_b64 vcc, exec, s[10:11]
	s_cbranch_vccnz .LBB95_750
; %bb.749:
	v_cndmask_b32_e64 v1, 0, 1.0, s[2:3]
	v_cvt_f16_f32_e32 v1, v1
	global_store_short v[4:5], v1, off
.LBB95_750:
	s_mov_b64 s[10:11], 0
.LBB95_751:
	s_andn2_b64 vcc, exec, s[10:11]
	s_cbranch_vccnz .LBB95_767
; %bb.752:
	v_cmp_gt_i16_e32 vcc, 2, v8
	s_mov_b64 s[10:11], -1
	s_cbranch_vccnz .LBB95_762
; %bb.753:
	v_cmp_gt_i16_e32 vcc, 3, v8
	s_cbranch_vccnz .LBB95_759
; %bb.754:
	v_cmp_lt_i16_e32 vcc, 3, v8
	s_cbranch_vccz .LBB95_756
; %bb.755:
	s_and_b32 s10, s18, 0xff
	v_mov_b32_e32 v6, s10
	v_mov_b32_e32 v7, 0
	global_store_dwordx2 v[4:5], v[6:7], off
	s_mov_b64 s[10:11], 0
.LBB95_756:
	s_andn2_b64 vcc, exec, s[10:11]
	s_cbranch_vccnz .LBB95_758
; %bb.757:
	s_and_b32 s10, s18, 0xff
	v_mov_b32_e32 v1, s10
	global_store_dword v[4:5], v1, off
.LBB95_758:
	s_mov_b64 s[10:11], 0
.LBB95_759:
	s_andn2_b64 vcc, exec, s[10:11]
	s_cbranch_vccnz .LBB95_761
; %bb.760:
	v_mov_b32_e32 v1, 0xff
	v_and_b32_e32 v1, s18, v1
	global_store_short v[4:5], v1, off
.LBB95_761:
	s_mov_b64 s[10:11], 0
.LBB95_762:
	s_andn2_b64 vcc, exec, s[10:11]
	s_cbranch_vccnz .LBB95_767
; %bb.763:
	v_cmp_lt_i16_e32 vcc, 0, v8
	s_mov_b64 s[10:11], -1
	s_cbranch_vccz .LBB95_765
; %bb.764:
	v_mov_b32_e32 v1, s18
	global_store_byte v[4:5], v1, off
	s_mov_b64 s[10:11], 0
.LBB95_765:
	s_andn2_b64 vcc, exec, s[10:11]
	s_cbranch_vccnz .LBB95_767
; %bb.766:
	v_mov_b32_e32 v1, s18
	global_store_byte v[4:5], v1, off
.LBB95_767:
.LBB95_768:
	v_mov_b32_e32 v1, s9
	v_add_co_u32_e32 v2, vcc, s8, v2
	v_addc_co_u32_e32 v3, vcc, 0, v1, vcc
	s_and_b64 vcc, exec, s[0:1]
	s_cbranch_vccnz .LBB95_796
; %bb.769:
	v_cmp_lt_i16_e32 vcc, 25, v8
	s_mov_b64 s[16:17], -1
	s_mov_b64 s[12:13], 0
	s_mov_b64 s[14:15], 0
	;; [unrolled: 1-line block ×3, first 2 shown]
	s_cbranch_vccz .LBB95_837
; %bb.770:
	v_cmp_lt_i16_e32 vcc, 28, v8
	s_cbranch_vccz .LBB95_785
; %bb.771:
	v_cmp_lt_i16_e32 vcc, 43, v8
	;; [unrolled: 3-line block ×3, first 2 shown]
	s_cbranch_vccz .LBB95_775
; %bb.773:
	v_cmp_eq_u16_e32 vcc, 46, v8
	s_mov_b64 s[10:11], -1
	s_mov_b64 s[16:17], 0
	s_cbranch_vccz .LBB95_775
; %bb.774:
	v_cndmask_b32_e64 v1, 0, 1.0, s[2:3]
	v_bfe_u32 v4, v1, 16, 1
	v_add_u32_e32 v1, v1, v4
	v_add_u32_e32 v1, 0x7fff, v1
	v_lshrrev_b32_e32 v1, 16, v1
	global_store_dword v[2:3], v1, off
	s_mov_b64 s[10:11], 0
	s_mov_b64 s[14:15], -1
.LBB95_775:
	s_and_b64 vcc, exec, s[16:17]
	s_cbranch_vccz .LBB95_780
; %bb.776:
	v_cmp_eq_u16_e32 vcc, 44, v8
	s_mov_b64 s[10:11], -1
	s_cbranch_vccz .LBB95_780
; %bb.777:
	v_cndmask_b32_e64 v1, 0, 1.0, s[2:3]
	v_readfirstlane_b32 s11, v1
	s_lshr_b32 s10, s11, 23
	s_cmpk_eq_i32 s10, 0xff
	v_mov_b32_e32 v1, 0xff
	s_cbranch_scc1 .LBB95_779
; %bb.778:
	s_bitcmp1_b32 s11, 22
	s_cselect_b64 s[14:15], -1, 0
	s_and_b32 s11, s11, 0x3fffff
	s_or_b32 s11, s10, s11
	s_cmp_lg_u32 s11, 0
	s_cselect_b64 s[16:17], -1, 0
	s_and_b64 s[14:15], s[14:15], s[16:17]
	v_cndmask_b32_e64 v1, 0, 1, s[14:15]
	v_add_u32_e32 v1, s10, v1
.LBB95_779:
	s_mov_b64 s[10:11], 0
	s_mov_b64 s[14:15], -1
	global_store_byte v[2:3], v1, off
.LBB95_780:
	s_mov_b64 s[16:17], 0
.LBB95_781:
	s_and_b64 vcc, exec, s[16:17]
	s_cbranch_vccz .LBB95_784
; %bb.782:
	v_cmp_eq_u16_e32 vcc, 29, v8
	s_mov_b64 s[10:11], -1
	s_cbranch_vccz .LBB95_784
; %bb.783:
	s_and_b32 s10, s18, 0xff
	v_mov_b32_e32 v4, s10
	v_mov_b32_e32 v5, 0
	global_store_dwordx2 v[2:3], v[4:5], off
	s_mov_b64 s[10:11], 0
	s_mov_b64 s[14:15], -1
.LBB95_784:
	s_mov_b64 s[16:17], 0
.LBB95_785:
	s_and_b64 vcc, exec, s[16:17]
	s_cbranch_vccz .LBB95_836
; %bb.786:
	v_cmp_gt_i16_e32 vcc, 27, v8
	s_mov_b64 s[14:15], -1
	s_cbranch_vccnz .LBB95_792
; %bb.787:
	v_cmp_lt_i16_e32 vcc, 27, v8
	s_cbranch_vccz .LBB95_789
; %bb.788:
	s_and_b32 s14, s18, 0xff
	v_mov_b32_e32 v1, s14
	s_mov_b64 s[14:15], 0
	global_store_dword v[2:3], v1, off
.LBB95_789:
	s_andn2_b64 vcc, exec, s[14:15]
	s_cbranch_vccnz .LBB95_791
; %bb.790:
	v_mov_b32_e32 v1, 0xff
	v_and_b32_e32 v1, s18, v1
	global_store_short v[2:3], v1, off
.LBB95_791:
	s_mov_b64 s[14:15], 0
.LBB95_792:
	s_andn2_b64 vcc, exec, s[14:15]
	s_cbranch_vccnz .LBB95_835
; %bb.793:
	v_cndmask_b32_e64 v1, 0, 1.0, s[2:3]
	s_mov_b32 s15, 0x437fffff
	v_cmp_lt_u32_e32 vcc, s15, v1
	v_readfirstlane_b32 s14, v1
	v_mov_b32_e32 v5, 0x80
	s_cbranch_vccnz .LBB95_834
; %bb.794:
	s_cmp_gt_u32 s14, 0x3bffffff
	s_cbranch_scc0 .LBB95_829
; %bb.795:
	s_bfe_u32 s15, s14, 0x10014
	s_add_i32 s14, s14, s15
	s_add_i32 s14, s14, 0x487ffff
	s_lshr_b32 s19, s14, 20
	s_mov_b64 s[16:17], 0
	s_mov_b64 s[14:15], -1
	s_branch .LBB95_830
.LBB95_796:
	s_mov_b64 s[14:15], 0
	s_cbranch_execnz .LBB95_901
.LBB95_797:
	s_andn2_b64 vcc, exec, s[14:15]
	s_cbranch_vccnz .LBB95_939
.LBB95_798:
	v_mov_b32_e32 v1, s9
	v_add_co_u32_e32 v0, vcc, s8, v0
	v_addc_co_u32_e32 v1, vcc, 0, v1, vcc
	s_and_b64 vcc, exec, s[0:1]
	s_cbranch_vccnz .LBB95_827
; %bb.799:
	v_cmp_lt_i16_e32 vcc, 25, v8
	s_mov_b64 s[10:11], -1
	s_mov_b64 s[8:9], 0
	s_mov_b64 s[0:1], 0
	s_cbranch_vccz .LBB95_851
; %bb.800:
	v_cmp_lt_i16_e32 vcc, 28, v8
	s_cbranch_vccz .LBB95_816
; %bb.801:
	v_cmp_lt_i16_e32 vcc, 43, v8
	;; [unrolled: 3-line block ×3, first 2 shown]
	s_cbranch_vccz .LBB95_806
; %bb.803:
	v_cmp_eq_u16_e32 vcc, 46, v8
	s_mov_b64 s[0:1], -1
	s_cbranch_vccz .LBB95_805
; %bb.804:
	v_cndmask_b32_e64 v2, 0, 1.0, s[2:3]
	v_bfe_u32 v3, v2, 16, 1
	v_add_u32_e32 v2, v2, v3
	v_add_u32_e32 v2, 0x7fff, v2
	v_lshrrev_b32_e32 v2, 16, v2
	global_store_dword v[0:1], v2, off
	s_mov_b64 s[0:1], 0
.LBB95_805:
	s_mov_b64 s[10:11], 0
.LBB95_806:
	s_and_b64 vcc, exec, s[10:11]
	s_cbranch_vccz .LBB95_811
; %bb.807:
	v_cmp_eq_u16_e32 vcc, 44, v8
	s_mov_b64 s[0:1], -1
	s_cbranch_vccz .LBB95_811
; %bb.808:
	v_cndmask_b32_e64 v2, 0, 1.0, s[2:3]
	v_readfirstlane_b32 s1, v2
	s_lshr_b32 s0, s1, 23
	s_cmpk_eq_i32 s0, 0xff
	v_mov_b32_e32 v2, 0xff
	s_cbranch_scc1 .LBB95_810
; %bb.809:
	s_bitcmp1_b32 s1, 22
	s_cselect_b64 s[10:11], -1, 0
	s_and_b32 s1, s1, 0x3fffff
	s_or_b32 s1, s0, s1
	s_cmp_lg_u32 s1, 0
	s_cselect_b64 s[12:13], -1, 0
	s_and_b64 s[10:11], s[10:11], s[12:13]
	v_cndmask_b32_e64 v2, 0, 1, s[10:11]
	v_add_u32_e32 v2, s0, v2
.LBB95_810:
	s_mov_b64 s[0:1], 0
	global_store_byte v[0:1], v2, off
.LBB95_811:
	s_mov_b64 s[10:11], 0
.LBB95_812:
	s_and_b64 vcc, exec, s[10:11]
	s_cbranch_vccz .LBB95_815
; %bb.813:
	v_cmp_eq_u16_e32 vcc, 29, v8
	s_mov_b64 s[0:1], -1
	s_cbranch_vccz .LBB95_815
; %bb.814:
	s_and_b32 s0, s18, 0xff
	v_mov_b32_e32 v2, s0
	v_mov_b32_e32 v3, 0
	global_store_dwordx2 v[0:1], v[2:3], off
	s_mov_b64 s[0:1], 0
.LBB95_815:
	s_mov_b64 s[10:11], 0
.LBB95_816:
	s_and_b64 vcc, exec, s[10:11]
	s_cbranch_vccz .LBB95_850
; %bb.817:
	v_cmp_gt_i16_e32 vcc, 27, v8
	s_mov_b64 s[10:11], -1
	s_cbranch_vccnz .LBB95_823
; %bb.818:
	v_cmp_lt_i16_e32 vcc, 27, v8
	s_cbranch_vccz .LBB95_820
; %bb.819:
	s_and_b32 s10, s18, 0xff
	v_mov_b32_e32 v2, s10
	global_store_dword v[0:1], v2, off
	s_mov_b64 s[10:11], 0
.LBB95_820:
	s_andn2_b64 vcc, exec, s[10:11]
	s_cbranch_vccnz .LBB95_822
; %bb.821:
	v_mov_b32_e32 v2, 0xff
	v_and_b32_e32 v2, s18, v2
	global_store_short v[0:1], v2, off
.LBB95_822:
	s_mov_b64 s[10:11], 0
.LBB95_823:
	s_andn2_b64 vcc, exec, s[10:11]
	s_cbranch_vccnz .LBB95_850
; %bb.824:
	v_cndmask_b32_e64 v2, 0, 1.0, s[2:3]
	s_mov_b32 s11, 0x437fffff
	v_cmp_lt_u32_e32 vcc, s11, v2
	v_readfirstlane_b32 s10, v2
	v_mov_b32_e32 v4, 0x80
	s_cbranch_vccnz .LBB95_849
; %bb.825:
	s_cmp_gt_u32 s10, 0x3bffffff
	s_cbranch_scc0 .LBB95_844
; %bb.826:
	s_bfe_u32 s11, s10, 0x10014
	s_add_i32 s10, s10, s11
	s_add_i32 s10, s10, 0x487ffff
	s_lshr_b32 s14, s10, 20
	s_mov_b64 s[12:13], 0
	s_mov_b64 s[10:11], -1
	s_branch .LBB95_845
.LBB95_827:
	s_mov_b64 s[8:9], 0
	s_mov_b64 s[0:1], -1
	s_branch .LBB95_940
.LBB95_828:
	s_trap 2
	s_or_b64 s[4:5], s[4:5], exec
	s_cbranch_execz .LBB95_728
	s_branch .LBB95_729
.LBB95_829:
	s_mov_b64 s[16:17], -1
	s_mov_b64 s[14:15], 0
                                        ; implicit-def: $sgpr19
.LBB95_830:
	s_andn2_b64 vcc, exec, s[16:17]
	v_mov_b32_e32 v4, s19
                                        ; implicit-def: $sgpr16
	s_cbranch_vccnz .LBB95_832
; %bb.831:
	v_add_f32_e32 v1, 0x46000000, v1
	v_and_b32_e32 v4, 0xff, v1
	s_mov_b32 s16, 0
	v_cmp_ne_u32_e64 s[14:15], 0, v4
.LBB95_832:
	s_andn2_b64 vcc, exec, s[14:15]
	v_mov_b32_e32 v5, s16
	s_cbranch_vccnz .LBB95_834
; %bb.833:
	v_mov_b32_e32 v5, v4
.LBB95_834:
	global_store_byte v[2:3], v5, off
.LBB95_835:
	s_mov_b64 s[14:15], -1
.LBB95_836:
	s_mov_b64 s[16:17], 0
.LBB95_837:
	s_and_b64 vcc, exec, s[16:17]
	s_cbranch_vccz .LBB95_897
; %bb.838:
	v_cmp_lt_i16_e32 vcc, 22, v8
	s_mov_b64 s[12:13], -1
	s_cbranch_vccz .LBB95_890
; %bb.839:
	v_cmp_gt_i16_e32 vcc, 24, v8
	s_cbranch_vccnz .LBB95_877
; %bb.840:
	v_cmp_lt_i16_e32 vcc, 24, v8
	s_cbranch_vccz .LBB95_864
; %bb.841:
	v_cndmask_b32_e64 v1, 0, 1.0, s[2:3]
	s_mov_b32 s13, 0x477fffff
	v_cmp_lt_u32_e32 vcc, s13, v1
	v_readfirstlane_b32 s12, v1
	v_mov_b32_e32 v5, 0x80
	s_cbranch_vccnz .LBB95_863
; %bb.842:
	s_cmp_gt_u32 s12, 0x37ffffff
	s_cbranch_scc0 .LBB95_858
; %bb.843:
	s_bfe_u32 s13, s12, 0x10015
	s_add_i32 s12, s12, s13
	s_add_i32 s12, s12, 0x88fffff
	s_lshr_b32 s16, s12, 21
	s_mov_b64 s[14:15], 0
	s_mov_b64 s[12:13], -1
	s_branch .LBB95_859
.LBB95_844:
	s_mov_b64 s[12:13], -1
	s_mov_b64 s[10:11], 0
                                        ; implicit-def: $sgpr14
.LBB95_845:
	s_andn2_b64 vcc, exec, s[12:13]
	v_mov_b32_e32 v3, s14
                                        ; implicit-def: $sgpr12
	s_cbranch_vccnz .LBB95_847
; %bb.846:
	v_add_f32_e32 v2, 0x46000000, v2
	v_and_b32_e32 v3, 0xff, v2
	s_mov_b32 s12, 0
	v_cmp_ne_u32_e64 s[10:11], 0, v3
.LBB95_847:
	s_andn2_b64 vcc, exec, s[10:11]
	v_mov_b32_e32 v4, s12
	s_cbranch_vccnz .LBB95_849
; %bb.848:
	v_mov_b32_e32 v4, v3
.LBB95_849:
	global_store_byte v[0:1], v4, off
.LBB95_850:
	s_mov_b64 s[10:11], 0
.LBB95_851:
	s_and_b64 vcc, exec, s[10:11]
	s_cbranch_vccz .LBB95_1024
; %bb.852:
	v_cmp_lt_i16_e32 vcc, 22, v8
	s_mov_b64 s[8:9], -1
	s_cbranch_vccz .LBB95_1017
; %bb.853:
	v_cmp_gt_i16_e32 vcc, 24, v8
	s_cbranch_vccnz .LBB95_1004
; %bb.854:
	v_cmp_lt_i16_e32 vcc, 24, v8
	s_cbranch_vccz .LBB95_991
; %bb.855:
	v_cndmask_b32_e64 v2, 0, 1.0, s[2:3]
	s_mov_b32 s9, 0x477fffff
	v_cmp_lt_u32_e32 vcc, s9, v2
	v_readfirstlane_b32 s8, v2
	v_mov_b32_e32 v4, 0x80
	s_cbranch_vccnz .LBB95_990
; %bb.856:
	s_cmp_gt_u32 s8, 0x37ffffff
	s_cbranch_scc0 .LBB95_985
; %bb.857:
	s_bfe_u32 s9, s8, 0x10015
	s_add_i32 s8, s8, s9
	s_add_i32 s8, s8, 0x88fffff
	s_lshr_b32 s12, s8, 21
	s_mov_b64 s[10:11], 0
	s_mov_b64 s[8:9], -1
	s_branch .LBB95_986
.LBB95_858:
	s_mov_b64 s[14:15], -1
	s_mov_b64 s[12:13], 0
                                        ; implicit-def: $sgpr16
.LBB95_859:
	s_andn2_b64 vcc, exec, s[14:15]
	v_mov_b32_e32 v4, s16
                                        ; implicit-def: $sgpr14
	s_cbranch_vccnz .LBB95_861
; %bb.860:
	v_add_f32_e32 v1, 0x42800000, v1
	v_and_b32_e32 v4, 0xff, v1
	s_mov_b32 s14, 0
	v_cmp_ne_u32_e64 s[12:13], 0, v4
.LBB95_861:
	s_andn2_b64 vcc, exec, s[12:13]
	v_mov_b32_e32 v5, s14
	s_cbranch_vccnz .LBB95_863
; %bb.862:
	v_mov_b32_e32 v5, v4
.LBB95_863:
	s_mov_b64 s[12:13], 0
	global_store_byte v[2:3], v5, off
.LBB95_864:
	s_and_b64 vcc, exec, s[12:13]
	s_cbranch_vccz .LBB95_876
; %bb.865:
	v_cndmask_b32_e64 v1, 0, 1.0, s[2:3]
	s_mov_b32 s12, 0x43f00000
	v_cmp_gt_u32_e32 vcc, s12, v1
	v_readfirstlane_b32 s14, v1
	s_cbranch_vccz .LBB95_868
; %bb.866:
	s_cmp_gt_u32 s14, 0x3c7fffff
	s_cbranch_scc0 .LBB95_869
; %bb.867:
	s_bfe_u32 s12, s14, 0x10014
	s_add_i32 s12, s14, s12
	s_add_i32 s12, s12, 0x407ffff
	s_lshr_b32 s13, s12, 20
	s_and_b32 s12, s12, 0xff00000
	s_cmp_lg_u32 s12, 0x7f00000
	s_cselect_b32 s15, s13, 0x7e
	s_mov_b64 s[12:13], 0
	s_branch .LBB95_870
.LBB95_868:
	s_mov_b64 s[12:13], -1
                                        ; implicit-def: $vgpr4
	s_branch .LBB95_873
.LBB95_869:
	s_mov_b64 s[12:13], -1
                                        ; implicit-def: $sgpr15
.LBB95_870:
	s_andn2_b64 vcc, exec, s[12:13]
	v_mov_b32_e32 v4, s15
	s_cbranch_vccnz .LBB95_872
; %bb.871:
	v_add_f32_e32 v4, 0x46800000, v1
.LBB95_872:
	s_mov_b64 s[12:13], 0
.LBB95_873:
	s_andn2_b64 vcc, exec, s[12:13]
	s_cbranch_vccnz .LBB95_875
; %bb.874:
	s_cmp_gt_u32 s14, 0x7f800000
	s_movk_i32 s12, 0x7f
	s_cselect_b32 s12, s12, 0x7e
	v_mov_b32_e32 v4, s12
.LBB95_875:
	global_store_byte v[2:3], v4, off
.LBB95_876:
	s_mov_b64 s[12:13], 0
.LBB95_877:
	s_andn2_b64 vcc, exec, s[12:13]
	s_cbranch_vccnz .LBB95_889
; %bb.878:
	v_cndmask_b32_e64 v1, 0, 1.0, s[2:3]
	s_mov_b32 s12, 0x47800000
	v_cmp_gt_u32_e32 vcc, s12, v1
	v_readfirstlane_b32 s14, v1
	s_cbranch_vccz .LBB95_881
; %bb.879:
	s_cmp_gt_u32 s14, 0x387fffff
	s_cbranch_scc0 .LBB95_882
; %bb.880:
	s_bfe_u32 s12, s14, 0x10015
	s_add_i32 s12, s14, s12
	s_add_i32 s12, s12, 0x80fffff
	s_lshr_b32 s15, s12, 21
	s_mov_b64 s[12:13], 0
	s_branch .LBB95_883
.LBB95_881:
	s_mov_b64 s[12:13], -1
                                        ; implicit-def: $vgpr4
	s_branch .LBB95_886
.LBB95_882:
	s_mov_b64 s[12:13], -1
                                        ; implicit-def: $sgpr15
.LBB95_883:
	s_andn2_b64 vcc, exec, s[12:13]
	v_mov_b32_e32 v4, s15
	s_cbranch_vccnz .LBB95_885
; %bb.884:
	v_add_f32_e32 v4, 0x43000000, v1
.LBB95_885:
	s_mov_b64 s[12:13], 0
.LBB95_886:
	s_andn2_b64 vcc, exec, s[12:13]
	s_cbranch_vccnz .LBB95_888
; %bb.887:
	s_cmp_gt_u32 s14, 0x7f800000
	s_movk_i32 s12, 0x7f
	s_cselect_b32 s12, s12, 0x7c
	v_mov_b32_e32 v4, s12
.LBB95_888:
	global_store_byte v[2:3], v4, off
.LBB95_889:
	s_mov_b64 s[12:13], 0
	s_mov_b64 s[14:15], -1
.LBB95_890:
	s_andn2_b64 vcc, exec, s[12:13]
	s_mov_b64 s[12:13], 0
	s_cbranch_vccnz .LBB95_897
; %bb.891:
	v_cmp_lt_i16_e32 vcc, 14, v8
	s_mov_b64 s[16:17], -1
	s_cbranch_vccz .LBB95_895
; %bb.892:
	v_cmp_eq_u16_e32 vcc, 15, v8
	s_mov_b64 s[10:11], -1
	s_cbranch_vccz .LBB95_894
; %bb.893:
	v_cndmask_b32_e64 v1, 0, 1.0, s[2:3]
	v_bfe_u32 v4, v1, 16, 1
	v_add_u32_e32 v1, v1, v4
	v_add_u32_e32 v1, 0x7fff, v1
	global_store_short_d16_hi v[2:3], v1, off
	s_mov_b64 s[10:11], 0
	s_mov_b64 s[14:15], -1
.LBB95_894:
	s_mov_b64 s[16:17], 0
.LBB95_895:
	s_and_b64 vcc, exec, s[16:17]
	s_cbranch_vccz .LBB95_897
; %bb.896:
	v_cmp_ne_u16_e64 s[10:11], 11, v8
	s_mov_b64 s[12:13], -1
.LBB95_897:
	s_and_b64 vcc, exec, s[10:11]
	s_cbranch_vccnz .LBB95_984
; %bb.898:
	s_andn2_b64 vcc, exec, s[12:13]
	s_cbranch_vccnz .LBB95_900
.LBB95_899:
	v_mov_b32_e32 v1, s18
	s_mov_b64 s[14:15], -1
	global_store_byte v[2:3], v1, off
.LBB95_900:
	s_branch .LBB95_797
.LBB95_901:
	v_cmp_gt_i16_e32 vcc, 5, v8
	s_mov_b64 s[10:11], -1
	s_cbranch_vccnz .LBB95_922
; %bb.902:
	v_cmp_gt_i16_e32 vcc, 8, v8
	s_cbranch_vccnz .LBB95_912
; %bb.903:
	v_cmp_gt_i16_e32 vcc, 9, v8
	s_cbranch_vccnz .LBB95_909
; %bb.904:
	v_cmp_lt_i16_e32 vcc, 9, v8
	s_cbranch_vccz .LBB95_906
; %bb.905:
	v_cndmask_b32_e64 v1, 0, 1, s[2:3]
	v_mov_b32_e32 v6, 0
	v_cvt_f64_u32_e32 v[4:5], v1
	v_mov_b32_e32 v7, v6
	global_store_dwordx4 v[2:3], v[4:7], off
	s_mov_b64 s[10:11], 0
.LBB95_906:
	s_andn2_b64 vcc, exec, s[10:11]
	s_cbranch_vccnz .LBB95_908
; %bb.907:
	v_cndmask_b32_e64 v4, 0, 1.0, s[2:3]
	v_mov_b32_e32 v5, 0
	global_store_dwordx2 v[2:3], v[4:5], off
.LBB95_908:
	s_mov_b64 s[10:11], 0
.LBB95_909:
	s_andn2_b64 vcc, exec, s[10:11]
	s_cbranch_vccnz .LBB95_911
; %bb.910:
	v_cndmask_b32_e64 v1, 0, 1.0, s[2:3]
	v_cvt_f16_f32_e32 v1, v1
	global_store_dword v[2:3], v1, off
.LBB95_911:
	s_mov_b64 s[10:11], 0
.LBB95_912:
	s_andn2_b64 vcc, exec, s[10:11]
	s_cbranch_vccnz .LBB95_921
; %bb.913:
	v_cmp_gt_i16_e32 vcc, 6, v8
	s_mov_b64 s[10:11], -1
	s_cbranch_vccnz .LBB95_919
; %bb.914:
	v_cmp_lt_i16_e32 vcc, 6, v8
	s_cbranch_vccz .LBB95_916
; %bb.915:
	v_cndmask_b32_e64 v1, 0, 1, s[2:3]
	v_cvt_f64_u32_e32 v[4:5], v1
	global_store_dwordx2 v[2:3], v[4:5], off
	s_mov_b64 s[10:11], 0
.LBB95_916:
	s_andn2_b64 vcc, exec, s[10:11]
	s_cbranch_vccnz .LBB95_918
; %bb.917:
	v_cndmask_b32_e64 v1, 0, 1.0, s[2:3]
	global_store_dword v[2:3], v1, off
.LBB95_918:
	s_mov_b64 s[10:11], 0
.LBB95_919:
	s_andn2_b64 vcc, exec, s[10:11]
	s_cbranch_vccnz .LBB95_921
; %bb.920:
	v_cndmask_b32_e64 v1, 0, 1.0, s[2:3]
	v_cvt_f16_f32_e32 v1, v1
	global_store_short v[2:3], v1, off
.LBB95_921:
	s_mov_b64 s[10:11], 0
.LBB95_922:
	s_andn2_b64 vcc, exec, s[10:11]
	s_cbranch_vccnz .LBB95_938
; %bb.923:
	v_cmp_gt_i16_e32 vcc, 2, v8
	s_mov_b64 s[10:11], -1
	s_cbranch_vccnz .LBB95_933
; %bb.924:
	v_cmp_gt_i16_e32 vcc, 3, v8
	s_cbranch_vccnz .LBB95_930
; %bb.925:
	v_cmp_lt_i16_e32 vcc, 3, v8
	s_cbranch_vccz .LBB95_927
; %bb.926:
	s_and_b32 s10, s18, 0xff
	v_mov_b32_e32 v4, s10
	v_mov_b32_e32 v5, 0
	global_store_dwordx2 v[2:3], v[4:5], off
	s_mov_b64 s[10:11], 0
.LBB95_927:
	s_andn2_b64 vcc, exec, s[10:11]
	s_cbranch_vccnz .LBB95_929
; %bb.928:
	s_and_b32 s10, s18, 0xff
	v_mov_b32_e32 v1, s10
	global_store_dword v[2:3], v1, off
.LBB95_929:
	s_mov_b64 s[10:11], 0
.LBB95_930:
	s_andn2_b64 vcc, exec, s[10:11]
	s_cbranch_vccnz .LBB95_932
; %bb.931:
	v_mov_b32_e32 v1, 0xff
	v_and_b32_e32 v1, s18, v1
	global_store_short v[2:3], v1, off
.LBB95_932:
	s_mov_b64 s[10:11], 0
.LBB95_933:
	s_andn2_b64 vcc, exec, s[10:11]
	s_cbranch_vccnz .LBB95_938
; %bb.934:
	v_cmp_lt_i16_e32 vcc, 0, v8
	s_mov_b64 s[10:11], -1
	s_cbranch_vccz .LBB95_936
; %bb.935:
	v_mov_b32_e32 v1, s18
	global_store_byte v[2:3], v1, off
	s_mov_b64 s[10:11], 0
.LBB95_936:
	s_andn2_b64 vcc, exec, s[10:11]
	s_cbranch_vccnz .LBB95_938
; %bb.937:
	v_mov_b32_e32 v1, s18
	global_store_byte v[2:3], v1, off
.LBB95_938:
	s_branch .LBB95_798
.LBB95_939:
	s_mov_b64 s[0:1], 0
	s_mov_b64 s[8:9], 0
                                        ; implicit-def: $vgpr8
                                        ; implicit-def: $vgpr0_vgpr1
.LBB95_940:
	s_andn2_b64 s[6:7], s[6:7], exec
	s_and_b64 s[4:5], s[4:5], exec
	s_and_b64 s[0:1], s[0:1], exec
	;; [unrolled: 1-line block ×3, first 2 shown]
	s_or_b64 s[6:7], s[6:7], s[4:5]
.LBB95_941:
	s_or_b64 exec, exec, s[24:25]
	s_and_saveexec_b64 s[4:5], s[6:7]
	s_cbranch_execz .LBB95_944
; %bb.942:
	; divergent unreachable
	s_or_b64 exec, exec, s[4:5]
	s_and_saveexec_b64 s[4:5], s[34:35]
	s_xor_b64 s[4:5], exec, s[4:5]
	s_cbranch_execnz .LBB95_945
.LBB95_943:
	s_or_b64 exec, exec, s[4:5]
	s_and_saveexec_b64 s[4:5], s[0:1]
	s_cbranch_execnz .LBB95_946
	s_branch .LBB95_983
.LBB95_944:
	s_or_b64 exec, exec, s[4:5]
	s_and_saveexec_b64 s[4:5], s[34:35]
	s_xor_b64 s[4:5], exec, s[4:5]
	s_cbranch_execz .LBB95_943
.LBB95_945:
	v_mov_b32_e32 v2, s18
	global_store_byte v[0:1], v2, off
	s_or_b64 exec, exec, s[4:5]
	s_and_saveexec_b64 s[4:5], s[0:1]
	s_cbranch_execz .LBB95_983
.LBB95_946:
	v_cmp_gt_i16_e32 vcc, 5, v8
	s_mov_b64 s[0:1], -1
	s_cbranch_vccnz .LBB95_967
; %bb.947:
	v_cmp_gt_i16_e32 vcc, 8, v8
	s_cbranch_vccnz .LBB95_957
; %bb.948:
	v_cmp_gt_i16_e32 vcc, 9, v8
	s_cbranch_vccnz .LBB95_954
; %bb.949:
	v_cmp_lt_i16_e32 vcc, 9, v8
	s_cbranch_vccz .LBB95_951
; %bb.950:
	v_cndmask_b32_e64 v2, 0, 1, s[2:3]
	v_mov_b32_e32 v4, 0
	v_cvt_f64_u32_e32 v[2:3], v2
	v_mov_b32_e32 v5, v4
	global_store_dwordx4 v[0:1], v[2:5], off
	s_mov_b64 s[0:1], 0
.LBB95_951:
	s_andn2_b64 vcc, exec, s[0:1]
	s_cbranch_vccnz .LBB95_953
; %bb.952:
	v_cndmask_b32_e64 v2, 0, 1.0, s[2:3]
	v_mov_b32_e32 v3, 0
	global_store_dwordx2 v[0:1], v[2:3], off
.LBB95_953:
	s_mov_b64 s[0:1], 0
.LBB95_954:
	s_andn2_b64 vcc, exec, s[0:1]
	s_cbranch_vccnz .LBB95_956
; %bb.955:
	v_cndmask_b32_e64 v2, 0, 1.0, s[2:3]
	v_cvt_f16_f32_e32 v2, v2
	global_store_dword v[0:1], v2, off
.LBB95_956:
	s_mov_b64 s[0:1], 0
.LBB95_957:
	s_andn2_b64 vcc, exec, s[0:1]
	s_cbranch_vccnz .LBB95_966
; %bb.958:
	v_cmp_gt_i16_e32 vcc, 6, v8
	s_mov_b64 s[0:1], -1
	s_cbranch_vccnz .LBB95_964
; %bb.959:
	v_cmp_lt_i16_e32 vcc, 6, v8
	s_cbranch_vccz .LBB95_961
; %bb.960:
	v_cndmask_b32_e64 v2, 0, 1, s[2:3]
	v_cvt_f64_u32_e32 v[2:3], v2
	global_store_dwordx2 v[0:1], v[2:3], off
	s_mov_b64 s[0:1], 0
.LBB95_961:
	s_andn2_b64 vcc, exec, s[0:1]
	s_cbranch_vccnz .LBB95_963
; %bb.962:
	v_cndmask_b32_e64 v2, 0, 1.0, s[2:3]
	global_store_dword v[0:1], v2, off
.LBB95_963:
	s_mov_b64 s[0:1], 0
.LBB95_964:
	s_andn2_b64 vcc, exec, s[0:1]
	s_cbranch_vccnz .LBB95_966
; %bb.965:
	v_cndmask_b32_e64 v2, 0, 1.0, s[2:3]
	v_cvt_f16_f32_e32 v2, v2
	global_store_short v[0:1], v2, off
.LBB95_966:
	s_mov_b64 s[0:1], 0
.LBB95_967:
	s_andn2_b64 vcc, exec, s[0:1]
	s_cbranch_vccnz .LBB95_983
; %bb.968:
	v_cmp_gt_i16_e32 vcc, 2, v8
	s_mov_b64 s[0:1], -1
	s_cbranch_vccnz .LBB95_978
; %bb.969:
	v_cmp_gt_i16_e32 vcc, 3, v8
	s_cbranch_vccnz .LBB95_975
; %bb.970:
	v_cmp_lt_i16_e32 vcc, 3, v8
	s_cbranch_vccz .LBB95_972
; %bb.971:
	s_and_b32 s0, s18, 0xff
	v_mov_b32_e32 v2, s0
	v_mov_b32_e32 v3, 0
	global_store_dwordx2 v[0:1], v[2:3], off
	s_mov_b64 s[0:1], 0
.LBB95_972:
	s_andn2_b64 vcc, exec, s[0:1]
	s_cbranch_vccnz .LBB95_974
; %bb.973:
	s_and_b32 s0, s18, 0xff
	v_mov_b32_e32 v2, s0
	global_store_dword v[0:1], v2, off
.LBB95_974:
	s_mov_b64 s[0:1], 0
.LBB95_975:
	s_andn2_b64 vcc, exec, s[0:1]
	s_cbranch_vccnz .LBB95_977
; %bb.976:
	v_mov_b32_e32 v2, 0xff
	v_and_b32_e32 v2, s18, v2
	global_store_short v[0:1], v2, off
.LBB95_977:
	s_mov_b64 s[0:1], 0
.LBB95_978:
	s_andn2_b64 vcc, exec, s[0:1]
	s_cbranch_vccnz .LBB95_983
; %bb.979:
	v_cmp_lt_i16_e32 vcc, 0, v8
	s_mov_b64 s[0:1], -1
	s_cbranch_vccz .LBB95_981
; %bb.980:
	v_mov_b32_e32 v2, s18
	global_store_byte v[0:1], v2, off
	s_mov_b64 s[0:1], 0
.LBB95_981:
	s_andn2_b64 vcc, exec, s[0:1]
	s_cbranch_vccnz .LBB95_983
; %bb.982:
	v_mov_b32_e32 v2, s18
	global_store_byte v[0:1], v2, off
	s_endpgm
.LBB95_983:
	s_endpgm
.LBB95_984:
	s_trap 2
	s_or_b64 s[4:5], s[4:5], exec
	s_cbranch_execz .LBB95_899
	s_branch .LBB95_900
.LBB95_985:
	s_mov_b64 s[10:11], -1
	s_mov_b64 s[8:9], 0
                                        ; implicit-def: $sgpr12
.LBB95_986:
	s_andn2_b64 vcc, exec, s[10:11]
	v_mov_b32_e32 v3, s12
                                        ; implicit-def: $sgpr10
	s_cbranch_vccnz .LBB95_988
; %bb.987:
	v_add_f32_e32 v2, 0x42800000, v2
	v_and_b32_e32 v3, 0xff, v2
	s_mov_b32 s10, 0
	v_cmp_ne_u32_e64 s[8:9], 0, v3
.LBB95_988:
	s_andn2_b64 vcc, exec, s[8:9]
	v_mov_b32_e32 v4, s10
	s_cbranch_vccnz .LBB95_990
; %bb.989:
	v_mov_b32_e32 v4, v3
.LBB95_990:
	s_mov_b64 s[8:9], 0
	global_store_byte v[0:1], v4, off
.LBB95_991:
	s_and_b64 vcc, exec, s[8:9]
	s_cbranch_vccz .LBB95_1003
; %bb.992:
	v_cndmask_b32_e64 v2, 0, 1.0, s[2:3]
	s_mov_b32 s8, 0x43f00000
	v_cmp_gt_u32_e32 vcc, s8, v2
	v_readfirstlane_b32 s10, v2
	s_cbranch_vccz .LBB95_995
; %bb.993:
	s_cmp_gt_u32 s10, 0x3c7fffff
	s_cbranch_scc0 .LBB95_996
; %bb.994:
	s_bfe_u32 s8, s10, 0x10014
	s_add_i32 s8, s10, s8
	s_add_i32 s8, s8, 0x407ffff
	s_lshr_b32 s9, s8, 20
	s_and_b32 s8, s8, 0xff00000
	s_cmp_lg_u32 s8, 0x7f00000
	s_cselect_b32 s11, s9, 0x7e
	s_mov_b64 s[8:9], 0
	s_branch .LBB95_997
.LBB95_995:
	s_mov_b64 s[8:9], -1
                                        ; implicit-def: $vgpr3
	s_branch .LBB95_1000
.LBB95_996:
	s_mov_b64 s[8:9], -1
                                        ; implicit-def: $sgpr11
.LBB95_997:
	s_andn2_b64 vcc, exec, s[8:9]
	v_mov_b32_e32 v3, s11
	s_cbranch_vccnz .LBB95_999
; %bb.998:
	v_add_f32_e32 v3, 0x46800000, v2
.LBB95_999:
	s_mov_b64 s[8:9], 0
.LBB95_1000:
	s_andn2_b64 vcc, exec, s[8:9]
	s_cbranch_vccnz .LBB95_1002
; %bb.1001:
	s_cmp_gt_u32 s10, 0x7f800000
	s_movk_i32 s8, 0x7f
	s_cselect_b32 s8, s8, 0x7e
	v_mov_b32_e32 v3, s8
.LBB95_1002:
	global_store_byte v[0:1], v3, off
.LBB95_1003:
	s_mov_b64 s[8:9], 0
.LBB95_1004:
	s_andn2_b64 vcc, exec, s[8:9]
	s_cbranch_vccnz .LBB95_1016
; %bb.1005:
	v_cndmask_b32_e64 v2, 0, 1.0, s[2:3]
	s_mov_b32 s8, 0x47800000
	v_cmp_gt_u32_e32 vcc, s8, v2
	v_readfirstlane_b32 s10, v2
	s_cbranch_vccz .LBB95_1008
; %bb.1006:
	s_cmp_gt_u32 s10, 0x387fffff
	s_cbranch_scc0 .LBB95_1009
; %bb.1007:
	s_bfe_u32 s8, s10, 0x10015
	s_add_i32 s8, s10, s8
	s_add_i32 s8, s8, 0x80fffff
	s_lshr_b32 s11, s8, 21
	s_mov_b64 s[8:9], 0
	s_branch .LBB95_1010
.LBB95_1008:
	s_mov_b64 s[8:9], -1
                                        ; implicit-def: $vgpr3
	s_branch .LBB95_1013
.LBB95_1009:
	s_mov_b64 s[8:9], -1
                                        ; implicit-def: $sgpr11
.LBB95_1010:
	s_andn2_b64 vcc, exec, s[8:9]
	v_mov_b32_e32 v3, s11
	s_cbranch_vccnz .LBB95_1012
; %bb.1011:
	v_add_f32_e32 v3, 0x43000000, v2
.LBB95_1012:
	s_mov_b64 s[8:9], 0
.LBB95_1013:
	s_andn2_b64 vcc, exec, s[8:9]
	s_cbranch_vccnz .LBB95_1015
; %bb.1014:
	s_cmp_gt_u32 s10, 0x7f800000
	s_movk_i32 s8, 0x7f
	s_cselect_b32 s8, s8, 0x7c
	v_mov_b32_e32 v3, s8
.LBB95_1015:
	global_store_byte v[0:1], v3, off
.LBB95_1016:
	s_mov_b64 s[8:9], 0
.LBB95_1017:
	s_andn2_b64 vcc, exec, s[8:9]
	s_mov_b64 s[8:9], 0
	s_cbranch_vccnz .LBB95_1024
; %bb.1018:
	v_cmp_lt_i16_e32 vcc, 14, v8
	s_mov_b64 s[10:11], -1
	s_cbranch_vccz .LBB95_1022
; %bb.1019:
	v_cmp_eq_u16_e32 vcc, 15, v8
	s_mov_b64 s[0:1], -1
	s_cbranch_vccz .LBB95_1021
; %bb.1020:
	v_cndmask_b32_e64 v2, 0, 1.0, s[2:3]
	v_bfe_u32 v3, v2, 16, 1
	v_add_u32_e32 v2, v2, v3
	v_add_u32_e32 v2, 0x7fff, v2
	global_store_short_d16_hi v[0:1], v2, off
	s_mov_b64 s[0:1], 0
.LBB95_1021:
	s_mov_b64 s[10:11], 0
.LBB95_1022:
	s_and_b64 vcc, exec, s[10:11]
	s_cbranch_vccz .LBB95_1024
; %bb.1023:
	v_cmp_ne_u16_e64 s[0:1], 11, v8
	s_mov_b64 s[8:9], -1
.LBB95_1024:
	s_and_b64 vcc, exec, s[0:1]
	s_cbranch_vccnz .LBB95_1026
.LBB95_1025:
	s_mov_b64 s[0:1], 0
	s_branch .LBB95_940
.LBB95_1026:
	s_mov_b64 s[8:9], 0
	s_or_b64 s[4:5], s[4:5], exec
	s_trap 2
	s_branch .LBB95_1025
	.section	.rodata,"a",@progbits
	.p2align	6, 0x0
	.amdhsa_kernel _ZN2at6native32elementwise_kernel_manual_unrollILi128ELi4EZNS0_15gpu_kernel_implINS0_11FillFunctorIbEEEEvRNS_18TensorIteratorBaseERKT_EUlibE0_EEviT1_
		.amdhsa_group_segment_fixed_size 0
		.amdhsa_private_segment_fixed_size 0
		.amdhsa_kernarg_size 288
		.amdhsa_user_sgpr_count 6
		.amdhsa_user_sgpr_private_segment_buffer 1
		.amdhsa_user_sgpr_dispatch_ptr 0
		.amdhsa_user_sgpr_queue_ptr 0
		.amdhsa_user_sgpr_kernarg_segment_ptr 1
		.amdhsa_user_sgpr_dispatch_id 0
		.amdhsa_user_sgpr_flat_scratch_init 0
		.amdhsa_user_sgpr_kernarg_preload_length 0
		.amdhsa_user_sgpr_kernarg_preload_offset 0
		.amdhsa_user_sgpr_private_segment_size 0
		.amdhsa_uses_dynamic_stack 0
		.amdhsa_system_sgpr_private_segment_wavefront_offset 0
		.amdhsa_system_sgpr_workgroup_id_x 1
		.amdhsa_system_sgpr_workgroup_id_y 0
		.amdhsa_system_sgpr_workgroup_id_z 0
		.amdhsa_system_sgpr_workgroup_info 0
		.amdhsa_system_vgpr_workitem_id 0
		.amdhsa_next_free_vgpr 25
		.amdhsa_next_free_sgpr 87
		.amdhsa_accum_offset 28
		.amdhsa_reserve_vcc 1
		.amdhsa_reserve_flat_scratch 0
		.amdhsa_float_round_mode_32 0
		.amdhsa_float_round_mode_16_64 0
		.amdhsa_float_denorm_mode_32 3
		.amdhsa_float_denorm_mode_16_64 3
		.amdhsa_dx10_clamp 1
		.amdhsa_ieee_mode 1
		.amdhsa_fp16_overflow 0
		.amdhsa_tg_split 0
		.amdhsa_exception_fp_ieee_invalid_op 0
		.amdhsa_exception_fp_denorm_src 0
		.amdhsa_exception_fp_ieee_div_zero 0
		.amdhsa_exception_fp_ieee_overflow 0
		.amdhsa_exception_fp_ieee_underflow 0
		.amdhsa_exception_fp_ieee_inexact 0
		.amdhsa_exception_int_div_zero 0
	.end_amdhsa_kernel
	.section	.text._ZN2at6native32elementwise_kernel_manual_unrollILi128ELi4EZNS0_15gpu_kernel_implINS0_11FillFunctorIbEEEEvRNS_18TensorIteratorBaseERKT_EUlibE0_EEviT1_,"axG",@progbits,_ZN2at6native32elementwise_kernel_manual_unrollILi128ELi4EZNS0_15gpu_kernel_implINS0_11FillFunctorIbEEEEvRNS_18TensorIteratorBaseERKT_EUlibE0_EEviT1_,comdat
.Lfunc_end95:
	.size	_ZN2at6native32elementwise_kernel_manual_unrollILi128ELi4EZNS0_15gpu_kernel_implINS0_11FillFunctorIbEEEEvRNS_18TensorIteratorBaseERKT_EUlibE0_EEviT1_, .Lfunc_end95-_ZN2at6native32elementwise_kernel_manual_unrollILi128ELi4EZNS0_15gpu_kernel_implINS0_11FillFunctorIbEEEEvRNS_18TensorIteratorBaseERKT_EUlibE0_EEviT1_
                                        ; -- End function
	.section	.AMDGPU.csdata,"",@progbits
; Kernel info:
; codeLenInByte = 16524
; NumSgprs: 91
; NumVgprs: 25
; NumAgprs: 0
; TotalNumVgprs: 25
; ScratchSize: 0
; MemoryBound: 0
; FloatMode: 240
; IeeeMode: 1
; LDSByteSize: 0 bytes/workgroup (compile time only)
; SGPRBlocks: 11
; VGPRBlocks: 3
; NumSGPRsForWavesPerEU: 91
; NumVGPRsForWavesPerEU: 25
; AccumOffset: 28
; Occupancy: 8
; WaveLimiterHint : 1
; COMPUTE_PGM_RSRC2:SCRATCH_EN: 0
; COMPUTE_PGM_RSRC2:USER_SGPR: 6
; COMPUTE_PGM_RSRC2:TRAP_HANDLER: 0
; COMPUTE_PGM_RSRC2:TGID_X_EN: 1
; COMPUTE_PGM_RSRC2:TGID_Y_EN: 0
; COMPUTE_PGM_RSRC2:TGID_Z_EN: 0
; COMPUTE_PGM_RSRC2:TIDIG_COMP_CNT: 0
; COMPUTE_PGM_RSRC3_GFX90A:ACCUM_OFFSET: 6
; COMPUTE_PGM_RSRC3_GFX90A:TG_SPLIT: 0
	.section	.text._ZN2at6native29vectorized_elementwise_kernelILi16ENS0_11FillFunctorIN3c104HalfEEESt5arrayIPcLm1EEEEviT0_T1_,"axG",@progbits,_ZN2at6native29vectorized_elementwise_kernelILi16ENS0_11FillFunctorIN3c104HalfEEESt5arrayIPcLm1EEEEviT0_T1_,comdat
	.protected	_ZN2at6native29vectorized_elementwise_kernelILi16ENS0_11FillFunctorIN3c104HalfEEESt5arrayIPcLm1EEEEviT0_T1_ ; -- Begin function _ZN2at6native29vectorized_elementwise_kernelILi16ENS0_11FillFunctorIN3c104HalfEEESt5arrayIPcLm1EEEEviT0_T1_
	.globl	_ZN2at6native29vectorized_elementwise_kernelILi16ENS0_11FillFunctorIN3c104HalfEEESt5arrayIPcLm1EEEEviT0_T1_
	.p2align	8
	.type	_ZN2at6native29vectorized_elementwise_kernelILi16ENS0_11FillFunctorIN3c104HalfEEESt5arrayIPcLm1EEEEviT0_T1_,@function
_ZN2at6native29vectorized_elementwise_kernelILi16ENS0_11FillFunctorIN3c104HalfEEESt5arrayIPcLm1EEEEviT0_T1_: ; @_ZN2at6native29vectorized_elementwise_kernelILi16ENS0_11FillFunctorIN3c104HalfEEESt5arrayIPcLm1EEEEviT0_T1_
; %bb.0:
	s_load_dwordx4 s[0:3], s[4:5], 0x0
	s_lshl_b32 s4, s6, 11
	s_waitcnt lgkmcnt(0)
	s_sub_i32 s0, s0, s4
	s_cmpk_gt_i32 s0, 0x7ff
	s_cbranch_scc0 .LBB96_4
; %bb.1:
	s_ashr_i32 s5, s4, 31
	s_lshl_b64 s[6:7], s[4:5], 1
	s_add_u32 s6, s2, s6
	s_addc_u32 s7, s3, s7
	v_lshlrev_b32_e32 v1, 4, v0
	v_mov_b32_e32 v2, s7
	v_add_co_u32_e32 v5, vcc, s6, v1
	v_addc_co_u32_e32 v6, vcc, 0, v2, vcc
	s_pack_ll_b32_b16 s5, s1, s1
	v_mov_b32_e32 v2, s1
	global_store_short v1, v2, s[6:7] offset:12
	v_mov_b32_e32 v2, s5
	v_mov_b32_e32 v3, s5
	;; [unrolled: 1-line block ×3, first 2 shown]
	global_store_dwordx3 v1, v[2:4], s[6:7]
	s_nop 0
	v_add_co_u32_e32 v2, vcc, 14, v5
	v_addc_co_u32_e32 v3, vcc, 0, v6, vcc
	s_mov_b64 s[6:7], -1
	s_cbranch_execz .LBB96_5
; %bb.2:
	s_and_saveexec_b64 s[2:3], s[6:7]
	s_cbranch_execz .LBB96_16
.LBB96_3:
	v_mov_b32_e32 v0, s1
	global_store_short v[2:3], v0, off
	s_endpgm
.LBB96_4:
	s_mov_b64 s[6:7], 0
                                        ; implicit-def: $vgpr2_vgpr3
.LBB96_5:
	v_cmp_gt_i32_e32 vcc, s0, v0
	s_and_saveexec_b64 s[8:9], vcc
	s_cbranch_execz .LBB96_17
; %bb.6:
	v_or_b32_e32 v2, 0x100, v0
	v_or_b32_e32 v0, s4, v0
	v_mov_b32_e32 v1, 0
	v_lshlrev_b64 v[0:1], 1, v[0:1]
	v_mov_b32_e32 v3, s3
	v_add_co_u32_e32 v0, vcc, s2, v0
	v_addc_co_u32_e32 v1, vcc, v3, v1, vcc
	v_mov_b32_e32 v3, s1
	global_store_short v[0:1], v3, off
	v_mov_b32_e32 v0, v2
	s_or_b64 exec, exec, s[8:9]
	v_cmp_gt_i32_e32 vcc, s0, v0
	s_and_saveexec_b64 s[8:9], vcc
	s_cbranch_execnz .LBB96_18
.LBB96_7:
	s_or_b64 exec, exec, s[8:9]
	v_cmp_gt_i32_e32 vcc, s0, v0
	s_and_saveexec_b64 s[8:9], vcc
	s_cbranch_execz .LBB96_19
.LBB96_8:
	v_add_u32_e32 v2, s4, v0
	v_mov_b32_e32 v3, 0
	v_lshlrev_b64 v[2:3], 1, v[2:3]
	v_mov_b32_e32 v1, s3
	v_add_co_u32_e32 v2, vcc, s2, v2
	v_addc_co_u32_e32 v3, vcc, v1, v3, vcc
	v_add_u32_e32 v0, 0x100, v0
	v_mov_b32_e32 v1, s1
	global_store_short v[2:3], v1, off
	s_or_b64 exec, exec, s[8:9]
	v_cmp_gt_i32_e32 vcc, s0, v0
	s_and_saveexec_b64 s[8:9], vcc
	s_cbranch_execnz .LBB96_20
.LBB96_9:
	s_or_b64 exec, exec, s[8:9]
	v_cmp_gt_i32_e32 vcc, s0, v0
	s_and_saveexec_b64 s[8:9], vcc
	s_cbranch_execz .LBB96_21
.LBB96_10:
	v_add_u32_e32 v2, s4, v0
	v_mov_b32_e32 v3, 0
	v_lshlrev_b64 v[2:3], 1, v[2:3]
	v_mov_b32_e32 v1, s3
	v_add_co_u32_e32 v2, vcc, s2, v2
	v_addc_co_u32_e32 v3, vcc, v1, v3, vcc
	v_add_u32_e32 v0, 0x100, v0
	v_mov_b32_e32 v1, s1
	global_store_short v[2:3], v1, off
	s_or_b64 exec, exec, s[8:9]
	v_cmp_gt_i32_e32 vcc, s0, v0
	s_and_saveexec_b64 s[8:9], vcc
	s_cbranch_execnz .LBB96_22
.LBB96_11:
	s_or_b64 exec, exec, s[8:9]
	v_cmp_gt_i32_e32 vcc, s0, v0
	s_and_saveexec_b64 s[8:9], vcc
	s_cbranch_execz .LBB96_13
.LBB96_12:
	v_add_u32_e32 v2, s4, v0
	v_mov_b32_e32 v3, 0
	v_lshlrev_b64 v[2:3], 1, v[2:3]
	v_mov_b32_e32 v1, s3
	v_add_co_u32_e32 v2, vcc, s2, v2
	v_addc_co_u32_e32 v3, vcc, v1, v3, vcc
	v_add_u32_e32 v0, 0x100, v0
	v_mov_b32_e32 v1, s1
	global_store_short v[2:3], v1, off
.LBB96_13:
	s_or_b64 exec, exec, s[8:9]
	v_cmp_gt_i32_e32 vcc, s0, v0
                                        ; implicit-def: $vgpr2_vgpr3
	s_and_saveexec_b64 s[8:9], vcc
; %bb.14:
	v_add_u32_e32 v0, s4, v0
	v_mov_b32_e32 v1, 0
	v_lshlrev_b64 v[0:1], 1, v[0:1]
	v_mov_b32_e32 v3, s3
	v_add_co_u32_e32 v2, vcc, s2, v0
	v_addc_co_u32_e32 v3, vcc, v3, v1, vcc
	s_or_b64 s[6:7], s[6:7], exec
; %bb.15:
	s_or_b64 exec, exec, s[8:9]
	s_and_saveexec_b64 s[2:3], s[6:7]
	s_cbranch_execnz .LBB96_3
.LBB96_16:
	s_endpgm
.LBB96_17:
	s_or_b64 exec, exec, s[8:9]
	v_cmp_gt_i32_e32 vcc, s0, v0
	s_and_saveexec_b64 s[8:9], vcc
	s_cbranch_execz .LBB96_7
.LBB96_18:
	v_add_u32_e32 v2, s4, v0
	v_mov_b32_e32 v3, 0
	v_lshlrev_b64 v[2:3], 1, v[2:3]
	v_mov_b32_e32 v1, s3
	v_add_co_u32_e32 v2, vcc, s2, v2
	v_addc_co_u32_e32 v3, vcc, v1, v3, vcc
	v_add_u32_e32 v0, 0x100, v0
	v_mov_b32_e32 v1, s1
	global_store_short v[2:3], v1, off
	s_or_b64 exec, exec, s[8:9]
	v_cmp_gt_i32_e32 vcc, s0, v0
	s_and_saveexec_b64 s[8:9], vcc
	s_cbranch_execnz .LBB96_8
.LBB96_19:
	s_or_b64 exec, exec, s[8:9]
	v_cmp_gt_i32_e32 vcc, s0, v0
	s_and_saveexec_b64 s[8:9], vcc
	s_cbranch_execz .LBB96_9
.LBB96_20:
	v_add_u32_e32 v2, s4, v0
	v_mov_b32_e32 v3, 0
	v_lshlrev_b64 v[2:3], 1, v[2:3]
	v_mov_b32_e32 v1, s3
	v_add_co_u32_e32 v2, vcc, s2, v2
	v_addc_co_u32_e32 v3, vcc, v1, v3, vcc
	v_add_u32_e32 v0, 0x100, v0
	v_mov_b32_e32 v1, s1
	global_store_short v[2:3], v1, off
	s_or_b64 exec, exec, s[8:9]
	v_cmp_gt_i32_e32 vcc, s0, v0
	s_and_saveexec_b64 s[8:9], vcc
	s_cbranch_execnz .LBB96_10
.LBB96_21:
	s_or_b64 exec, exec, s[8:9]
	v_cmp_gt_i32_e32 vcc, s0, v0
	s_and_saveexec_b64 s[8:9], vcc
	s_cbranch_execz .LBB96_11
.LBB96_22:
	v_add_u32_e32 v2, s4, v0
	v_mov_b32_e32 v3, 0
	v_lshlrev_b64 v[2:3], 1, v[2:3]
	v_mov_b32_e32 v1, s3
	v_add_co_u32_e32 v2, vcc, s2, v2
	v_addc_co_u32_e32 v3, vcc, v1, v3, vcc
	v_add_u32_e32 v0, 0x100, v0
	v_mov_b32_e32 v1, s1
	global_store_short v[2:3], v1, off
	s_or_b64 exec, exec, s[8:9]
	v_cmp_gt_i32_e32 vcc, s0, v0
	s_and_saveexec_b64 s[8:9], vcc
	s_cbranch_execz .LBB96_13
	s_branch .LBB96_12
	.section	.rodata,"a",@progbits
	.p2align	6, 0x0
	.amdhsa_kernel _ZN2at6native29vectorized_elementwise_kernelILi16ENS0_11FillFunctorIN3c104HalfEEESt5arrayIPcLm1EEEEviT0_T1_
		.amdhsa_group_segment_fixed_size 0
		.amdhsa_private_segment_fixed_size 0
		.amdhsa_kernarg_size 16
		.amdhsa_user_sgpr_count 6
		.amdhsa_user_sgpr_private_segment_buffer 1
		.amdhsa_user_sgpr_dispatch_ptr 0
		.amdhsa_user_sgpr_queue_ptr 0
		.amdhsa_user_sgpr_kernarg_segment_ptr 1
		.amdhsa_user_sgpr_dispatch_id 0
		.amdhsa_user_sgpr_flat_scratch_init 0
		.amdhsa_user_sgpr_kernarg_preload_length 0
		.amdhsa_user_sgpr_kernarg_preload_offset 0
		.amdhsa_user_sgpr_private_segment_size 0
		.amdhsa_uses_dynamic_stack 0
		.amdhsa_system_sgpr_private_segment_wavefront_offset 0
		.amdhsa_system_sgpr_workgroup_id_x 1
		.amdhsa_system_sgpr_workgroup_id_y 0
		.amdhsa_system_sgpr_workgroup_id_z 0
		.amdhsa_system_sgpr_workgroup_info 0
		.amdhsa_system_vgpr_workitem_id 0
		.amdhsa_next_free_vgpr 7
		.amdhsa_next_free_sgpr 10
		.amdhsa_accum_offset 8
		.amdhsa_reserve_vcc 1
		.amdhsa_reserve_flat_scratch 0
		.amdhsa_float_round_mode_32 0
		.amdhsa_float_round_mode_16_64 0
		.amdhsa_float_denorm_mode_32 3
		.amdhsa_float_denorm_mode_16_64 3
		.amdhsa_dx10_clamp 1
		.amdhsa_ieee_mode 1
		.amdhsa_fp16_overflow 0
		.amdhsa_tg_split 0
		.amdhsa_exception_fp_ieee_invalid_op 0
		.amdhsa_exception_fp_denorm_src 0
		.amdhsa_exception_fp_ieee_div_zero 0
		.amdhsa_exception_fp_ieee_overflow 0
		.amdhsa_exception_fp_ieee_underflow 0
		.amdhsa_exception_fp_ieee_inexact 0
		.amdhsa_exception_int_div_zero 0
	.end_amdhsa_kernel
	.section	.text._ZN2at6native29vectorized_elementwise_kernelILi16ENS0_11FillFunctorIN3c104HalfEEESt5arrayIPcLm1EEEEviT0_T1_,"axG",@progbits,_ZN2at6native29vectorized_elementwise_kernelILi16ENS0_11FillFunctorIN3c104HalfEEESt5arrayIPcLm1EEEEviT0_T1_,comdat
.Lfunc_end96:
	.size	_ZN2at6native29vectorized_elementwise_kernelILi16ENS0_11FillFunctorIN3c104HalfEEESt5arrayIPcLm1EEEEviT0_T1_, .Lfunc_end96-_ZN2at6native29vectorized_elementwise_kernelILi16ENS0_11FillFunctorIN3c104HalfEEESt5arrayIPcLm1EEEEviT0_T1_
                                        ; -- End function
	.section	.AMDGPU.csdata,"",@progbits
; Kernel info:
; codeLenInByte = 752
; NumSgprs: 14
; NumVgprs: 7
; NumAgprs: 0
; TotalNumVgprs: 7
; ScratchSize: 0
; MemoryBound: 0
; FloatMode: 240
; IeeeMode: 1
; LDSByteSize: 0 bytes/workgroup (compile time only)
; SGPRBlocks: 1
; VGPRBlocks: 0
; NumSGPRsForWavesPerEU: 14
; NumVGPRsForWavesPerEU: 7
; AccumOffset: 8
; Occupancy: 8
; WaveLimiterHint : 0
; COMPUTE_PGM_RSRC2:SCRATCH_EN: 0
; COMPUTE_PGM_RSRC2:USER_SGPR: 6
; COMPUTE_PGM_RSRC2:TRAP_HANDLER: 0
; COMPUTE_PGM_RSRC2:TGID_X_EN: 1
; COMPUTE_PGM_RSRC2:TGID_Y_EN: 0
; COMPUTE_PGM_RSRC2:TGID_Z_EN: 0
; COMPUTE_PGM_RSRC2:TIDIG_COMP_CNT: 0
; COMPUTE_PGM_RSRC3_GFX90A:ACCUM_OFFSET: 1
; COMPUTE_PGM_RSRC3_GFX90A:TG_SPLIT: 0
	.section	.text._ZN2at6native29vectorized_elementwise_kernelILi8ENS0_11FillFunctorIN3c104HalfEEESt5arrayIPcLm1EEEEviT0_T1_,"axG",@progbits,_ZN2at6native29vectorized_elementwise_kernelILi8ENS0_11FillFunctorIN3c104HalfEEESt5arrayIPcLm1EEEEviT0_T1_,comdat
	.protected	_ZN2at6native29vectorized_elementwise_kernelILi8ENS0_11FillFunctorIN3c104HalfEEESt5arrayIPcLm1EEEEviT0_T1_ ; -- Begin function _ZN2at6native29vectorized_elementwise_kernelILi8ENS0_11FillFunctorIN3c104HalfEEESt5arrayIPcLm1EEEEviT0_T1_
	.globl	_ZN2at6native29vectorized_elementwise_kernelILi8ENS0_11FillFunctorIN3c104HalfEEESt5arrayIPcLm1EEEEviT0_T1_
	.p2align	8
	.type	_ZN2at6native29vectorized_elementwise_kernelILi8ENS0_11FillFunctorIN3c104HalfEEESt5arrayIPcLm1EEEEviT0_T1_,@function
_ZN2at6native29vectorized_elementwise_kernelILi8ENS0_11FillFunctorIN3c104HalfEEESt5arrayIPcLm1EEEEviT0_T1_: ; @_ZN2at6native29vectorized_elementwise_kernelILi8ENS0_11FillFunctorIN3c104HalfEEESt5arrayIPcLm1EEEEviT0_T1_
; %bb.0:
	s_load_dwordx4 s[0:3], s[4:5], 0x0
	s_lshl_b32 s4, s6, 11
	s_waitcnt lgkmcnt(0)
	s_sub_i32 s0, s0, s4
	s_cmpk_gt_i32 s0, 0x7ff
	s_cbranch_scc0 .LBB97_4
; %bb.1:
	s_ashr_i32 s5, s4, 31
	s_lshl_b64 s[6:7], s[4:5], 1
	s_add_u32 s6, s2, s6
	s_addc_u32 s7, s3, s7
	v_lshlrev_b32_e32 v1, 4, v0
	v_mov_b32_e32 v2, s7
	v_add_co_u32_e32 v5, vcc, s6, v1
	v_addc_co_u32_e32 v6, vcc, 0, v2, vcc
	s_pack_ll_b32_b16 s5, s1, s1
	v_mov_b32_e32 v2, s1
	global_store_short v1, v2, s[6:7] offset:12
	v_mov_b32_e32 v2, s5
	v_mov_b32_e32 v3, s5
	;; [unrolled: 1-line block ×3, first 2 shown]
	global_store_dwordx3 v1, v[2:4], s[6:7]
	s_nop 0
	v_add_co_u32_e32 v2, vcc, 14, v5
	v_addc_co_u32_e32 v3, vcc, 0, v6, vcc
	s_mov_b64 s[6:7], -1
	s_cbranch_execz .LBB97_5
; %bb.2:
	s_and_saveexec_b64 s[2:3], s[6:7]
	s_cbranch_execz .LBB97_16
.LBB97_3:
	v_mov_b32_e32 v0, s1
	global_store_short v[2:3], v0, off
	s_endpgm
.LBB97_4:
	s_mov_b64 s[6:7], 0
                                        ; implicit-def: $vgpr2_vgpr3
.LBB97_5:
	v_cmp_gt_i32_e32 vcc, s0, v0
	s_and_saveexec_b64 s[8:9], vcc
	s_cbranch_execz .LBB97_17
; %bb.6:
	v_or_b32_e32 v2, 0x100, v0
	v_or_b32_e32 v0, s4, v0
	v_mov_b32_e32 v1, 0
	v_lshlrev_b64 v[0:1], 1, v[0:1]
	v_mov_b32_e32 v3, s3
	v_add_co_u32_e32 v0, vcc, s2, v0
	v_addc_co_u32_e32 v1, vcc, v3, v1, vcc
	v_mov_b32_e32 v3, s1
	global_store_short v[0:1], v3, off
	v_mov_b32_e32 v0, v2
	s_or_b64 exec, exec, s[8:9]
	v_cmp_gt_i32_e32 vcc, s0, v0
	s_and_saveexec_b64 s[8:9], vcc
	s_cbranch_execnz .LBB97_18
.LBB97_7:
	s_or_b64 exec, exec, s[8:9]
	v_cmp_gt_i32_e32 vcc, s0, v0
	s_and_saveexec_b64 s[8:9], vcc
	s_cbranch_execz .LBB97_19
.LBB97_8:
	v_add_u32_e32 v2, s4, v0
	v_mov_b32_e32 v3, 0
	v_lshlrev_b64 v[2:3], 1, v[2:3]
	v_mov_b32_e32 v1, s3
	v_add_co_u32_e32 v2, vcc, s2, v2
	v_addc_co_u32_e32 v3, vcc, v1, v3, vcc
	v_add_u32_e32 v0, 0x100, v0
	v_mov_b32_e32 v1, s1
	global_store_short v[2:3], v1, off
	s_or_b64 exec, exec, s[8:9]
	v_cmp_gt_i32_e32 vcc, s0, v0
	s_and_saveexec_b64 s[8:9], vcc
	s_cbranch_execnz .LBB97_20
.LBB97_9:
	s_or_b64 exec, exec, s[8:9]
	v_cmp_gt_i32_e32 vcc, s0, v0
	s_and_saveexec_b64 s[8:9], vcc
	s_cbranch_execz .LBB97_21
.LBB97_10:
	v_add_u32_e32 v2, s4, v0
	v_mov_b32_e32 v3, 0
	v_lshlrev_b64 v[2:3], 1, v[2:3]
	v_mov_b32_e32 v1, s3
	v_add_co_u32_e32 v2, vcc, s2, v2
	v_addc_co_u32_e32 v3, vcc, v1, v3, vcc
	v_add_u32_e32 v0, 0x100, v0
	v_mov_b32_e32 v1, s1
	global_store_short v[2:3], v1, off
	s_or_b64 exec, exec, s[8:9]
	v_cmp_gt_i32_e32 vcc, s0, v0
	s_and_saveexec_b64 s[8:9], vcc
	s_cbranch_execnz .LBB97_22
.LBB97_11:
	s_or_b64 exec, exec, s[8:9]
	v_cmp_gt_i32_e32 vcc, s0, v0
	s_and_saveexec_b64 s[8:9], vcc
	s_cbranch_execz .LBB97_13
.LBB97_12:
	v_add_u32_e32 v2, s4, v0
	v_mov_b32_e32 v3, 0
	v_lshlrev_b64 v[2:3], 1, v[2:3]
	v_mov_b32_e32 v1, s3
	v_add_co_u32_e32 v2, vcc, s2, v2
	v_addc_co_u32_e32 v3, vcc, v1, v3, vcc
	v_add_u32_e32 v0, 0x100, v0
	v_mov_b32_e32 v1, s1
	global_store_short v[2:3], v1, off
.LBB97_13:
	s_or_b64 exec, exec, s[8:9]
	v_cmp_gt_i32_e32 vcc, s0, v0
                                        ; implicit-def: $vgpr2_vgpr3
	s_and_saveexec_b64 s[8:9], vcc
; %bb.14:
	v_add_u32_e32 v0, s4, v0
	v_mov_b32_e32 v1, 0
	v_lshlrev_b64 v[0:1], 1, v[0:1]
	v_mov_b32_e32 v3, s3
	v_add_co_u32_e32 v2, vcc, s2, v0
	v_addc_co_u32_e32 v3, vcc, v3, v1, vcc
	s_or_b64 s[6:7], s[6:7], exec
; %bb.15:
	s_or_b64 exec, exec, s[8:9]
	s_and_saveexec_b64 s[2:3], s[6:7]
	s_cbranch_execnz .LBB97_3
.LBB97_16:
	s_endpgm
.LBB97_17:
	s_or_b64 exec, exec, s[8:9]
	v_cmp_gt_i32_e32 vcc, s0, v0
	s_and_saveexec_b64 s[8:9], vcc
	s_cbranch_execz .LBB97_7
.LBB97_18:
	v_add_u32_e32 v2, s4, v0
	v_mov_b32_e32 v3, 0
	v_lshlrev_b64 v[2:3], 1, v[2:3]
	v_mov_b32_e32 v1, s3
	v_add_co_u32_e32 v2, vcc, s2, v2
	v_addc_co_u32_e32 v3, vcc, v1, v3, vcc
	v_add_u32_e32 v0, 0x100, v0
	v_mov_b32_e32 v1, s1
	global_store_short v[2:3], v1, off
	s_or_b64 exec, exec, s[8:9]
	v_cmp_gt_i32_e32 vcc, s0, v0
	s_and_saveexec_b64 s[8:9], vcc
	s_cbranch_execnz .LBB97_8
.LBB97_19:
	s_or_b64 exec, exec, s[8:9]
	v_cmp_gt_i32_e32 vcc, s0, v0
	s_and_saveexec_b64 s[8:9], vcc
	s_cbranch_execz .LBB97_9
.LBB97_20:
	v_add_u32_e32 v2, s4, v0
	v_mov_b32_e32 v3, 0
	v_lshlrev_b64 v[2:3], 1, v[2:3]
	v_mov_b32_e32 v1, s3
	v_add_co_u32_e32 v2, vcc, s2, v2
	v_addc_co_u32_e32 v3, vcc, v1, v3, vcc
	v_add_u32_e32 v0, 0x100, v0
	v_mov_b32_e32 v1, s1
	global_store_short v[2:3], v1, off
	s_or_b64 exec, exec, s[8:9]
	v_cmp_gt_i32_e32 vcc, s0, v0
	s_and_saveexec_b64 s[8:9], vcc
	s_cbranch_execnz .LBB97_10
.LBB97_21:
	s_or_b64 exec, exec, s[8:9]
	v_cmp_gt_i32_e32 vcc, s0, v0
	s_and_saveexec_b64 s[8:9], vcc
	s_cbranch_execz .LBB97_11
.LBB97_22:
	v_add_u32_e32 v2, s4, v0
	v_mov_b32_e32 v3, 0
	v_lshlrev_b64 v[2:3], 1, v[2:3]
	v_mov_b32_e32 v1, s3
	v_add_co_u32_e32 v2, vcc, s2, v2
	v_addc_co_u32_e32 v3, vcc, v1, v3, vcc
	v_add_u32_e32 v0, 0x100, v0
	v_mov_b32_e32 v1, s1
	global_store_short v[2:3], v1, off
	s_or_b64 exec, exec, s[8:9]
	v_cmp_gt_i32_e32 vcc, s0, v0
	s_and_saveexec_b64 s[8:9], vcc
	s_cbranch_execz .LBB97_13
	s_branch .LBB97_12
	.section	.rodata,"a",@progbits
	.p2align	6, 0x0
	.amdhsa_kernel _ZN2at6native29vectorized_elementwise_kernelILi8ENS0_11FillFunctorIN3c104HalfEEESt5arrayIPcLm1EEEEviT0_T1_
		.amdhsa_group_segment_fixed_size 0
		.amdhsa_private_segment_fixed_size 0
		.amdhsa_kernarg_size 16
		.amdhsa_user_sgpr_count 6
		.amdhsa_user_sgpr_private_segment_buffer 1
		.amdhsa_user_sgpr_dispatch_ptr 0
		.amdhsa_user_sgpr_queue_ptr 0
		.amdhsa_user_sgpr_kernarg_segment_ptr 1
		.amdhsa_user_sgpr_dispatch_id 0
		.amdhsa_user_sgpr_flat_scratch_init 0
		.amdhsa_user_sgpr_kernarg_preload_length 0
		.amdhsa_user_sgpr_kernarg_preload_offset 0
		.amdhsa_user_sgpr_private_segment_size 0
		.amdhsa_uses_dynamic_stack 0
		.amdhsa_system_sgpr_private_segment_wavefront_offset 0
		.amdhsa_system_sgpr_workgroup_id_x 1
		.amdhsa_system_sgpr_workgroup_id_y 0
		.amdhsa_system_sgpr_workgroup_id_z 0
		.amdhsa_system_sgpr_workgroup_info 0
		.amdhsa_system_vgpr_workitem_id 0
		.amdhsa_next_free_vgpr 7
		.amdhsa_next_free_sgpr 10
		.amdhsa_accum_offset 8
		.amdhsa_reserve_vcc 1
		.amdhsa_reserve_flat_scratch 0
		.amdhsa_float_round_mode_32 0
		.amdhsa_float_round_mode_16_64 0
		.amdhsa_float_denorm_mode_32 3
		.amdhsa_float_denorm_mode_16_64 3
		.amdhsa_dx10_clamp 1
		.amdhsa_ieee_mode 1
		.amdhsa_fp16_overflow 0
		.amdhsa_tg_split 0
		.amdhsa_exception_fp_ieee_invalid_op 0
		.amdhsa_exception_fp_denorm_src 0
		.amdhsa_exception_fp_ieee_div_zero 0
		.amdhsa_exception_fp_ieee_overflow 0
		.amdhsa_exception_fp_ieee_underflow 0
		.amdhsa_exception_fp_ieee_inexact 0
		.amdhsa_exception_int_div_zero 0
	.end_amdhsa_kernel
	.section	.text._ZN2at6native29vectorized_elementwise_kernelILi8ENS0_11FillFunctorIN3c104HalfEEESt5arrayIPcLm1EEEEviT0_T1_,"axG",@progbits,_ZN2at6native29vectorized_elementwise_kernelILi8ENS0_11FillFunctorIN3c104HalfEEESt5arrayIPcLm1EEEEviT0_T1_,comdat
.Lfunc_end97:
	.size	_ZN2at6native29vectorized_elementwise_kernelILi8ENS0_11FillFunctorIN3c104HalfEEESt5arrayIPcLm1EEEEviT0_T1_, .Lfunc_end97-_ZN2at6native29vectorized_elementwise_kernelILi8ENS0_11FillFunctorIN3c104HalfEEESt5arrayIPcLm1EEEEviT0_T1_
                                        ; -- End function
	.section	.AMDGPU.csdata,"",@progbits
; Kernel info:
; codeLenInByte = 752
; NumSgprs: 14
; NumVgprs: 7
; NumAgprs: 0
; TotalNumVgprs: 7
; ScratchSize: 0
; MemoryBound: 0
; FloatMode: 240
; IeeeMode: 1
; LDSByteSize: 0 bytes/workgroup (compile time only)
; SGPRBlocks: 1
; VGPRBlocks: 0
; NumSGPRsForWavesPerEU: 14
; NumVGPRsForWavesPerEU: 7
; AccumOffset: 8
; Occupancy: 8
; WaveLimiterHint : 0
; COMPUTE_PGM_RSRC2:SCRATCH_EN: 0
; COMPUTE_PGM_RSRC2:USER_SGPR: 6
; COMPUTE_PGM_RSRC2:TRAP_HANDLER: 0
; COMPUTE_PGM_RSRC2:TGID_X_EN: 1
; COMPUTE_PGM_RSRC2:TGID_Y_EN: 0
; COMPUTE_PGM_RSRC2:TGID_Z_EN: 0
; COMPUTE_PGM_RSRC2:TIDIG_COMP_CNT: 0
; COMPUTE_PGM_RSRC3_GFX90A:ACCUM_OFFSET: 1
; COMPUTE_PGM_RSRC3_GFX90A:TG_SPLIT: 0
	.section	.text._ZN2at6native29vectorized_elementwise_kernelILi4ENS0_11FillFunctorIN3c104HalfEEESt5arrayIPcLm1EEEEviT0_T1_,"axG",@progbits,_ZN2at6native29vectorized_elementwise_kernelILi4ENS0_11FillFunctorIN3c104HalfEEESt5arrayIPcLm1EEEEviT0_T1_,comdat
	.protected	_ZN2at6native29vectorized_elementwise_kernelILi4ENS0_11FillFunctorIN3c104HalfEEESt5arrayIPcLm1EEEEviT0_T1_ ; -- Begin function _ZN2at6native29vectorized_elementwise_kernelILi4ENS0_11FillFunctorIN3c104HalfEEESt5arrayIPcLm1EEEEviT0_T1_
	.globl	_ZN2at6native29vectorized_elementwise_kernelILi4ENS0_11FillFunctorIN3c104HalfEEESt5arrayIPcLm1EEEEviT0_T1_
	.p2align	8
	.type	_ZN2at6native29vectorized_elementwise_kernelILi4ENS0_11FillFunctorIN3c104HalfEEESt5arrayIPcLm1EEEEviT0_T1_,@function
_ZN2at6native29vectorized_elementwise_kernelILi4ENS0_11FillFunctorIN3c104HalfEEESt5arrayIPcLm1EEEEviT0_T1_: ; @_ZN2at6native29vectorized_elementwise_kernelILi4ENS0_11FillFunctorIN3c104HalfEEESt5arrayIPcLm1EEEEviT0_T1_
; %bb.0:
	s_load_dwordx4 s[0:3], s[4:5], 0x0
	s_lshl_b32 s4, s6, 11
	s_mov_b64 s[6:7], -1
	s_waitcnt lgkmcnt(0)
	s_sub_i32 s0, s0, s4
	s_cmpk_gt_i32 s0, 0x7ff
	s_cbranch_scc0 .LBB98_2
; %bb.1:
	s_ashr_i32 s5, s4, 31
	s_lshl_b64 s[6:7], s[4:5], 1
	s_add_u32 s6, s2, s6
	s_addc_u32 s7, s3, s7
	s_and_b32 s5, 0xffff, s1
	s_mul_i32 s8, s5, 0x10001
	s_mov_b32 s9, s8
	v_lshlrev_b32_e32 v1, 3, v0
	v_pk_mov_b32 v[2:3], s[8:9], s[8:9] op_sel:[0,1]
	global_store_dwordx2 v1, v[2:3], s[6:7]
	global_store_dwordx2 v1, v[2:3], s[6:7] offset:2048
	s_mov_b64 s[6:7], 0
.LBB98_2:
	s_andn2_b64 vcc, exec, s[6:7]
	s_cbranch_vccnz .LBB98_12
; %bb.3:
	v_cmp_gt_i32_e32 vcc, s0, v0
	s_and_saveexec_b64 s[6:7], vcc
	s_cbranch_execnz .LBB98_13
; %bb.4:
	s_or_b64 exec, exec, s[6:7]
	v_cmp_gt_i32_e32 vcc, s0, v0
	s_and_saveexec_b64 s[6:7], vcc
	s_cbranch_execnz .LBB98_14
.LBB98_5:
	s_or_b64 exec, exec, s[6:7]
	v_cmp_gt_i32_e32 vcc, s0, v0
	s_and_saveexec_b64 s[6:7], vcc
	s_cbranch_execnz .LBB98_15
.LBB98_6:
	s_or_b64 exec, exec, s[6:7]
	v_cmp_gt_i32_e32 vcc, s0, v0
	s_and_saveexec_b64 s[6:7], vcc
	s_cbranch_execnz .LBB98_16
.LBB98_7:
	s_or_b64 exec, exec, s[6:7]
	v_cmp_gt_i32_e32 vcc, s0, v0
	s_and_saveexec_b64 s[6:7], vcc
	s_cbranch_execnz .LBB98_17
.LBB98_8:
	s_or_b64 exec, exec, s[6:7]
	v_cmp_gt_i32_e32 vcc, s0, v0
	s_and_saveexec_b64 s[6:7], vcc
	s_cbranch_execnz .LBB98_18
.LBB98_9:
	s_or_b64 exec, exec, s[6:7]
	v_cmp_gt_i32_e32 vcc, s0, v0
	s_and_saveexec_b64 s[6:7], vcc
	s_cbranch_execnz .LBB98_19
.LBB98_10:
	s_or_b64 exec, exec, s[6:7]
	v_cmp_gt_i32_e32 vcc, s0, v0
	s_and_saveexec_b64 s[6:7], vcc
	s_cbranch_execz .LBB98_12
.LBB98_11:
	v_add_u32_e32 v0, s4, v0
	v_mov_b32_e32 v1, 0
	v_lshlrev_b64 v[0:1], 1, v[0:1]
	v_mov_b32_e32 v2, s3
	v_add_co_u32_e32 v0, vcc, s2, v0
	v_addc_co_u32_e32 v1, vcc, v2, v1, vcc
	v_mov_b32_e32 v2, s1
	global_store_short v[0:1], v2, off
.LBB98_12:
	s_endpgm
.LBB98_13:
	v_or_b32_e32 v2, 0x100, v0
	v_or_b32_e32 v0, s4, v0
	v_mov_b32_e32 v1, 0
	v_lshlrev_b64 v[0:1], 1, v[0:1]
	v_mov_b32_e32 v3, s3
	v_add_co_u32_e32 v0, vcc, s2, v0
	v_addc_co_u32_e32 v1, vcc, v3, v1, vcc
	v_mov_b32_e32 v3, s1
	global_store_short v[0:1], v3, off
	v_mov_b32_e32 v0, v2
	s_or_b64 exec, exec, s[6:7]
	v_cmp_gt_i32_e32 vcc, s0, v0
	s_and_saveexec_b64 s[6:7], vcc
	s_cbranch_execz .LBB98_5
.LBB98_14:
	v_add_u32_e32 v2, s4, v0
	v_mov_b32_e32 v3, 0
	v_lshlrev_b64 v[2:3], 1, v[2:3]
	v_mov_b32_e32 v1, s3
	v_add_co_u32_e32 v2, vcc, s2, v2
	v_addc_co_u32_e32 v3, vcc, v1, v3, vcc
	v_add_u32_e32 v0, 0x100, v0
	v_mov_b32_e32 v1, s1
	global_store_short v[2:3], v1, off
	s_or_b64 exec, exec, s[6:7]
	v_cmp_gt_i32_e32 vcc, s0, v0
	s_and_saveexec_b64 s[6:7], vcc
	s_cbranch_execz .LBB98_6
.LBB98_15:
	v_add_u32_e32 v2, s4, v0
	v_mov_b32_e32 v3, 0
	v_lshlrev_b64 v[2:3], 1, v[2:3]
	v_mov_b32_e32 v1, s3
	v_add_co_u32_e32 v2, vcc, s2, v2
	v_addc_co_u32_e32 v3, vcc, v1, v3, vcc
	v_add_u32_e32 v0, 0x100, v0
	v_mov_b32_e32 v1, s1
	global_store_short v[2:3], v1, off
	s_or_b64 exec, exec, s[6:7]
	v_cmp_gt_i32_e32 vcc, s0, v0
	s_and_saveexec_b64 s[6:7], vcc
	s_cbranch_execz .LBB98_7
.LBB98_16:
	v_add_u32_e32 v2, s4, v0
	v_mov_b32_e32 v3, 0
	v_lshlrev_b64 v[2:3], 1, v[2:3]
	v_mov_b32_e32 v1, s3
	v_add_co_u32_e32 v2, vcc, s2, v2
	v_addc_co_u32_e32 v3, vcc, v1, v3, vcc
	v_add_u32_e32 v0, 0x100, v0
	v_mov_b32_e32 v1, s1
	global_store_short v[2:3], v1, off
	s_or_b64 exec, exec, s[6:7]
	v_cmp_gt_i32_e32 vcc, s0, v0
	s_and_saveexec_b64 s[6:7], vcc
	s_cbranch_execz .LBB98_8
.LBB98_17:
	v_add_u32_e32 v2, s4, v0
	v_mov_b32_e32 v3, 0
	v_lshlrev_b64 v[2:3], 1, v[2:3]
	v_mov_b32_e32 v1, s3
	v_add_co_u32_e32 v2, vcc, s2, v2
	v_addc_co_u32_e32 v3, vcc, v1, v3, vcc
	v_add_u32_e32 v0, 0x100, v0
	v_mov_b32_e32 v1, s1
	global_store_short v[2:3], v1, off
	s_or_b64 exec, exec, s[6:7]
	v_cmp_gt_i32_e32 vcc, s0, v0
	s_and_saveexec_b64 s[6:7], vcc
	s_cbranch_execz .LBB98_9
.LBB98_18:
	v_add_u32_e32 v2, s4, v0
	v_mov_b32_e32 v3, 0
	v_lshlrev_b64 v[2:3], 1, v[2:3]
	v_mov_b32_e32 v1, s3
	v_add_co_u32_e32 v2, vcc, s2, v2
	v_addc_co_u32_e32 v3, vcc, v1, v3, vcc
	v_add_u32_e32 v0, 0x100, v0
	v_mov_b32_e32 v1, s1
	global_store_short v[2:3], v1, off
	s_or_b64 exec, exec, s[6:7]
	v_cmp_gt_i32_e32 vcc, s0, v0
	s_and_saveexec_b64 s[6:7], vcc
	s_cbranch_execz .LBB98_10
.LBB98_19:
	v_add_u32_e32 v2, s4, v0
	v_mov_b32_e32 v3, 0
	v_lshlrev_b64 v[2:3], 1, v[2:3]
	v_mov_b32_e32 v1, s3
	v_add_co_u32_e32 v2, vcc, s2, v2
	v_addc_co_u32_e32 v3, vcc, v1, v3, vcc
	v_add_u32_e32 v0, 0x100, v0
	v_mov_b32_e32 v1, s1
	global_store_short v[2:3], v1, off
	s_or_b64 exec, exec, s[6:7]
	v_cmp_gt_i32_e32 vcc, s0, v0
	s_and_saveexec_b64 s[6:7], vcc
	s_cbranch_execnz .LBB98_11
	s_branch .LBB98_12
	.section	.rodata,"a",@progbits
	.p2align	6, 0x0
	.amdhsa_kernel _ZN2at6native29vectorized_elementwise_kernelILi4ENS0_11FillFunctorIN3c104HalfEEESt5arrayIPcLm1EEEEviT0_T1_
		.amdhsa_group_segment_fixed_size 0
		.amdhsa_private_segment_fixed_size 0
		.amdhsa_kernarg_size 16
		.amdhsa_user_sgpr_count 6
		.amdhsa_user_sgpr_private_segment_buffer 1
		.amdhsa_user_sgpr_dispatch_ptr 0
		.amdhsa_user_sgpr_queue_ptr 0
		.amdhsa_user_sgpr_kernarg_segment_ptr 1
		.amdhsa_user_sgpr_dispatch_id 0
		.amdhsa_user_sgpr_flat_scratch_init 0
		.amdhsa_user_sgpr_kernarg_preload_length 0
		.amdhsa_user_sgpr_kernarg_preload_offset 0
		.amdhsa_user_sgpr_private_segment_size 0
		.amdhsa_uses_dynamic_stack 0
		.amdhsa_system_sgpr_private_segment_wavefront_offset 0
		.amdhsa_system_sgpr_workgroup_id_x 1
		.amdhsa_system_sgpr_workgroup_id_y 0
		.amdhsa_system_sgpr_workgroup_id_z 0
		.amdhsa_system_sgpr_workgroup_info 0
		.amdhsa_system_vgpr_workitem_id 0
		.amdhsa_next_free_vgpr 4
		.amdhsa_next_free_sgpr 10
		.amdhsa_accum_offset 4
		.amdhsa_reserve_vcc 1
		.amdhsa_reserve_flat_scratch 0
		.amdhsa_float_round_mode_32 0
		.amdhsa_float_round_mode_16_64 0
		.amdhsa_float_denorm_mode_32 3
		.amdhsa_float_denorm_mode_16_64 3
		.amdhsa_dx10_clamp 1
		.amdhsa_ieee_mode 1
		.amdhsa_fp16_overflow 0
		.amdhsa_tg_split 0
		.amdhsa_exception_fp_ieee_invalid_op 0
		.amdhsa_exception_fp_denorm_src 0
		.amdhsa_exception_fp_ieee_div_zero 0
		.amdhsa_exception_fp_ieee_overflow 0
		.amdhsa_exception_fp_ieee_underflow 0
		.amdhsa_exception_fp_ieee_inexact 0
		.amdhsa_exception_int_div_zero 0
	.end_amdhsa_kernel
	.section	.text._ZN2at6native29vectorized_elementwise_kernelILi4ENS0_11FillFunctorIN3c104HalfEEESt5arrayIPcLm1EEEEviT0_T1_,"axG",@progbits,_ZN2at6native29vectorized_elementwise_kernelILi4ENS0_11FillFunctorIN3c104HalfEEESt5arrayIPcLm1EEEEviT0_T1_,comdat
.Lfunc_end98:
	.size	_ZN2at6native29vectorized_elementwise_kernelILi4ENS0_11FillFunctorIN3c104HalfEEESt5arrayIPcLm1EEEEviT0_T1_, .Lfunc_end98-_ZN2at6native29vectorized_elementwise_kernelILi4ENS0_11FillFunctorIN3c104HalfEEESt5arrayIPcLm1EEEEviT0_T1_
                                        ; -- End function
	.section	.AMDGPU.csdata,"",@progbits
; Kernel info:
; codeLenInByte = 732
; NumSgprs: 14
; NumVgprs: 4
; NumAgprs: 0
; TotalNumVgprs: 4
; ScratchSize: 0
; MemoryBound: 0
; FloatMode: 240
; IeeeMode: 1
; LDSByteSize: 0 bytes/workgroup (compile time only)
; SGPRBlocks: 1
; VGPRBlocks: 0
; NumSGPRsForWavesPerEU: 14
; NumVGPRsForWavesPerEU: 4
; AccumOffset: 4
; Occupancy: 8
; WaveLimiterHint : 1
; COMPUTE_PGM_RSRC2:SCRATCH_EN: 0
; COMPUTE_PGM_RSRC2:USER_SGPR: 6
; COMPUTE_PGM_RSRC2:TRAP_HANDLER: 0
; COMPUTE_PGM_RSRC2:TGID_X_EN: 1
; COMPUTE_PGM_RSRC2:TGID_Y_EN: 0
; COMPUTE_PGM_RSRC2:TGID_Z_EN: 0
; COMPUTE_PGM_RSRC2:TIDIG_COMP_CNT: 0
; COMPUTE_PGM_RSRC3_GFX90A:ACCUM_OFFSET: 0
; COMPUTE_PGM_RSRC3_GFX90A:TG_SPLIT: 0
	.section	.text._ZN2at6native29vectorized_elementwise_kernelILi2ENS0_11FillFunctorIN3c104HalfEEESt5arrayIPcLm1EEEEviT0_T1_,"axG",@progbits,_ZN2at6native29vectorized_elementwise_kernelILi2ENS0_11FillFunctorIN3c104HalfEEESt5arrayIPcLm1EEEEviT0_T1_,comdat
	.protected	_ZN2at6native29vectorized_elementwise_kernelILi2ENS0_11FillFunctorIN3c104HalfEEESt5arrayIPcLm1EEEEviT0_T1_ ; -- Begin function _ZN2at6native29vectorized_elementwise_kernelILi2ENS0_11FillFunctorIN3c104HalfEEESt5arrayIPcLm1EEEEviT0_T1_
	.globl	_ZN2at6native29vectorized_elementwise_kernelILi2ENS0_11FillFunctorIN3c104HalfEEESt5arrayIPcLm1EEEEviT0_T1_
	.p2align	8
	.type	_ZN2at6native29vectorized_elementwise_kernelILi2ENS0_11FillFunctorIN3c104HalfEEESt5arrayIPcLm1EEEEviT0_T1_,@function
_ZN2at6native29vectorized_elementwise_kernelILi2ENS0_11FillFunctorIN3c104HalfEEESt5arrayIPcLm1EEEEviT0_T1_: ; @_ZN2at6native29vectorized_elementwise_kernelILi2ENS0_11FillFunctorIN3c104HalfEEESt5arrayIPcLm1EEEEviT0_T1_
; %bb.0:
	s_load_dwordx4 s[0:3], s[4:5], 0x0
	s_lshl_b32 s4, s6, 11
	s_mov_b64 s[6:7], -1
	s_waitcnt lgkmcnt(0)
	s_sub_i32 s0, s0, s4
	s_cmpk_gt_i32 s0, 0x7ff
	s_cbranch_scc0 .LBB99_2
; %bb.1:
	s_ashr_i32 s5, s4, 31
	s_lshl_b64 s[6:7], s[4:5], 1
	s_add_u32 s6, s2, s6
	s_addc_u32 s7, s3, s7
	s_and_b32 s5, 0xffff, s1
	s_mul_i32 s5, s5, 0x10001
	v_lshlrev_b32_e32 v1, 2, v0
	v_mov_b32_e32 v2, s5
	global_store_dword v1, v2, s[6:7]
	global_store_dword v1, v2, s[6:7] offset:1024
	global_store_dword v1, v2, s[6:7] offset:2048
	;; [unrolled: 1-line block ×3, first 2 shown]
	s_mov_b64 s[6:7], 0
.LBB99_2:
	s_andn2_b64 vcc, exec, s[6:7]
	s_cbranch_vccnz .LBB99_12
; %bb.3:
	v_cmp_gt_i32_e32 vcc, s0, v0
	s_and_saveexec_b64 s[6:7], vcc
	s_cbranch_execnz .LBB99_13
; %bb.4:
	s_or_b64 exec, exec, s[6:7]
	v_cmp_gt_i32_e32 vcc, s0, v0
	s_and_saveexec_b64 s[6:7], vcc
	s_cbranch_execnz .LBB99_14
.LBB99_5:
	s_or_b64 exec, exec, s[6:7]
	v_cmp_gt_i32_e32 vcc, s0, v0
	s_and_saveexec_b64 s[6:7], vcc
	s_cbranch_execnz .LBB99_15
.LBB99_6:
	s_or_b64 exec, exec, s[6:7]
	v_cmp_gt_i32_e32 vcc, s0, v0
	s_and_saveexec_b64 s[6:7], vcc
	s_cbranch_execnz .LBB99_16
.LBB99_7:
	s_or_b64 exec, exec, s[6:7]
	v_cmp_gt_i32_e32 vcc, s0, v0
	s_and_saveexec_b64 s[6:7], vcc
	s_cbranch_execnz .LBB99_17
.LBB99_8:
	s_or_b64 exec, exec, s[6:7]
	v_cmp_gt_i32_e32 vcc, s0, v0
	s_and_saveexec_b64 s[6:7], vcc
	s_cbranch_execnz .LBB99_18
.LBB99_9:
	s_or_b64 exec, exec, s[6:7]
	v_cmp_gt_i32_e32 vcc, s0, v0
	s_and_saveexec_b64 s[6:7], vcc
	s_cbranch_execnz .LBB99_19
.LBB99_10:
	s_or_b64 exec, exec, s[6:7]
	v_cmp_gt_i32_e32 vcc, s0, v0
	s_and_saveexec_b64 s[6:7], vcc
	s_cbranch_execz .LBB99_12
.LBB99_11:
	v_add_u32_e32 v0, s4, v0
	v_mov_b32_e32 v1, 0
	v_lshlrev_b64 v[0:1], 1, v[0:1]
	v_mov_b32_e32 v2, s3
	v_add_co_u32_e32 v0, vcc, s2, v0
	v_addc_co_u32_e32 v1, vcc, v2, v1, vcc
	v_mov_b32_e32 v2, s1
	global_store_short v[0:1], v2, off
.LBB99_12:
	s_endpgm
.LBB99_13:
	v_or_b32_e32 v2, 0x100, v0
	v_or_b32_e32 v0, s4, v0
	v_mov_b32_e32 v1, 0
	v_lshlrev_b64 v[0:1], 1, v[0:1]
	v_mov_b32_e32 v3, s3
	v_add_co_u32_e32 v0, vcc, s2, v0
	v_addc_co_u32_e32 v1, vcc, v3, v1, vcc
	v_mov_b32_e32 v3, s1
	global_store_short v[0:1], v3, off
	v_mov_b32_e32 v0, v2
	s_or_b64 exec, exec, s[6:7]
	v_cmp_gt_i32_e32 vcc, s0, v0
	s_and_saveexec_b64 s[6:7], vcc
	s_cbranch_execz .LBB99_5
.LBB99_14:
	v_add_u32_e32 v2, s4, v0
	v_mov_b32_e32 v3, 0
	v_lshlrev_b64 v[2:3], 1, v[2:3]
	v_mov_b32_e32 v1, s3
	v_add_co_u32_e32 v2, vcc, s2, v2
	v_addc_co_u32_e32 v3, vcc, v1, v3, vcc
	v_add_u32_e32 v0, 0x100, v0
	v_mov_b32_e32 v1, s1
	global_store_short v[2:3], v1, off
	s_or_b64 exec, exec, s[6:7]
	v_cmp_gt_i32_e32 vcc, s0, v0
	s_and_saveexec_b64 s[6:7], vcc
	s_cbranch_execz .LBB99_6
.LBB99_15:
	v_add_u32_e32 v2, s4, v0
	v_mov_b32_e32 v3, 0
	v_lshlrev_b64 v[2:3], 1, v[2:3]
	v_mov_b32_e32 v1, s3
	v_add_co_u32_e32 v2, vcc, s2, v2
	v_addc_co_u32_e32 v3, vcc, v1, v3, vcc
	v_add_u32_e32 v0, 0x100, v0
	v_mov_b32_e32 v1, s1
	global_store_short v[2:3], v1, off
	s_or_b64 exec, exec, s[6:7]
	v_cmp_gt_i32_e32 vcc, s0, v0
	s_and_saveexec_b64 s[6:7], vcc
	s_cbranch_execz .LBB99_7
.LBB99_16:
	v_add_u32_e32 v2, s4, v0
	v_mov_b32_e32 v3, 0
	v_lshlrev_b64 v[2:3], 1, v[2:3]
	v_mov_b32_e32 v1, s3
	v_add_co_u32_e32 v2, vcc, s2, v2
	v_addc_co_u32_e32 v3, vcc, v1, v3, vcc
	v_add_u32_e32 v0, 0x100, v0
	v_mov_b32_e32 v1, s1
	global_store_short v[2:3], v1, off
	s_or_b64 exec, exec, s[6:7]
	v_cmp_gt_i32_e32 vcc, s0, v0
	s_and_saveexec_b64 s[6:7], vcc
	s_cbranch_execz .LBB99_8
.LBB99_17:
	v_add_u32_e32 v2, s4, v0
	v_mov_b32_e32 v3, 0
	v_lshlrev_b64 v[2:3], 1, v[2:3]
	v_mov_b32_e32 v1, s3
	v_add_co_u32_e32 v2, vcc, s2, v2
	v_addc_co_u32_e32 v3, vcc, v1, v3, vcc
	v_add_u32_e32 v0, 0x100, v0
	v_mov_b32_e32 v1, s1
	global_store_short v[2:3], v1, off
	s_or_b64 exec, exec, s[6:7]
	v_cmp_gt_i32_e32 vcc, s0, v0
	s_and_saveexec_b64 s[6:7], vcc
	s_cbranch_execz .LBB99_9
.LBB99_18:
	v_add_u32_e32 v2, s4, v0
	v_mov_b32_e32 v3, 0
	v_lshlrev_b64 v[2:3], 1, v[2:3]
	v_mov_b32_e32 v1, s3
	v_add_co_u32_e32 v2, vcc, s2, v2
	v_addc_co_u32_e32 v3, vcc, v1, v3, vcc
	v_add_u32_e32 v0, 0x100, v0
	v_mov_b32_e32 v1, s1
	global_store_short v[2:3], v1, off
	s_or_b64 exec, exec, s[6:7]
	v_cmp_gt_i32_e32 vcc, s0, v0
	s_and_saveexec_b64 s[6:7], vcc
	s_cbranch_execz .LBB99_10
.LBB99_19:
	v_add_u32_e32 v2, s4, v0
	v_mov_b32_e32 v3, 0
	v_lshlrev_b64 v[2:3], 1, v[2:3]
	v_mov_b32_e32 v1, s3
	v_add_co_u32_e32 v2, vcc, s2, v2
	v_addc_co_u32_e32 v3, vcc, v1, v3, vcc
	v_add_u32_e32 v0, 0x100, v0
	v_mov_b32_e32 v1, s1
	global_store_short v[2:3], v1, off
	s_or_b64 exec, exec, s[6:7]
	v_cmp_gt_i32_e32 vcc, s0, v0
	s_and_saveexec_b64 s[6:7], vcc
	s_cbranch_execnz .LBB99_11
	s_branch .LBB99_12
	.section	.rodata,"a",@progbits
	.p2align	6, 0x0
	.amdhsa_kernel _ZN2at6native29vectorized_elementwise_kernelILi2ENS0_11FillFunctorIN3c104HalfEEESt5arrayIPcLm1EEEEviT0_T1_
		.amdhsa_group_segment_fixed_size 0
		.amdhsa_private_segment_fixed_size 0
		.amdhsa_kernarg_size 16
		.amdhsa_user_sgpr_count 6
		.amdhsa_user_sgpr_private_segment_buffer 1
		.amdhsa_user_sgpr_dispatch_ptr 0
		.amdhsa_user_sgpr_queue_ptr 0
		.amdhsa_user_sgpr_kernarg_segment_ptr 1
		.amdhsa_user_sgpr_dispatch_id 0
		.amdhsa_user_sgpr_flat_scratch_init 0
		.amdhsa_user_sgpr_kernarg_preload_length 0
		.amdhsa_user_sgpr_kernarg_preload_offset 0
		.amdhsa_user_sgpr_private_segment_size 0
		.amdhsa_uses_dynamic_stack 0
		.amdhsa_system_sgpr_private_segment_wavefront_offset 0
		.amdhsa_system_sgpr_workgroup_id_x 1
		.amdhsa_system_sgpr_workgroup_id_y 0
		.amdhsa_system_sgpr_workgroup_id_z 0
		.amdhsa_system_sgpr_workgroup_info 0
		.amdhsa_system_vgpr_workitem_id 0
		.amdhsa_next_free_vgpr 4
		.amdhsa_next_free_sgpr 8
		.amdhsa_accum_offset 4
		.amdhsa_reserve_vcc 1
		.amdhsa_reserve_flat_scratch 0
		.amdhsa_float_round_mode_32 0
		.amdhsa_float_round_mode_16_64 0
		.amdhsa_float_denorm_mode_32 3
		.amdhsa_float_denorm_mode_16_64 3
		.amdhsa_dx10_clamp 1
		.amdhsa_ieee_mode 1
		.amdhsa_fp16_overflow 0
		.amdhsa_tg_split 0
		.amdhsa_exception_fp_ieee_invalid_op 0
		.amdhsa_exception_fp_denorm_src 0
		.amdhsa_exception_fp_ieee_div_zero 0
		.amdhsa_exception_fp_ieee_overflow 0
		.amdhsa_exception_fp_ieee_underflow 0
		.amdhsa_exception_fp_ieee_inexact 0
		.amdhsa_exception_int_div_zero 0
	.end_amdhsa_kernel
	.section	.text._ZN2at6native29vectorized_elementwise_kernelILi2ENS0_11FillFunctorIN3c104HalfEEESt5arrayIPcLm1EEEEviT0_T1_,"axG",@progbits,_ZN2at6native29vectorized_elementwise_kernelILi2ENS0_11FillFunctorIN3c104HalfEEESt5arrayIPcLm1EEEEviT0_T1_,comdat
.Lfunc_end99:
	.size	_ZN2at6native29vectorized_elementwise_kernelILi2ENS0_11FillFunctorIN3c104HalfEEESt5arrayIPcLm1EEEEviT0_T1_, .Lfunc_end99-_ZN2at6native29vectorized_elementwise_kernelILi2ENS0_11FillFunctorIN3c104HalfEEESt5arrayIPcLm1EEEEviT0_T1_
                                        ; -- End function
	.section	.AMDGPU.csdata,"",@progbits
; Kernel info:
; codeLenInByte = 740
; NumSgprs: 12
; NumVgprs: 4
; NumAgprs: 0
; TotalNumVgprs: 4
; ScratchSize: 0
; MemoryBound: 0
; FloatMode: 240
; IeeeMode: 1
; LDSByteSize: 0 bytes/workgroup (compile time only)
; SGPRBlocks: 1
; VGPRBlocks: 0
; NumSGPRsForWavesPerEU: 12
; NumVGPRsForWavesPerEU: 4
; AccumOffset: 4
; Occupancy: 8
; WaveLimiterHint : 1
; COMPUTE_PGM_RSRC2:SCRATCH_EN: 0
; COMPUTE_PGM_RSRC2:USER_SGPR: 6
; COMPUTE_PGM_RSRC2:TRAP_HANDLER: 0
; COMPUTE_PGM_RSRC2:TGID_X_EN: 1
; COMPUTE_PGM_RSRC2:TGID_Y_EN: 0
; COMPUTE_PGM_RSRC2:TGID_Z_EN: 0
; COMPUTE_PGM_RSRC2:TIDIG_COMP_CNT: 0
; COMPUTE_PGM_RSRC3_GFX90A:ACCUM_OFFSET: 0
; COMPUTE_PGM_RSRC3_GFX90A:TG_SPLIT: 0
	.section	.text._ZN2at6native27unrolled_elementwise_kernelINS0_11FillFunctorIN3c104HalfEEESt5arrayIPcLm1EELi4E23TrivialOffsetCalculatorILi0EjES9_ILi1EjENS0_6memory15LoadWithoutCastENSC_16StoreWithoutCastEEEviT_T0_T2_T3_T4_T5_,"axG",@progbits,_ZN2at6native27unrolled_elementwise_kernelINS0_11FillFunctorIN3c104HalfEEESt5arrayIPcLm1EELi4E23TrivialOffsetCalculatorILi0EjES9_ILi1EjENS0_6memory15LoadWithoutCastENSC_16StoreWithoutCastEEEviT_T0_T2_T3_T4_T5_,comdat
	.protected	_ZN2at6native27unrolled_elementwise_kernelINS0_11FillFunctorIN3c104HalfEEESt5arrayIPcLm1EELi4E23TrivialOffsetCalculatorILi0EjES9_ILi1EjENS0_6memory15LoadWithoutCastENSC_16StoreWithoutCastEEEviT_T0_T2_T3_T4_T5_ ; -- Begin function _ZN2at6native27unrolled_elementwise_kernelINS0_11FillFunctorIN3c104HalfEEESt5arrayIPcLm1EELi4E23TrivialOffsetCalculatorILi0EjES9_ILi1EjENS0_6memory15LoadWithoutCastENSC_16StoreWithoutCastEEEviT_T0_T2_T3_T4_T5_
	.globl	_ZN2at6native27unrolled_elementwise_kernelINS0_11FillFunctorIN3c104HalfEEESt5arrayIPcLm1EELi4E23TrivialOffsetCalculatorILi0EjES9_ILi1EjENS0_6memory15LoadWithoutCastENSC_16StoreWithoutCastEEEviT_T0_T2_T3_T4_T5_
	.p2align	8
	.type	_ZN2at6native27unrolled_elementwise_kernelINS0_11FillFunctorIN3c104HalfEEESt5arrayIPcLm1EELi4E23TrivialOffsetCalculatorILi0EjES9_ILi1EjENS0_6memory15LoadWithoutCastENSC_16StoreWithoutCastEEEviT_T0_T2_T3_T4_T5_,@function
_ZN2at6native27unrolled_elementwise_kernelINS0_11FillFunctorIN3c104HalfEEESt5arrayIPcLm1EELi4E23TrivialOffsetCalculatorILi0EjES9_ILi1EjENS0_6memory15LoadWithoutCastENSC_16StoreWithoutCastEEEviT_T0_T2_T3_T4_T5_: ; @_ZN2at6native27unrolled_elementwise_kernelINS0_11FillFunctorIN3c104HalfEEESt5arrayIPcLm1EELi4E23TrivialOffsetCalculatorILi0EjES9_ILi1EjENS0_6memory15LoadWithoutCastENSC_16StoreWithoutCastEEEviT_T0_T2_T3_T4_T5_
; %bb.0:
	s_load_dwordx4 s[0:3], s[4:5], 0x0
	s_lshl_b32 s6, s6, 10
	s_waitcnt lgkmcnt(0)
	s_sub_i32 s0, s0, s6
	v_cmp_gt_i32_e32 vcc, s0, v0
	s_and_saveexec_b64 s[4:5], vcc
	s_cbranch_execnz .LBB100_5
; %bb.1:
	s_or_b64 exec, exec, s[4:5]
	v_cmp_gt_i32_e32 vcc, s0, v0
	s_and_saveexec_b64 s[4:5], vcc
	s_cbranch_execnz .LBB100_6
.LBB100_2:
	s_or_b64 exec, exec, s[4:5]
	v_cmp_gt_i32_e32 vcc, s0, v0
	s_and_saveexec_b64 s[4:5], vcc
	s_cbranch_execnz .LBB100_7
.LBB100_3:
	s_or_b64 exec, exec, s[4:5]
	v_cmp_gt_i32_e32 vcc, s0, v0
	s_and_saveexec_b64 s[4:5], vcc
	s_cbranch_execnz .LBB100_8
.LBB100_4:
	s_endpgm
.LBB100_5:
	v_or_b32_e32 v2, s6, v0
	v_mov_b32_e32 v3, 0
	v_lshlrev_b64 v[2:3], 1, v[2:3]
	v_mov_b32_e32 v1, s3
	v_add_co_u32_e32 v2, vcc, s2, v2
	v_addc_co_u32_e32 v3, vcc, v1, v3, vcc
	v_or_b32_e32 v0, 0x100, v0
	v_mov_b32_e32 v1, s1
	global_store_short v[2:3], v1, off
	s_or_b64 exec, exec, s[4:5]
	v_cmp_gt_i32_e32 vcc, s0, v0
	s_and_saveexec_b64 s[4:5], vcc
	s_cbranch_execz .LBB100_2
.LBB100_6:
	v_add_u32_e32 v2, 0x100, v0
	v_add_u32_e32 v0, s6, v0
	v_mov_b32_e32 v1, 0
	v_lshlrev_b64 v[0:1], 1, v[0:1]
	v_mov_b32_e32 v3, s3
	v_add_co_u32_e32 v0, vcc, s2, v0
	v_addc_co_u32_e32 v1, vcc, v3, v1, vcc
	v_mov_b32_e32 v3, s1
	global_store_short v[0:1], v3, off
	v_mov_b32_e32 v0, v2
	s_or_b64 exec, exec, s[4:5]
	v_cmp_gt_i32_e32 vcc, s0, v0
	s_and_saveexec_b64 s[4:5], vcc
	s_cbranch_execz .LBB100_3
.LBB100_7:
	v_add_u32_e32 v2, 0x100, v0
	v_add_u32_e32 v0, s6, v0
	v_mov_b32_e32 v1, 0
	v_lshlrev_b64 v[0:1], 1, v[0:1]
	v_mov_b32_e32 v3, s3
	v_add_co_u32_e32 v0, vcc, s2, v0
	v_addc_co_u32_e32 v1, vcc, v3, v1, vcc
	v_mov_b32_e32 v3, s1
	global_store_short v[0:1], v3, off
	v_mov_b32_e32 v0, v2
	s_or_b64 exec, exec, s[4:5]
	v_cmp_gt_i32_e32 vcc, s0, v0
	s_and_saveexec_b64 s[4:5], vcc
	s_cbranch_execz .LBB100_4
.LBB100_8:
	v_add_u32_e32 v0, s6, v0
	v_mov_b32_e32 v1, 0
	v_lshlrev_b64 v[0:1], 1, v[0:1]
	v_mov_b32_e32 v2, s3
	v_add_co_u32_e32 v0, vcc, s2, v0
	v_addc_co_u32_e32 v1, vcc, v2, v1, vcc
	v_mov_b32_e32 v2, s1
	global_store_short v[0:1], v2, off
	s_endpgm
	.section	.rodata,"a",@progbits
	.p2align	6, 0x0
	.amdhsa_kernel _ZN2at6native27unrolled_elementwise_kernelINS0_11FillFunctorIN3c104HalfEEESt5arrayIPcLm1EELi4E23TrivialOffsetCalculatorILi0EjES9_ILi1EjENS0_6memory15LoadWithoutCastENSC_16StoreWithoutCastEEEviT_T0_T2_T3_T4_T5_
		.amdhsa_group_segment_fixed_size 0
		.amdhsa_private_segment_fixed_size 0
		.amdhsa_kernarg_size 20
		.amdhsa_user_sgpr_count 6
		.amdhsa_user_sgpr_private_segment_buffer 1
		.amdhsa_user_sgpr_dispatch_ptr 0
		.amdhsa_user_sgpr_queue_ptr 0
		.amdhsa_user_sgpr_kernarg_segment_ptr 1
		.amdhsa_user_sgpr_dispatch_id 0
		.amdhsa_user_sgpr_flat_scratch_init 0
		.amdhsa_user_sgpr_kernarg_preload_length 0
		.amdhsa_user_sgpr_kernarg_preload_offset 0
		.amdhsa_user_sgpr_private_segment_size 0
		.amdhsa_uses_dynamic_stack 0
		.amdhsa_system_sgpr_private_segment_wavefront_offset 0
		.amdhsa_system_sgpr_workgroup_id_x 1
		.amdhsa_system_sgpr_workgroup_id_y 0
		.amdhsa_system_sgpr_workgroup_id_z 0
		.amdhsa_system_sgpr_workgroup_info 0
		.amdhsa_system_vgpr_workitem_id 0
		.amdhsa_next_free_vgpr 4
		.amdhsa_next_free_sgpr 7
		.amdhsa_accum_offset 4
		.amdhsa_reserve_vcc 1
		.amdhsa_reserve_flat_scratch 0
		.amdhsa_float_round_mode_32 0
		.amdhsa_float_round_mode_16_64 0
		.amdhsa_float_denorm_mode_32 3
		.amdhsa_float_denorm_mode_16_64 3
		.amdhsa_dx10_clamp 1
		.amdhsa_ieee_mode 1
		.amdhsa_fp16_overflow 0
		.amdhsa_tg_split 0
		.amdhsa_exception_fp_ieee_invalid_op 0
		.amdhsa_exception_fp_denorm_src 0
		.amdhsa_exception_fp_ieee_div_zero 0
		.amdhsa_exception_fp_ieee_overflow 0
		.amdhsa_exception_fp_ieee_underflow 0
		.amdhsa_exception_fp_ieee_inexact 0
		.amdhsa_exception_int_div_zero 0
	.end_amdhsa_kernel
	.section	.text._ZN2at6native27unrolled_elementwise_kernelINS0_11FillFunctorIN3c104HalfEEESt5arrayIPcLm1EELi4E23TrivialOffsetCalculatorILi0EjES9_ILi1EjENS0_6memory15LoadWithoutCastENSC_16StoreWithoutCastEEEviT_T0_T2_T3_T4_T5_,"axG",@progbits,_ZN2at6native27unrolled_elementwise_kernelINS0_11FillFunctorIN3c104HalfEEESt5arrayIPcLm1EELi4E23TrivialOffsetCalculatorILi0EjES9_ILi1EjENS0_6memory15LoadWithoutCastENSC_16StoreWithoutCastEEEviT_T0_T2_T3_T4_T5_,comdat
.Lfunc_end100:
	.size	_ZN2at6native27unrolled_elementwise_kernelINS0_11FillFunctorIN3c104HalfEEESt5arrayIPcLm1EELi4E23TrivialOffsetCalculatorILi0EjES9_ILi1EjENS0_6memory15LoadWithoutCastENSC_16StoreWithoutCastEEEviT_T0_T2_T3_T4_T5_, .Lfunc_end100-_ZN2at6native27unrolled_elementwise_kernelINS0_11FillFunctorIN3c104HalfEEESt5arrayIPcLm1EELi4E23TrivialOffsetCalculatorILi0EjES9_ILi1EjENS0_6memory15LoadWithoutCastENSC_16StoreWithoutCastEEEviT_T0_T2_T3_T4_T5_
                                        ; -- End function
	.section	.AMDGPU.csdata,"",@progbits
; Kernel info:
; codeLenInByte = 328
; NumSgprs: 11
; NumVgprs: 4
; NumAgprs: 0
; TotalNumVgprs: 4
; ScratchSize: 0
; MemoryBound: 0
; FloatMode: 240
; IeeeMode: 1
; LDSByteSize: 0 bytes/workgroup (compile time only)
; SGPRBlocks: 1
; VGPRBlocks: 0
; NumSGPRsForWavesPerEU: 11
; NumVGPRsForWavesPerEU: 4
; AccumOffset: 4
; Occupancy: 8
; WaveLimiterHint : 0
; COMPUTE_PGM_RSRC2:SCRATCH_EN: 0
; COMPUTE_PGM_RSRC2:USER_SGPR: 6
; COMPUTE_PGM_RSRC2:TRAP_HANDLER: 0
; COMPUTE_PGM_RSRC2:TGID_X_EN: 1
; COMPUTE_PGM_RSRC2:TGID_Y_EN: 0
; COMPUTE_PGM_RSRC2:TGID_Z_EN: 0
; COMPUTE_PGM_RSRC2:TIDIG_COMP_CNT: 0
; COMPUTE_PGM_RSRC3_GFX90A:ACCUM_OFFSET: 0
; COMPUTE_PGM_RSRC3_GFX90A:TG_SPLIT: 0
	.section	.text._ZN2at6native32elementwise_kernel_manual_unrollILi128ELi8EZNS0_22gpu_kernel_impl_nocastINS0_11FillFunctorIN3c104HalfEEEEEvRNS_18TensorIteratorBaseERKT_EUlibE_EEviT1_,"axG",@progbits,_ZN2at6native32elementwise_kernel_manual_unrollILi128ELi8EZNS0_22gpu_kernel_impl_nocastINS0_11FillFunctorIN3c104HalfEEEEEvRNS_18TensorIteratorBaseERKT_EUlibE_EEviT1_,comdat
	.protected	_ZN2at6native32elementwise_kernel_manual_unrollILi128ELi8EZNS0_22gpu_kernel_impl_nocastINS0_11FillFunctorIN3c104HalfEEEEEvRNS_18TensorIteratorBaseERKT_EUlibE_EEviT1_ ; -- Begin function _ZN2at6native32elementwise_kernel_manual_unrollILi128ELi8EZNS0_22gpu_kernel_impl_nocastINS0_11FillFunctorIN3c104HalfEEEEEvRNS_18TensorIteratorBaseERKT_EUlibE_EEviT1_
	.globl	_ZN2at6native32elementwise_kernel_manual_unrollILi128ELi8EZNS0_22gpu_kernel_impl_nocastINS0_11FillFunctorIN3c104HalfEEEEEvRNS_18TensorIteratorBaseERKT_EUlibE_EEviT1_
	.p2align	8
	.type	_ZN2at6native32elementwise_kernel_manual_unrollILi128ELi8EZNS0_22gpu_kernel_impl_nocastINS0_11FillFunctorIN3c104HalfEEEEEvRNS_18TensorIteratorBaseERKT_EUlibE_EEviT1_,@function
_ZN2at6native32elementwise_kernel_manual_unrollILi128ELi8EZNS0_22gpu_kernel_impl_nocastINS0_11FillFunctorIN3c104HalfEEEEEvRNS_18TensorIteratorBaseERKT_EUlibE_EEviT1_: ; @_ZN2at6native32elementwise_kernel_manual_unrollILi128ELi8EZNS0_22gpu_kernel_impl_nocastINS0_11FillFunctorIN3c104HalfEEEEEvRNS_18TensorIteratorBaseERKT_EUlibE_EEviT1_
; %bb.0:
	s_load_dword s48, s[4:5], 0x0
	s_load_dword s33, s[4:5], 0x8
	s_or_b32 s4, s4, 8
	v_lshl_or_b32 v12, s6, 10, v0
	v_or_b32_e32 v16, 0x380, v12
	s_waitcnt lgkmcnt(0)
	v_cmp_le_i32_e32 vcc, s48, v16
	s_add_i32 s46, s33, -1
	s_cmp_gt_u32 s46, 1
	s_cselect_b64 s[6:7], -1, 0
	s_and_saveexec_b64 s[0:1], vcc
	s_xor_b64 s[24:25], exec, s[0:1]
	s_cbranch_execz .LBB101_7
; %bb.1:
	s_load_dwordx4 s[0:3], s[4:5], 0x4
	s_load_dwordx2 s[30:31], s[4:5], 0x14
	s_load_dwordx2 s[28:29], s[4:5], 0xc4
	;; [unrolled: 1-line block ×3, first 2 shown]
	s_load_dword s47, s[4:5], 0x110
	s_cmp_lg_u32 s33, 0
	s_cselect_b64 s[38:39], -1, 0
	s_add_u32 s36, s4, 0xc4
	s_addc_u32 s37, s5, 0
	s_min_u32 s49, s46, 15
	s_cmp_gt_u32 s33, 1
	s_cselect_b64 s[34:35], -1, 0
	v_cmp_gt_i32_e32 vcc, s48, v12
	s_and_saveexec_b64 s[40:41], vcc
	s_cbranch_execz .LBB101_14
; %bb.2:
	s_andn2_b64 vcc, exec, s[6:7]
	s_cbranch_vccnz .LBB101_21
; %bb.3:
	s_andn2_b64 vcc, exec, s[38:39]
	s_cbranch_vccnz .LBB101_121
; %bb.4:
	s_add_i32 s51, s49, 1
	s_mov_b32 s50, 0
	s_cmp_eq_u32 s46, 2
	v_mov_b32_e32 v0, 0
	s_cbranch_scc1 .LBB101_123
; %bb.5:
	s_and_b32 s50, s51, 28
	s_mov_b32 s52, 0
	v_mov_b32_e32 v0, 0
	s_mov_b64 s[42:43], s[4:5]
	s_mov_b64 s[44:45], s[36:37]
	v_mov_b32_e32 v2, v12
.LBB101_6:                              ; =>This Inner Loop Header: Depth=1
	s_load_dwordx8 s[8:15], s[42:43], 0x4
	s_load_dwordx4 s[16:19], s[42:43], 0x24
	s_load_dwordx4 s[20:23], s[44:45], 0x0
	s_add_u32 s42, s42, 48
	s_addc_u32 s43, s43, 0
	s_waitcnt lgkmcnt(0)
	v_mul_hi_u32 v1, s9, v2
	v_add_u32_e32 v1, v2, v1
	v_lshrrev_b32_e32 v1, s10, v1
	v_mul_lo_u32 v3, v1, s8
	v_mul_hi_u32 v4, s12, v1
	v_sub_u32_e32 v2, v2, v3
	v_add_u32_e32 v3, v1, v4
	v_lshrrev_b32_e32 v3, s13, v3
	v_mul_lo_u32 v4, v3, s11
	v_mul_hi_u32 v5, s15, v3
	v_sub_u32_e32 v1, v1, v4
	v_add_u32_e32 v4, v3, v5
	v_mul_lo_u32 v2, v2, s20
	v_mul_lo_u32 v1, v1, s21
	v_lshrrev_b32_e32 v4, s16, v4
	v_add3_u32 v0, v2, v0, v1
	v_mul_hi_u32 v2, s18, v4
	v_add_u32_e32 v2, v4, v2
	v_mul_lo_u32 v1, v4, s14
	v_lshrrev_b32_e32 v2, s19, v2
	s_add_i32 s52, s52, 4
	v_sub_u32_e32 v1, v3, v1
	v_mul_lo_u32 v3, v2, s17
	s_add_u32 s44, s44, 16
	v_sub_u32_e32 v3, v4, v3
	s_addc_u32 s45, s45, 0
	v_mul_lo_u32 v1, v1, s22
	v_mul_lo_u32 v3, v3, s23
	s_cmp_lg_u32 s50, s52
	v_add3_u32 v0, v1, v0, v3
	s_cbranch_scc1 .LBB101_6
	s_branch .LBB101_124
.LBB101_7:
	s_andn2_saveexec_b64 s[0:1], s[24:25]
	s_cbranch_execz .LBB101_213
.LBB101_8:
	v_cndmask_b32_e64 v0, 0, 1, s[6:7]
	v_cmp_ne_u32_e64 s[0:1], 1, v0
	s_andn2_b64 vcc, exec, s[6:7]
	s_cbranch_vccnz .LBB101_20
; %bb.9:
	s_mov_b32 s24, 0
	s_cmp_eq_u32 s33, 0
	v_mov_b32_e32 v0, 0
	s_cbranch_scc1 .LBB101_26
; %bb.10:
	s_min_u32 s25, s46, 15
	s_add_i32 s25, s25, 1
	s_cmp_eq_u32 s46, 2
	v_mov_b32_e32 v0, 0
	s_cbranch_scc1 .LBB101_23
; %bb.11:
	s_add_u32 s2, s4, 0xc4
	s_addc_u32 s3, s5, 0
	s_and_b32 s24, s25, 28
	s_mov_b32 s26, 0
	v_mov_b32_e32 v0, 0
	s_mov_b64 s[6:7], s[4:5]
	v_mov_b32_e32 v2, v12
.LBB101_12:                             ; =>This Inner Loop Header: Depth=1
	s_load_dwordx8 s[8:15], s[6:7], 0x4
	s_load_dwordx4 s[16:19], s[6:7], 0x24
	s_load_dwordx4 s[20:23], s[2:3], 0x0
	s_add_u32 s6, s6, 48
	s_addc_u32 s7, s7, 0
	s_waitcnt lgkmcnt(0)
	v_mul_hi_u32 v1, s9, v2
	v_add_u32_e32 v1, v2, v1
	v_lshrrev_b32_e32 v1, s10, v1
	v_mul_lo_u32 v3, v1, s8
	v_mul_hi_u32 v4, s12, v1
	v_sub_u32_e32 v2, v2, v3
	v_add_u32_e32 v3, v1, v4
	v_lshrrev_b32_e32 v3, s13, v3
	v_mul_lo_u32 v4, v3, s11
	v_mul_hi_u32 v5, s15, v3
	v_sub_u32_e32 v1, v1, v4
	v_add_u32_e32 v4, v3, v5
	v_mul_lo_u32 v2, v2, s20
	v_mul_lo_u32 v1, v1, s21
	v_lshrrev_b32_e32 v4, s16, v4
	v_add3_u32 v0, v2, v0, v1
	v_mul_hi_u32 v2, s18, v4
	v_add_u32_e32 v2, v4, v2
	v_mul_lo_u32 v1, v4, s14
	v_lshrrev_b32_e32 v2, s19, v2
	s_add_i32 s26, s26, 4
	v_sub_u32_e32 v1, v3, v1
	v_mul_lo_u32 v3, v2, s17
	s_add_u32 s2, s2, 16
	v_sub_u32_e32 v3, v4, v3
	s_addc_u32 s3, s3, 0
	v_mul_lo_u32 v1, v1, s22
	v_mul_lo_u32 v3, v3, s23
	s_cmp_lg_u32 s24, s26
	v_add3_u32 v0, v1, v0, v3
	s_cbranch_scc1 .LBB101_12
; %bb.13:
	s_and_b32 s8, s25, 3
	s_cmp_eq_u32 s8, 0
	s_cbranch_scc0 .LBB101_24
	s_branch .LBB101_26
.LBB101_14:
	s_or_b64 exec, exec, s[40:41]
	v_cmp_gt_i32_e32 vcc, s48, v12
	s_and_saveexec_b64 s[40:41], vcc
	s_cbranch_execz .LBB101_131
.LBB101_15:
	s_andn2_b64 vcc, exec, s[6:7]
	s_cbranch_vccnz .LBB101_22
; %bb.16:
	s_andn2_b64 vcc, exec, s[38:39]
	s_cbranch_vccnz .LBB101_122
; %bb.17:
	s_add_i32 s51, s49, 1
	s_mov_b32 s50, 0
	s_cmp_eq_u32 s46, 2
	v_mov_b32_e32 v0, 0
	s_cbranch_scc1 .LBB101_139
; %bb.18:
	s_and_b32 s50, s51, 28
	s_mov_b32 s52, 0
	v_mov_b32_e32 v0, 0
	s_mov_b64 s[42:43], s[4:5]
	s_mov_b64 s[44:45], s[36:37]
	v_mov_b32_e32 v2, v12
.LBB101_19:                             ; =>This Inner Loop Header: Depth=1
	s_load_dwordx8 s[8:15], s[42:43], 0x4
	s_load_dwordx4 s[16:19], s[42:43], 0x24
	s_load_dwordx4 s[20:23], s[44:45], 0x0
	s_add_u32 s42, s42, 48
	s_addc_u32 s43, s43, 0
	s_waitcnt lgkmcnt(0)
	v_mul_hi_u32 v1, s9, v2
	v_add_u32_e32 v1, v2, v1
	v_lshrrev_b32_e32 v1, s10, v1
	v_mul_lo_u32 v3, v1, s8
	v_mul_hi_u32 v4, s12, v1
	v_sub_u32_e32 v2, v2, v3
	v_add_u32_e32 v3, v1, v4
	v_lshrrev_b32_e32 v3, s13, v3
	v_mul_lo_u32 v4, v3, s11
	v_mul_hi_u32 v5, s15, v3
	v_sub_u32_e32 v1, v1, v4
	v_add_u32_e32 v4, v3, v5
	v_mul_lo_u32 v2, v2, s20
	v_mul_lo_u32 v1, v1, s21
	v_lshrrev_b32_e32 v4, s16, v4
	v_add3_u32 v0, v2, v0, v1
	v_mul_hi_u32 v2, s18, v4
	v_add_u32_e32 v2, v4, v2
	v_mul_lo_u32 v1, v4, s14
	v_lshrrev_b32_e32 v2, s19, v2
	s_add_i32 s52, s52, 4
	v_sub_u32_e32 v1, v3, v1
	v_mul_lo_u32 v3, v2, s17
	s_add_u32 s44, s44, 16
	v_sub_u32_e32 v3, v4, v3
	s_addc_u32 s45, s45, 0
	v_mul_lo_u32 v1, v1, s22
	v_mul_lo_u32 v3, v3, s23
	s_cmp_eq_u32 s50, s52
	v_add3_u32 v0, v1, v0, v3
	s_cbranch_scc0 .LBB101_19
	s_branch .LBB101_140
.LBB101_20:
                                        ; implicit-def: $vgpr0
	s_branch .LBB101_27
.LBB101_21:
                                        ; implicit-def: $vgpr0
	s_branch .LBB101_128
.LBB101_22:
                                        ; implicit-def: $vgpr0
	s_branch .LBB101_144
.LBB101_23:
	v_mov_b32_e32 v2, v12
	s_and_b32 s8, s25, 3
	s_cmp_eq_u32 s8, 0
	s_cbranch_scc1 .LBB101_26
.LBB101_24:
	s_lshl_b32 s2, s24, 2
	s_add_u32 s2, s2, s4
	s_addc_u32 s3, 0, s5
	s_add_u32 s2, s2, 0xc4
	s_addc_u32 s3, s3, 0
	s_mul_i32 s6, s24, 12
	s_add_u32 s6, s4, s6
	s_addc_u32 s7, 0, s5
.LBB101_25:                             ; =>This Inner Loop Header: Depth=1
	s_load_dwordx2 s[10:11], s[6:7], 0x4
	s_load_dword s9, s[6:7], 0xc
	s_load_dword s12, s[2:3], 0x0
	s_add_u32 s6, s6, 12
	s_addc_u32 s7, s7, 0
	s_waitcnt lgkmcnt(0)
	v_mul_hi_u32 v1, s11, v2
	v_add_u32_e32 v1, v2, v1
	v_lshrrev_b32_e32 v1, s9, v1
	s_add_u32 s2, s2, 4
	v_mul_lo_u32 v3, v1, s10
	s_addc_u32 s3, s3, 0
	s_add_i32 s8, s8, -1
	v_sub_u32_e32 v3, v2, v3
	s_cmp_lg_u32 s8, 0
	v_mov_b32_e32 v2, v1
	v_mad_u64_u32 v[0:1], s[10:11], v3, s12, v[0:1]
	s_cbranch_scc1 .LBB101_25
.LBB101_26:
	s_cbranch_execnz .LBB101_29
.LBB101_27:
	s_load_dwordx4 s[8:11], s[4:5], 0x4
	s_load_dword s2, s[4:5], 0xc4
	s_cmp_lt_u32 s33, 2
	s_waitcnt lgkmcnt(0)
	v_mul_hi_u32 v0, s9, v12
	v_add_u32_e32 v0, v12, v0
	v_lshrrev_b32_e32 v1, s10, v0
	v_mul_lo_u32 v0, v1, s8
	v_sub_u32_e32 v0, v12, v0
	v_mul_lo_u32 v0, v0, s2
	s_cbranch_scc1 .LBB101_29
; %bb.28:
	s_load_dwordx4 s[8:11], s[4:5], 0x10
	s_load_dword s2, s[4:5], 0xc8
	s_waitcnt lgkmcnt(0)
	v_mul_hi_u32 v2, s9, v1
	v_add_u32_e32 v2, v1, v2
	v_lshrrev_b32_e32 v2, s10, v2
	v_mul_lo_u32 v2, v2, s8
	v_sub_u32_e32 v1, v1, v2
	v_mad_u64_u32 v[0:1], s[2:3], v1, s2, v[0:1]
.LBB101_29:
	s_and_b64 vcc, exec, s[0:1]
	v_add_u32_e32 v1, 0x80, v12
	s_cbranch_vccnz .LBB101_35
; %bb.30:
	s_mov_b32 s24, 0
	s_cmp_eq_u32 s33, 0
	v_mov_b32_e32 v2, 0
	s_cbranch_scc1 .LBB101_39
; %bb.31:
	s_min_u32 s25, s46, 15
	s_add_i32 s25, s25, 1
	s_cmp_eq_u32 s46, 2
	v_mov_b32_e32 v2, 0
	s_cbranch_scc1 .LBB101_36
; %bb.32:
	s_add_u32 s2, s4, 0xc4
	s_addc_u32 s3, s5, 0
	s_and_b32 s24, s25, 28
	s_mov_b32 s26, 0
	v_mov_b32_e32 v2, 0
	s_mov_b64 s[6:7], s[4:5]
	v_mov_b32_e32 v4, v1
.LBB101_33:                             ; =>This Inner Loop Header: Depth=1
	s_load_dwordx8 s[8:15], s[6:7], 0x4
	s_load_dwordx4 s[16:19], s[6:7], 0x24
	s_load_dwordx4 s[20:23], s[2:3], 0x0
	s_add_u32 s6, s6, 48
	s_addc_u32 s7, s7, 0
	s_waitcnt lgkmcnt(0)
	v_mul_hi_u32 v3, s9, v4
	v_add_u32_e32 v3, v4, v3
	v_lshrrev_b32_e32 v3, s10, v3
	v_mul_lo_u32 v5, v3, s8
	v_mul_hi_u32 v6, s12, v3
	v_sub_u32_e32 v4, v4, v5
	v_add_u32_e32 v5, v3, v6
	v_lshrrev_b32_e32 v5, s13, v5
	v_mul_lo_u32 v6, v5, s11
	v_mul_hi_u32 v7, s15, v5
	v_sub_u32_e32 v3, v3, v6
	v_add_u32_e32 v6, v5, v7
	v_mul_lo_u32 v4, v4, s20
	v_mul_lo_u32 v3, v3, s21
	v_lshrrev_b32_e32 v6, s16, v6
	v_add3_u32 v2, v4, v2, v3
	v_mul_hi_u32 v4, s18, v6
	v_add_u32_e32 v4, v6, v4
	v_mul_lo_u32 v3, v6, s14
	v_lshrrev_b32_e32 v4, s19, v4
	s_add_i32 s26, s26, 4
	v_sub_u32_e32 v3, v5, v3
	v_mul_lo_u32 v5, v4, s17
	s_add_u32 s2, s2, 16
	v_sub_u32_e32 v5, v6, v5
	s_addc_u32 s3, s3, 0
	v_mul_lo_u32 v3, v3, s22
	v_mul_lo_u32 v5, v5, s23
	s_cmp_lg_u32 s24, s26
	v_add3_u32 v2, v3, v2, v5
	s_cbranch_scc1 .LBB101_33
; %bb.34:
	s_and_b32 s8, s25, 3
	s_cmp_eq_u32 s8, 0
	s_cbranch_scc0 .LBB101_37
	s_branch .LBB101_39
.LBB101_35:
                                        ; implicit-def: $vgpr2
	s_branch .LBB101_40
.LBB101_36:
	v_mov_b32_e32 v4, v1
	s_and_b32 s8, s25, 3
	s_cmp_eq_u32 s8, 0
	s_cbranch_scc1 .LBB101_39
.LBB101_37:
	s_lshl_b32 s2, s24, 2
	s_add_u32 s2, s2, s4
	s_addc_u32 s3, 0, s5
	s_add_u32 s2, s2, 0xc4
	s_addc_u32 s3, s3, 0
	s_mul_i32 s6, s24, 12
	s_add_u32 s6, s4, s6
	s_addc_u32 s7, 0, s5
.LBB101_38:                             ; =>This Inner Loop Header: Depth=1
	s_load_dwordx2 s[10:11], s[6:7], 0x4
	s_load_dword s9, s[6:7], 0xc
	s_load_dword s12, s[2:3], 0x0
	s_add_u32 s6, s6, 12
	s_addc_u32 s7, s7, 0
	s_waitcnt lgkmcnt(0)
	v_mul_hi_u32 v3, s11, v4
	v_add_u32_e32 v3, v4, v3
	v_lshrrev_b32_e32 v3, s9, v3
	s_add_u32 s2, s2, 4
	v_mul_lo_u32 v5, v3, s10
	s_addc_u32 s3, s3, 0
	s_add_i32 s8, s8, -1
	v_sub_u32_e32 v5, v4, v5
	s_cmp_lg_u32 s8, 0
	v_mov_b32_e32 v4, v3
	v_mad_u64_u32 v[2:3], s[10:11], v5, s12, v[2:3]
	s_cbranch_scc1 .LBB101_38
.LBB101_39:
	s_cbranch_execnz .LBB101_42
.LBB101_40:
	s_load_dwordx4 s[8:11], s[4:5], 0x4
	s_load_dword s2, s[4:5], 0xc4
	s_cmp_lt_u32 s33, 2
	s_waitcnt lgkmcnt(0)
	v_mul_hi_u32 v2, s9, v1
	v_add_u32_e32 v2, v1, v2
	v_lshrrev_b32_e32 v3, s10, v2
	v_mul_lo_u32 v2, v3, s8
	v_sub_u32_e32 v1, v1, v2
	v_mul_lo_u32 v2, v1, s2
	s_cbranch_scc1 .LBB101_42
; %bb.41:
	s_load_dwordx4 s[8:11], s[4:5], 0x10
	s_load_dword s2, s[4:5], 0xc8
	s_waitcnt lgkmcnt(0)
	v_mul_hi_u32 v1, s9, v3
	v_add_u32_e32 v1, v3, v1
	v_lshrrev_b32_e32 v1, s10, v1
	v_mul_lo_u32 v1, v1, s8
	v_sub_u32_e32 v1, v3, v1
	v_mad_u64_u32 v[2:3], s[2:3], v1, s2, v[2:3]
.LBB101_42:
	s_and_b64 vcc, exec, s[0:1]
	v_add_u32_e32 v1, 0x100, v12
	s_cbranch_vccnz .LBB101_48
; %bb.43:
	s_mov_b32 s24, 0
	s_cmp_eq_u32 s33, 0
	v_mov_b32_e32 v4, 0
	s_cbranch_scc1 .LBB101_52
; %bb.44:
	s_min_u32 s25, s46, 15
	s_add_i32 s25, s25, 1
	s_cmp_eq_u32 s46, 2
	v_mov_b32_e32 v4, 0
	s_cbranch_scc1 .LBB101_49
; %bb.45:
	s_add_u32 s2, s4, 0xc4
	s_addc_u32 s3, s5, 0
	s_and_b32 s24, s25, 28
	s_mov_b32 s26, 0
	v_mov_b32_e32 v4, 0
	s_mov_b64 s[6:7], s[4:5]
	v_mov_b32_e32 v3, v1
.LBB101_46:                             ; =>This Inner Loop Header: Depth=1
	s_load_dwordx8 s[8:15], s[6:7], 0x4
	s_load_dwordx4 s[16:19], s[6:7], 0x24
	s_load_dwordx4 s[20:23], s[2:3], 0x0
	s_add_u32 s6, s6, 48
	s_addc_u32 s7, s7, 0
	s_waitcnt lgkmcnt(0)
	v_mul_hi_u32 v5, s9, v3
	v_add_u32_e32 v5, v3, v5
	v_lshrrev_b32_e32 v5, s10, v5
	v_mul_lo_u32 v6, v5, s8
	v_mul_hi_u32 v7, s12, v5
	v_sub_u32_e32 v3, v3, v6
	v_add_u32_e32 v6, v5, v7
	v_lshrrev_b32_e32 v6, s13, v6
	v_mul_lo_u32 v7, v6, s11
	v_mul_hi_u32 v8, s15, v6
	v_sub_u32_e32 v5, v5, v7
	v_add_u32_e32 v7, v6, v8
	v_mul_lo_u32 v3, v3, s20
	v_mul_lo_u32 v5, v5, s21
	v_lshrrev_b32_e32 v7, s16, v7
	v_add3_u32 v4, v3, v4, v5
	v_mul_lo_u32 v3, v7, s14
	v_mul_hi_u32 v5, s18, v7
	v_sub_u32_e32 v3, v6, v3
	v_add_u32_e32 v5, v7, v5
	v_mul_lo_u32 v6, v3, s22
	v_lshrrev_b32_e32 v3, s19, v5
	s_add_i32 s26, s26, 4
	v_mul_lo_u32 v5, v3, s17
	s_add_u32 s2, s2, 16
	v_sub_u32_e32 v5, v7, v5
	s_addc_u32 s3, s3, 0
	v_mul_lo_u32 v5, v5, s23
	s_cmp_lg_u32 s24, s26
	v_add3_u32 v4, v6, v4, v5
	s_cbranch_scc1 .LBB101_46
; %bb.47:
	s_and_b32 s8, s25, 3
	s_cmp_eq_u32 s8, 0
	s_cbranch_scc0 .LBB101_50
	s_branch .LBB101_52
.LBB101_48:
                                        ; implicit-def: $vgpr4
	s_branch .LBB101_53
.LBB101_49:
	v_mov_b32_e32 v3, v1
	s_and_b32 s8, s25, 3
	s_cmp_eq_u32 s8, 0
	s_cbranch_scc1 .LBB101_52
.LBB101_50:
	s_lshl_b32 s2, s24, 2
	s_add_u32 s2, s2, s4
	s_addc_u32 s3, 0, s5
	s_add_u32 s2, s2, 0xc4
	s_addc_u32 s3, s3, 0
	s_mul_i32 s6, s24, 12
	s_add_u32 s6, s4, s6
	s_addc_u32 s7, 0, s5
.LBB101_51:                             ; =>This Inner Loop Header: Depth=1
	s_load_dwordx2 s[10:11], s[6:7], 0x4
	s_load_dword s9, s[6:7], 0xc
	s_load_dword s12, s[2:3], 0x0
	s_add_u32 s6, s6, 12
	s_addc_u32 s7, s7, 0
	s_waitcnt lgkmcnt(0)
	v_mul_hi_u32 v5, s11, v3
	v_add_u32_e32 v5, v3, v5
	v_lshrrev_b32_e32 v5, s9, v5
	s_add_u32 s2, s2, 4
	v_mul_lo_u32 v6, v5, s10
	s_addc_u32 s3, s3, 0
	s_add_i32 s8, s8, -1
	v_sub_u32_e32 v6, v3, v6
	s_cmp_lg_u32 s8, 0
	v_mov_b32_e32 v3, v5
	v_mad_u64_u32 v[4:5], s[10:11], v6, s12, v[4:5]
	s_cbranch_scc1 .LBB101_51
.LBB101_52:
	s_cbranch_execnz .LBB101_55
.LBB101_53:
	s_load_dwordx4 s[8:11], s[4:5], 0x4
	s_load_dword s2, s[4:5], 0xc4
	s_cmp_lt_u32 s33, 2
	s_waitcnt lgkmcnt(0)
	v_mul_hi_u32 v3, s9, v1
	v_add_u32_e32 v3, v1, v3
	v_lshrrev_b32_e32 v3, s10, v3
	v_mul_lo_u32 v4, v3, s8
	v_sub_u32_e32 v1, v1, v4
	v_mul_lo_u32 v4, v1, s2
	s_cbranch_scc1 .LBB101_55
; %bb.54:
	s_load_dwordx4 s[8:11], s[4:5], 0x10
	s_load_dword s2, s[4:5], 0xc8
	s_waitcnt lgkmcnt(0)
	v_mul_hi_u32 v1, s9, v3
	v_add_u32_e32 v1, v3, v1
	v_lshrrev_b32_e32 v1, s10, v1
	v_mul_lo_u32 v1, v1, s8
	v_sub_u32_e32 v1, v3, v1
	v_mad_u64_u32 v[4:5], s[2:3], v1, s2, v[4:5]
.LBB101_55:
	s_and_b64 vcc, exec, s[0:1]
	v_add_u32_e32 v1, 0x180, v12
	s_cbranch_vccnz .LBB101_61
; %bb.56:
	s_mov_b32 s24, 0
	s_cmp_eq_u32 s33, 0
	v_mov_b32_e32 v6, 0
	s_cbranch_scc1 .LBB101_65
; %bb.57:
	s_min_u32 s25, s46, 15
	s_add_i32 s25, s25, 1
	s_cmp_eq_u32 s46, 2
	v_mov_b32_e32 v6, 0
	s_cbranch_scc1 .LBB101_62
; %bb.58:
	s_add_u32 s2, s4, 0xc4
	s_addc_u32 s3, s5, 0
	s_and_b32 s24, s25, 28
	s_mov_b32 s26, 0
	v_mov_b32_e32 v6, 0
	s_mov_b64 s[6:7], s[4:5]
	v_mov_b32_e32 v3, v1
.LBB101_59:                             ; =>This Inner Loop Header: Depth=1
	s_load_dwordx8 s[8:15], s[6:7], 0x4
	s_load_dwordx4 s[16:19], s[6:7], 0x24
	s_load_dwordx4 s[20:23], s[2:3], 0x0
	s_add_u32 s6, s6, 48
	s_addc_u32 s7, s7, 0
	s_waitcnt lgkmcnt(0)
	v_mul_hi_u32 v5, s9, v3
	v_add_u32_e32 v5, v3, v5
	v_lshrrev_b32_e32 v5, s10, v5
	v_mul_lo_u32 v7, v5, s8
	v_mul_hi_u32 v8, s12, v5
	v_sub_u32_e32 v3, v3, v7
	v_add_u32_e32 v7, v5, v8
	v_lshrrev_b32_e32 v7, s13, v7
	v_mul_lo_u32 v8, v7, s11
	v_mul_hi_u32 v9, s15, v7
	v_sub_u32_e32 v5, v5, v8
	v_add_u32_e32 v8, v7, v9
	v_mul_lo_u32 v3, v3, s20
	v_mul_lo_u32 v5, v5, s21
	v_lshrrev_b32_e32 v8, s16, v8
	v_add3_u32 v5, v3, v6, v5
	v_mul_lo_u32 v3, v8, s14
	v_mul_hi_u32 v6, s18, v8
	v_sub_u32_e32 v3, v7, v3
	v_add_u32_e32 v6, v8, v6
	v_mul_lo_u32 v7, v3, s22
	v_lshrrev_b32_e32 v3, s19, v6
	s_add_i32 s26, s26, 4
	v_mul_lo_u32 v6, v3, s17
	s_add_u32 s2, s2, 16
	v_sub_u32_e32 v6, v8, v6
	s_addc_u32 s3, s3, 0
	v_mul_lo_u32 v6, v6, s23
	s_cmp_lg_u32 s24, s26
	v_add3_u32 v6, v7, v5, v6
	s_cbranch_scc1 .LBB101_59
; %bb.60:
	s_and_b32 s8, s25, 3
	s_cmp_eq_u32 s8, 0
	s_cbranch_scc0 .LBB101_63
	s_branch .LBB101_65
.LBB101_61:
                                        ; implicit-def: $vgpr6
	s_branch .LBB101_66
.LBB101_62:
	v_mov_b32_e32 v3, v1
	s_and_b32 s8, s25, 3
	s_cmp_eq_u32 s8, 0
	s_cbranch_scc1 .LBB101_65
.LBB101_63:
	s_lshl_b32 s2, s24, 2
	s_add_u32 s2, s2, s4
	s_addc_u32 s3, 0, s5
	s_add_u32 s2, s2, 0xc4
	s_addc_u32 s3, s3, 0
	s_mul_i32 s6, s24, 12
	s_add_u32 s6, s4, s6
	s_addc_u32 s7, 0, s5
.LBB101_64:                             ; =>This Inner Loop Header: Depth=1
	s_load_dwordx2 s[10:11], s[6:7], 0x4
	s_load_dword s9, s[6:7], 0xc
	s_load_dword s12, s[2:3], 0x0
	s_add_u32 s6, s6, 12
	s_addc_u32 s7, s7, 0
	s_waitcnt lgkmcnt(0)
	v_mul_hi_u32 v5, s11, v3
	v_add_u32_e32 v5, v3, v5
	v_lshrrev_b32_e32 v5, s9, v5
	s_add_u32 s2, s2, 4
	v_mul_lo_u32 v7, v5, s10
	s_addc_u32 s3, s3, 0
	s_add_i32 s8, s8, -1
	v_sub_u32_e32 v7, v3, v7
	s_cmp_lg_u32 s8, 0
	v_mov_b32_e32 v3, v5
	v_mad_u64_u32 v[6:7], s[10:11], v7, s12, v[6:7]
	s_cbranch_scc1 .LBB101_64
.LBB101_65:
	s_cbranch_execnz .LBB101_68
.LBB101_66:
	s_load_dwordx4 s[8:11], s[4:5], 0x4
	s_load_dword s2, s[4:5], 0xc4
	s_cmp_lt_u32 s33, 2
	s_waitcnt lgkmcnt(0)
	v_mul_hi_u32 v3, s9, v1
	v_add_u32_e32 v3, v1, v3
	v_lshrrev_b32_e32 v3, s10, v3
	v_mul_lo_u32 v5, v3, s8
	v_sub_u32_e32 v1, v1, v5
	v_mul_lo_u32 v6, v1, s2
	s_cbranch_scc1 .LBB101_68
; %bb.67:
	s_load_dwordx4 s[8:11], s[4:5], 0x10
	s_load_dword s2, s[4:5], 0xc8
	s_waitcnt lgkmcnt(0)
	v_mul_hi_u32 v1, s9, v3
	v_add_u32_e32 v1, v3, v1
	v_lshrrev_b32_e32 v1, s10, v1
	v_mul_lo_u32 v1, v1, s8
	v_sub_u32_e32 v1, v3, v1
	v_mad_u64_u32 v[6:7], s[2:3], v1, s2, v[6:7]
.LBB101_68:
	s_and_b64 vcc, exec, s[0:1]
	v_add_u32_e32 v1, 0x200, v12
	s_cbranch_vccnz .LBB101_74
; %bb.69:
	s_mov_b32 s24, 0
	s_cmp_eq_u32 s33, 0
	v_mov_b32_e32 v8, 0
	s_cbranch_scc1 .LBB101_78
; %bb.70:
	s_min_u32 s25, s46, 15
	s_add_i32 s25, s25, 1
	s_cmp_eq_u32 s46, 2
	v_mov_b32_e32 v8, 0
	s_cbranch_scc1 .LBB101_75
; %bb.71:
	s_add_u32 s2, s4, 0xc4
	s_addc_u32 s3, s5, 0
	s_and_b32 s24, s25, 28
	s_mov_b32 s26, 0
	v_mov_b32_e32 v8, 0
	s_mov_b64 s[6:7], s[4:5]
	v_mov_b32_e32 v3, v1
.LBB101_72:                             ; =>This Inner Loop Header: Depth=1
	s_load_dwordx8 s[8:15], s[6:7], 0x4
	s_load_dwordx4 s[16:19], s[6:7], 0x24
	s_load_dwordx4 s[20:23], s[2:3], 0x0
	s_add_u32 s6, s6, 48
	s_addc_u32 s7, s7, 0
	s_waitcnt lgkmcnt(0)
	v_mul_hi_u32 v5, s9, v3
	v_add_u32_e32 v5, v3, v5
	v_lshrrev_b32_e32 v5, s10, v5
	v_mul_lo_u32 v7, v5, s8
	v_mul_hi_u32 v9, s12, v5
	v_sub_u32_e32 v3, v3, v7
	v_add_u32_e32 v7, v5, v9
	v_lshrrev_b32_e32 v7, s13, v7
	v_mul_lo_u32 v9, v7, s11
	v_mul_hi_u32 v10, s15, v7
	v_sub_u32_e32 v5, v5, v9
	v_add_u32_e32 v9, v7, v10
	v_mul_lo_u32 v3, v3, s20
	v_mul_lo_u32 v5, v5, s21
	v_lshrrev_b32_e32 v9, s16, v9
	v_add3_u32 v5, v3, v8, v5
	v_mul_lo_u32 v3, v9, s14
	v_mul_hi_u32 v8, s18, v9
	v_sub_u32_e32 v3, v7, v3
	v_add_u32_e32 v7, v9, v8
	v_mul_lo_u32 v8, v3, s22
	v_lshrrev_b32_e32 v3, s19, v7
	s_add_i32 s26, s26, 4
	v_mul_lo_u32 v7, v3, s17
	s_add_u32 s2, s2, 16
	v_sub_u32_e32 v7, v9, v7
	s_addc_u32 s3, s3, 0
	v_mul_lo_u32 v7, v7, s23
	s_cmp_lg_u32 s24, s26
	v_add3_u32 v8, v8, v5, v7
	s_cbranch_scc1 .LBB101_72
; %bb.73:
	s_and_b32 s8, s25, 3
	s_cmp_eq_u32 s8, 0
	s_cbranch_scc0 .LBB101_76
	s_branch .LBB101_78
.LBB101_74:
                                        ; implicit-def: $vgpr8
	s_branch .LBB101_79
.LBB101_75:
	v_mov_b32_e32 v3, v1
	s_and_b32 s8, s25, 3
	s_cmp_eq_u32 s8, 0
	s_cbranch_scc1 .LBB101_78
.LBB101_76:
	s_lshl_b32 s2, s24, 2
	s_add_u32 s2, s2, s4
	s_addc_u32 s3, 0, s5
	s_add_u32 s2, s2, 0xc4
	s_addc_u32 s3, s3, 0
	s_mul_i32 s6, s24, 12
	s_add_u32 s6, s4, s6
	s_addc_u32 s7, 0, s5
.LBB101_77:                             ; =>This Inner Loop Header: Depth=1
	s_load_dwordx2 s[10:11], s[6:7], 0x4
	s_load_dword s9, s[6:7], 0xc
	s_load_dword s12, s[2:3], 0x0
	s_add_u32 s6, s6, 12
	s_addc_u32 s7, s7, 0
	s_waitcnt lgkmcnt(0)
	v_mul_hi_u32 v5, s11, v3
	v_add_u32_e32 v5, v3, v5
	v_lshrrev_b32_e32 v5, s9, v5
	s_add_u32 s2, s2, 4
	v_mul_lo_u32 v7, v5, s10
	s_addc_u32 s3, s3, 0
	s_add_i32 s8, s8, -1
	v_sub_u32_e32 v7, v3, v7
	s_cmp_lg_u32 s8, 0
	v_mov_b32_e32 v3, v5
	v_mad_u64_u32 v[8:9], s[10:11], v7, s12, v[8:9]
	s_cbranch_scc1 .LBB101_77
.LBB101_78:
	s_cbranch_execnz .LBB101_81
.LBB101_79:
	s_load_dwordx4 s[8:11], s[4:5], 0x4
	s_load_dword s2, s[4:5], 0xc4
	s_cmp_lt_u32 s33, 2
	s_waitcnt lgkmcnt(0)
	v_mul_hi_u32 v3, s9, v1
	v_add_u32_e32 v3, v1, v3
	v_lshrrev_b32_e32 v3, s10, v3
	v_mul_lo_u32 v5, v3, s8
	v_sub_u32_e32 v1, v1, v5
	v_mul_lo_u32 v8, v1, s2
	s_cbranch_scc1 .LBB101_81
; %bb.80:
	s_load_dwordx4 s[8:11], s[4:5], 0x10
	s_load_dword s2, s[4:5], 0xc8
	s_waitcnt lgkmcnt(0)
	v_mul_hi_u32 v1, s9, v3
	v_add_u32_e32 v1, v3, v1
	v_lshrrev_b32_e32 v1, s10, v1
	v_mul_lo_u32 v1, v1, s8
	v_sub_u32_e32 v1, v3, v1
	v_mad_u64_u32 v[8:9], s[2:3], v1, s2, v[8:9]
.LBB101_81:
	s_and_b64 vcc, exec, s[0:1]
	v_add_u32_e32 v1, 0x280, v12
	s_cbranch_vccnz .LBB101_87
; %bb.82:
	s_mov_b32 s24, 0
	s_cmp_eq_u32 s33, 0
	v_mov_b32_e32 v10, 0
	s_cbranch_scc1 .LBB101_91
; %bb.83:
	s_min_u32 s25, s46, 15
	s_add_i32 s25, s25, 1
	s_cmp_eq_u32 s46, 2
	v_mov_b32_e32 v10, 0
	s_cbranch_scc1 .LBB101_88
; %bb.84:
	s_add_u32 s2, s4, 0xc4
	s_addc_u32 s3, s5, 0
	s_and_b32 s24, s25, 28
	s_mov_b32 s26, 0
	v_mov_b32_e32 v10, 0
	s_mov_b64 s[6:7], s[4:5]
	v_mov_b32_e32 v3, v1
.LBB101_85:                             ; =>This Inner Loop Header: Depth=1
	s_load_dwordx8 s[8:15], s[6:7], 0x4
	s_load_dwordx4 s[16:19], s[6:7], 0x24
	s_load_dwordx4 s[20:23], s[2:3], 0x0
	s_add_u32 s6, s6, 48
	s_addc_u32 s7, s7, 0
	s_waitcnt lgkmcnt(0)
	v_mul_hi_u32 v5, s9, v3
	v_add_u32_e32 v5, v3, v5
	v_lshrrev_b32_e32 v5, s10, v5
	v_mul_lo_u32 v7, v5, s8
	v_mul_hi_u32 v9, s12, v5
	v_sub_u32_e32 v3, v3, v7
	v_add_u32_e32 v7, v5, v9
	v_lshrrev_b32_e32 v7, s13, v7
	v_mul_lo_u32 v9, v7, s11
	v_mul_hi_u32 v11, s15, v7
	v_sub_u32_e32 v5, v5, v9
	v_add_u32_e32 v9, v7, v11
	v_mul_lo_u32 v3, v3, s20
	v_mul_lo_u32 v5, v5, s21
	v_lshrrev_b32_e32 v9, s16, v9
	v_add3_u32 v5, v3, v10, v5
	v_mul_lo_u32 v3, v9, s14
	v_mul_hi_u32 v10, s18, v9
	v_sub_u32_e32 v3, v7, v3
	v_add_u32_e32 v7, v9, v10
	v_mul_lo_u32 v10, v3, s22
	v_lshrrev_b32_e32 v3, s19, v7
	s_add_i32 s26, s26, 4
	v_mul_lo_u32 v7, v3, s17
	s_add_u32 s2, s2, 16
	v_sub_u32_e32 v7, v9, v7
	s_addc_u32 s3, s3, 0
	v_mul_lo_u32 v7, v7, s23
	s_cmp_lg_u32 s24, s26
	v_add3_u32 v10, v10, v5, v7
	s_cbranch_scc1 .LBB101_85
; %bb.86:
	s_and_b32 s8, s25, 3
	s_cmp_eq_u32 s8, 0
	s_cbranch_scc0 .LBB101_89
	s_branch .LBB101_91
.LBB101_87:
                                        ; implicit-def: $vgpr10
	s_branch .LBB101_92
.LBB101_88:
	v_mov_b32_e32 v3, v1
	s_and_b32 s8, s25, 3
	s_cmp_eq_u32 s8, 0
	s_cbranch_scc1 .LBB101_91
.LBB101_89:
	s_lshl_b32 s2, s24, 2
	s_add_u32 s2, s2, s4
	s_addc_u32 s3, 0, s5
	s_add_u32 s2, s2, 0xc4
	s_addc_u32 s3, s3, 0
	s_mul_i32 s6, s24, 12
	s_add_u32 s6, s4, s6
	s_addc_u32 s7, 0, s5
.LBB101_90:                             ; =>This Inner Loop Header: Depth=1
	s_load_dwordx2 s[10:11], s[6:7], 0x4
	s_load_dword s9, s[6:7], 0xc
	s_load_dword s12, s[2:3], 0x0
	s_add_u32 s6, s6, 12
	s_addc_u32 s7, s7, 0
	s_waitcnt lgkmcnt(0)
	v_mul_hi_u32 v5, s11, v3
	v_add_u32_e32 v5, v3, v5
	v_lshrrev_b32_e32 v5, s9, v5
	s_add_u32 s2, s2, 4
	v_mul_lo_u32 v7, v5, s10
	s_addc_u32 s3, s3, 0
	s_add_i32 s8, s8, -1
	v_sub_u32_e32 v7, v3, v7
	s_cmp_lg_u32 s8, 0
	v_mov_b32_e32 v3, v5
	v_mad_u64_u32 v[10:11], s[10:11], v7, s12, v[10:11]
	s_cbranch_scc1 .LBB101_90
.LBB101_91:
	s_cbranch_execnz .LBB101_94
.LBB101_92:
	s_load_dwordx4 s[8:11], s[4:5], 0x4
	s_load_dword s2, s[4:5], 0xc4
	s_cmp_lt_u32 s33, 2
	s_waitcnt lgkmcnt(0)
	v_mul_hi_u32 v3, s9, v1
	v_add_u32_e32 v3, v1, v3
	v_lshrrev_b32_e32 v3, s10, v3
	v_mul_lo_u32 v5, v3, s8
	v_sub_u32_e32 v1, v1, v5
	v_mul_lo_u32 v10, v1, s2
	s_cbranch_scc1 .LBB101_94
; %bb.93:
	s_load_dwordx4 s[8:11], s[4:5], 0x10
	s_load_dword s2, s[4:5], 0xc8
	s_waitcnt lgkmcnt(0)
	v_mul_hi_u32 v1, s9, v3
	v_add_u32_e32 v1, v3, v1
	v_lshrrev_b32_e32 v1, s10, v1
	v_mul_lo_u32 v1, v1, s8
	v_sub_u32_e32 v1, v3, v1
	v_mad_u64_u32 v[10:11], s[2:3], v1, s2, v[10:11]
.LBB101_94:
	s_and_b64 vcc, exec, s[0:1]
	v_add_u32_e32 v1, 0x300, v12
	s_cbranch_vccnz .LBB101_100
; %bb.95:
	s_mov_b32 s24, 0
	s_cmp_eq_u32 s33, 0
	v_mov_b32_e32 v12, 0
	s_cbranch_scc1 .LBB101_104
; %bb.96:
	s_min_u32 s25, s46, 15
	s_add_i32 s25, s25, 1
	s_cmp_eq_u32 s46, 2
	v_mov_b32_e32 v12, 0
	s_cbranch_scc1 .LBB101_101
; %bb.97:
	s_add_u32 s2, s4, 0xc4
	s_addc_u32 s3, s5, 0
	s_and_b32 s24, s25, 28
	s_mov_b32 s26, 0
	v_mov_b32_e32 v12, 0
	s_mov_b64 s[6:7], s[4:5]
	v_mov_b32_e32 v3, v1
.LBB101_98:                             ; =>This Inner Loop Header: Depth=1
	s_load_dwordx8 s[8:15], s[6:7], 0x4
	s_load_dwordx4 s[16:19], s[6:7], 0x24
	s_load_dwordx4 s[20:23], s[2:3], 0x0
	s_add_u32 s6, s6, 48
	s_addc_u32 s7, s7, 0
	s_waitcnt lgkmcnt(0)
	v_mul_hi_u32 v5, s9, v3
	v_add_u32_e32 v5, v3, v5
	v_lshrrev_b32_e32 v5, s10, v5
	v_mul_lo_u32 v7, v5, s8
	v_mul_hi_u32 v9, s12, v5
	v_sub_u32_e32 v3, v3, v7
	v_add_u32_e32 v7, v5, v9
	v_lshrrev_b32_e32 v7, s13, v7
	v_mul_lo_u32 v9, v7, s11
	v_mul_hi_u32 v11, s15, v7
	v_sub_u32_e32 v5, v5, v9
	v_add_u32_e32 v9, v7, v11
	v_mul_lo_u32 v3, v3, s20
	v_mul_lo_u32 v5, v5, s21
	v_lshrrev_b32_e32 v9, s16, v9
	v_add3_u32 v5, v3, v12, v5
	v_mul_lo_u32 v3, v9, s14
	v_mul_hi_u32 v11, s18, v9
	v_sub_u32_e32 v3, v7, v3
	v_add_u32_e32 v7, v9, v11
	v_mul_lo_u32 v11, v3, s22
	v_lshrrev_b32_e32 v3, s19, v7
	s_add_i32 s26, s26, 4
	v_mul_lo_u32 v7, v3, s17
	s_add_u32 s2, s2, 16
	v_sub_u32_e32 v7, v9, v7
	s_addc_u32 s3, s3, 0
	v_mul_lo_u32 v7, v7, s23
	s_cmp_lg_u32 s24, s26
	v_add3_u32 v12, v11, v5, v7
	s_cbranch_scc1 .LBB101_98
; %bb.99:
	s_and_b32 s8, s25, 3
	s_cmp_eq_u32 s8, 0
	s_cbranch_scc0 .LBB101_102
	s_branch .LBB101_104
.LBB101_100:
                                        ; implicit-def: $vgpr12
	s_branch .LBB101_105
.LBB101_101:
	v_mov_b32_e32 v3, v1
	s_and_b32 s8, s25, 3
	s_cmp_eq_u32 s8, 0
	s_cbranch_scc1 .LBB101_104
.LBB101_102:
	s_lshl_b32 s2, s24, 2
	s_add_u32 s2, s2, s4
	s_addc_u32 s3, 0, s5
	s_add_u32 s2, s2, 0xc4
	s_addc_u32 s3, s3, 0
	s_mul_i32 s6, s24, 12
	s_add_u32 s6, s4, s6
	s_addc_u32 s7, 0, s5
.LBB101_103:                            ; =>This Inner Loop Header: Depth=1
	s_load_dwordx2 s[10:11], s[6:7], 0x4
	s_load_dword s9, s[6:7], 0xc
	s_load_dword s12, s[2:3], 0x0
	s_add_u32 s6, s6, 12
	s_addc_u32 s7, s7, 0
	s_waitcnt lgkmcnt(0)
	v_mul_hi_u32 v5, s11, v3
	v_add_u32_e32 v5, v3, v5
	v_lshrrev_b32_e32 v5, s9, v5
	s_add_u32 s2, s2, 4
	v_mul_lo_u32 v7, v5, s10
	s_addc_u32 s3, s3, 0
	s_add_i32 s8, s8, -1
	v_sub_u32_e32 v7, v3, v7
	s_cmp_lg_u32 s8, 0
	v_mov_b32_e32 v3, v5
	v_mad_u64_u32 v[12:13], s[10:11], v7, s12, v[12:13]
	s_cbranch_scc1 .LBB101_103
.LBB101_104:
	s_cbranch_execnz .LBB101_107
.LBB101_105:
	s_load_dwordx4 s[8:11], s[4:5], 0x4
	s_load_dword s2, s[4:5], 0xc4
	s_cmp_lt_u32 s33, 2
	s_waitcnt lgkmcnt(0)
	v_mul_hi_u32 v3, s9, v1
	v_add_u32_e32 v3, v1, v3
	v_lshrrev_b32_e32 v3, s10, v3
	v_mul_lo_u32 v5, v3, s8
	v_sub_u32_e32 v1, v1, v5
	v_mul_lo_u32 v12, v1, s2
	s_cbranch_scc1 .LBB101_107
; %bb.106:
	s_load_dwordx4 s[8:11], s[4:5], 0x10
	s_load_dword s2, s[4:5], 0xc8
	s_waitcnt lgkmcnt(0)
	v_mul_hi_u32 v1, s9, v3
	v_add_u32_e32 v1, v3, v1
	v_lshrrev_b32_e32 v1, s10, v1
	v_mul_lo_u32 v1, v1, s8
	v_sub_u32_e32 v1, v3, v1
	v_mad_u64_u32 v[12:13], s[2:3], v1, s2, v[12:13]
.LBB101_107:
	s_and_b64 vcc, exec, s[0:1]
	s_cbranch_vccnz .LBB101_113
; %bb.108:
	s_mov_b32 s22, 0
	s_cmp_eq_u32 s33, 0
	v_mov_b32_e32 v14, 0
	s_cbranch_scc1 .LBB101_117
; %bb.109:
	s_min_u32 s23, s46, 15
	s_add_i32 s23, s23, 1
	s_cmp_eq_u32 s46, 2
	v_mov_b32_e32 v14, 0
	s_cbranch_scc1 .LBB101_114
; %bb.110:
	s_add_u32 s6, s4, 0xc4
	s_addc_u32 s7, s5, 0
	s_and_b32 s22, s23, 28
	s_mov_b32 s24, 0
	v_mov_b32_e32 v14, 0
	s_mov_b64 s[20:21], s[4:5]
	v_mov_b32_e32 v1, v16
.LBB101_111:                            ; =>This Inner Loop Header: Depth=1
	s_load_dwordx8 s[8:15], s[20:21], 0x4
	s_load_dwordx4 s[0:3], s[20:21], 0x24
	s_load_dwordx4 s[16:19], s[6:7], 0x0
	s_add_u32 s20, s20, 48
	s_addc_u32 s21, s21, 0
	s_waitcnt lgkmcnt(0)
	v_mul_hi_u32 v3, s9, v1
	v_add_u32_e32 v3, v1, v3
	v_lshrrev_b32_e32 v3, s10, v3
	v_mul_lo_u32 v5, v3, s8
	v_mul_hi_u32 v7, s12, v3
	v_sub_u32_e32 v1, v1, v5
	v_add_u32_e32 v5, v3, v7
	v_lshrrev_b32_e32 v5, s13, v5
	v_mul_lo_u32 v7, v5, s11
	v_mul_hi_u32 v9, s15, v5
	v_sub_u32_e32 v3, v3, v7
	v_add_u32_e32 v7, v5, v9
	v_mul_lo_u32 v1, v1, s16
	v_mul_lo_u32 v3, v3, s17
	v_lshrrev_b32_e32 v7, s0, v7
	v_add3_u32 v3, v1, v14, v3
	v_mul_lo_u32 v1, v7, s14
	v_mul_hi_u32 v9, s2, v7
	v_sub_u32_e32 v1, v5, v1
	v_add_u32_e32 v5, v7, v9
	v_mul_lo_u32 v9, v1, s18
	v_lshrrev_b32_e32 v1, s3, v5
	s_add_i32 s24, s24, 4
	v_mul_lo_u32 v5, v1, s1
	s_add_u32 s6, s6, 16
	v_sub_u32_e32 v5, v7, v5
	s_addc_u32 s7, s7, 0
	v_mul_lo_u32 v5, v5, s19
	s_cmp_lg_u32 s22, s24
	v_add3_u32 v14, v9, v3, v5
	s_cbranch_scc1 .LBB101_111
; %bb.112:
	s_and_b32 s6, s23, 3
	s_cmp_eq_u32 s6, 0
	s_cbranch_scc0 .LBB101_115
	s_branch .LBB101_117
.LBB101_113:
                                        ; implicit-def: $vgpr14
	s_branch .LBB101_118
.LBB101_114:
	v_mov_b32_e32 v1, v16
	s_and_b32 s6, s23, 3
	s_cmp_eq_u32 s6, 0
	s_cbranch_scc1 .LBB101_117
.LBB101_115:
	s_lshl_b32 s0, s22, 2
	s_add_u32 s0, s0, s4
	s_addc_u32 s1, 0, s5
	s_add_u32 s0, s0, 0xc4
	s_addc_u32 s1, s1, 0
	s_mul_i32 s2, s22, 12
	s_add_u32 s2, s4, s2
	s_addc_u32 s3, 0, s5
.LBB101_116:                            ; =>This Inner Loop Header: Depth=1
	s_load_dwordx2 s[8:9], s[2:3], 0x4
	s_load_dword s7, s[2:3], 0xc
	s_load_dword s10, s[0:1], 0x0
	s_add_u32 s2, s2, 12
	s_addc_u32 s3, s3, 0
	s_waitcnt lgkmcnt(0)
	v_mul_hi_u32 v3, s9, v1
	v_add_u32_e32 v3, v1, v3
	v_lshrrev_b32_e32 v3, s7, v3
	s_add_u32 s0, s0, 4
	v_mul_lo_u32 v5, v3, s8
	s_addc_u32 s1, s1, 0
	s_add_i32 s6, s6, -1
	v_sub_u32_e32 v5, v1, v5
	s_cmp_lg_u32 s6, 0
	v_mov_b32_e32 v1, v3
	v_mad_u64_u32 v[14:15], s[8:9], v5, s10, v[14:15]
	s_cbranch_scc1 .LBB101_116
.LBB101_117:
	s_cbranch_execnz .LBB101_120
.LBB101_118:
	s_load_dwordx4 s[0:3], s[4:5], 0x4
	s_waitcnt lgkmcnt(0)
	s_load_dword s3, s[4:5], 0xc4
	s_cmp_lt_u32 s33, 2
	v_mul_hi_u32 v1, s1, v16
	v_add_u32_e32 v1, v16, v1
	v_lshrrev_b32_e32 v1, s2, v1
	v_mul_lo_u32 v3, v1, s0
	v_sub_u32_e32 v3, v16, v3
	s_waitcnt lgkmcnt(0)
	v_mul_lo_u32 v14, v3, s3
	s_cbranch_scc1 .LBB101_120
; %bb.119:
	s_load_dwordx4 s[0:3], s[4:5], 0x10
	s_waitcnt lgkmcnt(0)
	s_load_dword s3, s[4:5], 0xc8
	v_mul_hi_u32 v3, s1, v1
	v_add_u32_e32 v3, v1, v3
	v_lshrrev_b32_e32 v3, s2, v3
	v_mul_lo_u32 v3, v3, s0
	v_sub_u32_e32 v1, v1, v3
	s_waitcnt lgkmcnt(0)
	v_mad_u64_u32 v[14:15], s[0:1], v1, s3, v[14:15]
.LBB101_120:
	s_load_dword s2, s[4:5], 0x110
	s_load_dwordx2 s[0:1], s[4:5], 0x108
	s_waitcnt lgkmcnt(0)
	v_mov_b32_e32 v1, s2
	s_nop 0
	global_store_short v0, v1, s[0:1]
	global_store_short v2, v1, s[0:1]
	global_store_short v4, v1, s[0:1]
	global_store_short v6, v1, s[0:1]
	global_store_short v8, v1, s[0:1]
	global_store_short v10, v1, s[0:1]
	global_store_short v12, v1, s[0:1]
	global_store_short v14, v1, s[0:1]
	s_endpgm
.LBB101_121:
	v_mov_b32_e32 v0, 0
	s_branch .LBB101_127
.LBB101_122:
	v_mov_b32_e32 v0, 0
	s_branch .LBB101_143
.LBB101_123:
	v_mov_b32_e32 v2, v12
.LBB101_124:
	s_and_b32 s12, s51, 3
	s_cmp_eq_u32 s12, 0
	s_cbranch_scc1 .LBB101_127
; %bb.125:
	s_lshl_b32 s8, s50, 2
	s_add_u32 s8, s8, s4
	s_addc_u32 s9, s5, 0
	s_add_u32 s8, s8, 0xc4
	s_addc_u32 s9, s9, 0
	s_mul_i32 s10, s50, 12
	s_add_u32 s10, s4, s10
	s_addc_u32 s11, s5, 0
.LBB101_126:                            ; =>This Inner Loop Header: Depth=1
	s_load_dwordx2 s[14:15], s[10:11], 0x4
	s_load_dword s13, s[10:11], 0xc
	s_load_dword s16, s[8:9], 0x0
	s_add_u32 s10, s10, 12
	s_addc_u32 s11, s11, 0
	s_waitcnt lgkmcnt(0)
	v_mul_hi_u32 v1, s15, v2
	v_add_u32_e32 v1, v2, v1
	v_lshrrev_b32_e32 v1, s13, v1
	s_add_u32 s8, s8, 4
	v_mul_lo_u32 v3, v1, s14
	s_addc_u32 s9, s9, 0
	s_add_i32 s12, s12, -1
	v_sub_u32_e32 v3, v2, v3
	s_cmp_lg_u32 s12, 0
	v_mov_b32_e32 v2, v1
	v_mad_u64_u32 v[0:1], s[14:15], v3, s16, v[0:1]
	s_cbranch_scc1 .LBB101_126
.LBB101_127:
	s_cbranch_execnz .LBB101_130
.LBB101_128:
	s_waitcnt lgkmcnt(0)
	v_mul_hi_u32 v0, s1, v12
	v_add_u32_e32 v0, v12, v0
	v_lshrrev_b32_e32 v1, s2, v0
	v_mul_lo_u32 v0, v1, s0
	v_sub_u32_e32 v0, v12, v0
	s_andn2_b64 vcc, exec, s[34:35]
	v_mul_lo_u32 v0, v0, s28
	s_cbranch_vccnz .LBB101_130
; %bb.129:
	v_mul_hi_u32 v2, s30, v1
	v_add_u32_e32 v2, v1, v2
	v_lshrrev_b32_e32 v2, s31, v2
	v_mul_lo_u32 v2, v2, s3
	v_sub_u32_e32 v1, v1, v2
	v_mad_u64_u32 v[0:1], s[8:9], v1, s29, v[0:1]
.LBB101_130:
	s_waitcnt lgkmcnt(0)
	v_mov_b32_e32 v1, s47
	v_add_u32_e32 v12, 0x80, v12
	global_store_short v0, v1, s[26:27]
	s_or_b64 exec, exec, s[40:41]
	v_cmp_gt_i32_e32 vcc, s48, v12
	s_and_saveexec_b64 s[40:41], vcc
	s_cbranch_execnz .LBB101_15
.LBB101_131:
	s_or_b64 exec, exec, s[40:41]
	v_cmp_gt_i32_e32 vcc, s48, v12
	s_and_saveexec_b64 s[40:41], vcc
	s_cbranch_execz .LBB101_147
.LBB101_132:
	s_andn2_b64 vcc, exec, s[6:7]
	s_cbranch_vccnz .LBB101_137
; %bb.133:
	s_andn2_b64 vcc, exec, s[38:39]
	s_cbranch_vccnz .LBB101_138
; %bb.134:
	s_add_i32 s51, s49, 1
	s_mov_b32 s50, 0
	s_cmp_eq_u32 s46, 2
	v_mov_b32_e32 v0, 0
	s_cbranch_scc1 .LBB101_155
; %bb.135:
	s_and_b32 s50, s51, 28
	s_mov_b32 s52, 0
	v_mov_b32_e32 v0, 0
	s_mov_b64 s[42:43], s[4:5]
	s_mov_b64 s[44:45], s[36:37]
	v_mov_b32_e32 v2, v12
.LBB101_136:                            ; =>This Inner Loop Header: Depth=1
	s_load_dwordx8 s[8:15], s[42:43], 0x4
	s_load_dwordx4 s[16:19], s[42:43], 0x24
	s_load_dwordx4 s[20:23], s[44:45], 0x0
	s_add_u32 s42, s42, 48
	s_addc_u32 s43, s43, 0
	s_waitcnt lgkmcnt(0)
	v_mul_hi_u32 v1, s9, v2
	v_add_u32_e32 v1, v2, v1
	v_lshrrev_b32_e32 v1, s10, v1
	v_mul_lo_u32 v3, v1, s8
	v_mul_hi_u32 v4, s12, v1
	v_sub_u32_e32 v2, v2, v3
	v_add_u32_e32 v3, v1, v4
	v_lshrrev_b32_e32 v3, s13, v3
	v_mul_lo_u32 v4, v3, s11
	v_mul_hi_u32 v5, s15, v3
	v_sub_u32_e32 v1, v1, v4
	v_add_u32_e32 v4, v3, v5
	v_mul_lo_u32 v2, v2, s20
	v_mul_lo_u32 v1, v1, s21
	v_lshrrev_b32_e32 v4, s16, v4
	v_add3_u32 v0, v2, v0, v1
	v_mul_hi_u32 v2, s18, v4
	v_add_u32_e32 v2, v4, v2
	v_mul_lo_u32 v1, v4, s14
	v_lshrrev_b32_e32 v2, s19, v2
	s_add_i32 s52, s52, 4
	v_sub_u32_e32 v1, v3, v1
	v_mul_lo_u32 v3, v2, s17
	s_add_u32 s44, s44, 16
	v_sub_u32_e32 v3, v4, v3
	s_addc_u32 s45, s45, 0
	v_mul_lo_u32 v1, v1, s22
	v_mul_lo_u32 v3, v3, s23
	s_cmp_eq_u32 s50, s52
	v_add3_u32 v0, v1, v0, v3
	s_cbranch_scc0 .LBB101_136
	s_branch .LBB101_156
.LBB101_137:
                                        ; implicit-def: $vgpr0
	s_branch .LBB101_160
.LBB101_138:
	v_mov_b32_e32 v0, 0
	s_branch .LBB101_159
.LBB101_139:
	v_mov_b32_e32 v2, v12
.LBB101_140:
	s_and_b32 s12, s51, 3
	s_cmp_eq_u32 s12, 0
	s_cbranch_scc1 .LBB101_143
; %bb.141:
	s_lshl_b32 s8, s50, 2
	s_add_u32 s8, s8, s4
	s_addc_u32 s9, s5, 0
	s_add_u32 s8, s8, 0xc4
	s_addc_u32 s9, s9, 0
	s_mul_i32 s10, s50, 12
	s_add_u32 s10, s4, s10
	s_addc_u32 s11, s5, 0
.LBB101_142:                            ; =>This Inner Loop Header: Depth=1
	s_load_dwordx2 s[14:15], s[10:11], 0x4
	s_load_dword s13, s[10:11], 0xc
	s_load_dword s16, s[8:9], 0x0
	s_add_u32 s10, s10, 12
	s_addc_u32 s11, s11, 0
	s_waitcnt lgkmcnt(0)
	v_mul_hi_u32 v1, s15, v2
	v_add_u32_e32 v1, v2, v1
	v_lshrrev_b32_e32 v1, s13, v1
	s_add_u32 s8, s8, 4
	v_mul_lo_u32 v3, v1, s14
	s_addc_u32 s9, s9, 0
	s_add_i32 s12, s12, -1
	v_sub_u32_e32 v3, v2, v3
	s_cmp_lg_u32 s12, 0
	v_mov_b32_e32 v2, v1
	v_mad_u64_u32 v[0:1], s[14:15], v3, s16, v[0:1]
	s_cbranch_scc1 .LBB101_142
.LBB101_143:
	s_cbranch_execnz .LBB101_146
.LBB101_144:
	s_waitcnt lgkmcnt(0)
	v_mul_hi_u32 v0, s1, v12
	v_add_u32_e32 v0, v12, v0
	v_lshrrev_b32_e32 v1, s2, v0
	v_mul_lo_u32 v0, v1, s0
	v_sub_u32_e32 v0, v12, v0
	s_andn2_b64 vcc, exec, s[34:35]
	v_mul_lo_u32 v0, v0, s28
	s_cbranch_vccnz .LBB101_146
; %bb.145:
	v_mul_hi_u32 v2, s30, v1
	v_add_u32_e32 v2, v1, v2
	v_lshrrev_b32_e32 v2, s31, v2
	v_mul_lo_u32 v2, v2, s3
	v_sub_u32_e32 v1, v1, v2
	v_mad_u64_u32 v[0:1], s[8:9], v1, s29, v[0:1]
.LBB101_146:
	s_waitcnt lgkmcnt(0)
	v_mov_b32_e32 v1, s47
	v_add_u32_e32 v12, 0x80, v12
	global_store_short v0, v1, s[26:27]
	s_or_b64 exec, exec, s[40:41]
	v_cmp_gt_i32_e32 vcc, s48, v12
	s_and_saveexec_b64 s[40:41], vcc
	s_cbranch_execnz .LBB101_132
.LBB101_147:
	s_or_b64 exec, exec, s[40:41]
	v_cmp_gt_i32_e32 vcc, s48, v12
	s_and_saveexec_b64 s[40:41], vcc
	s_cbranch_execz .LBB101_163
.LBB101_148:
	s_andn2_b64 vcc, exec, s[6:7]
	s_cbranch_vccnz .LBB101_153
; %bb.149:
	s_andn2_b64 vcc, exec, s[38:39]
	s_cbranch_vccnz .LBB101_154
; %bb.150:
	s_add_i32 s51, s49, 1
	s_mov_b32 s50, 0
	s_cmp_eq_u32 s46, 2
	v_mov_b32_e32 v0, 0
	s_cbranch_scc1 .LBB101_171
; %bb.151:
	s_and_b32 s50, s51, 28
	s_mov_b32 s52, 0
	v_mov_b32_e32 v0, 0
	s_mov_b64 s[42:43], s[4:5]
	s_mov_b64 s[44:45], s[36:37]
	v_mov_b32_e32 v2, v12
.LBB101_152:                            ; =>This Inner Loop Header: Depth=1
	s_load_dwordx8 s[8:15], s[42:43], 0x4
	s_load_dwordx4 s[16:19], s[42:43], 0x24
	s_load_dwordx4 s[20:23], s[44:45], 0x0
	s_add_u32 s42, s42, 48
	s_addc_u32 s43, s43, 0
	s_waitcnt lgkmcnt(0)
	v_mul_hi_u32 v1, s9, v2
	v_add_u32_e32 v1, v2, v1
	v_lshrrev_b32_e32 v1, s10, v1
	v_mul_lo_u32 v3, v1, s8
	v_mul_hi_u32 v4, s12, v1
	v_sub_u32_e32 v2, v2, v3
	v_add_u32_e32 v3, v1, v4
	v_lshrrev_b32_e32 v3, s13, v3
	v_mul_lo_u32 v4, v3, s11
	v_mul_hi_u32 v5, s15, v3
	v_sub_u32_e32 v1, v1, v4
	v_add_u32_e32 v4, v3, v5
	v_mul_lo_u32 v2, v2, s20
	v_mul_lo_u32 v1, v1, s21
	v_lshrrev_b32_e32 v4, s16, v4
	v_add3_u32 v0, v2, v0, v1
	v_mul_hi_u32 v2, s18, v4
	v_add_u32_e32 v2, v4, v2
	v_mul_lo_u32 v1, v4, s14
	v_lshrrev_b32_e32 v2, s19, v2
	s_add_i32 s52, s52, 4
	v_sub_u32_e32 v1, v3, v1
	v_mul_lo_u32 v3, v2, s17
	s_add_u32 s44, s44, 16
	v_sub_u32_e32 v3, v4, v3
	s_addc_u32 s45, s45, 0
	v_mul_lo_u32 v1, v1, s22
	v_mul_lo_u32 v3, v3, s23
	s_cmp_eq_u32 s50, s52
	v_add3_u32 v0, v1, v0, v3
	s_cbranch_scc0 .LBB101_152
	s_branch .LBB101_172
.LBB101_153:
                                        ; implicit-def: $vgpr0
	s_branch .LBB101_176
.LBB101_154:
	v_mov_b32_e32 v0, 0
	s_branch .LBB101_175
.LBB101_155:
	v_mov_b32_e32 v2, v12
.LBB101_156:
	s_and_b32 s12, s51, 3
	s_cmp_eq_u32 s12, 0
	s_cbranch_scc1 .LBB101_159
; %bb.157:
	s_lshl_b32 s8, s50, 2
	s_add_u32 s8, s8, s4
	s_addc_u32 s9, s5, 0
	s_add_u32 s8, s8, 0xc4
	s_addc_u32 s9, s9, 0
	s_mul_i32 s10, s50, 12
	s_add_u32 s10, s4, s10
	s_addc_u32 s11, s5, 0
.LBB101_158:                            ; =>This Inner Loop Header: Depth=1
	s_load_dwordx2 s[14:15], s[10:11], 0x4
	s_load_dword s13, s[10:11], 0xc
	s_load_dword s16, s[8:9], 0x0
	s_add_u32 s10, s10, 12
	s_addc_u32 s11, s11, 0
	s_waitcnt lgkmcnt(0)
	v_mul_hi_u32 v1, s15, v2
	v_add_u32_e32 v1, v2, v1
	v_lshrrev_b32_e32 v1, s13, v1
	s_add_u32 s8, s8, 4
	v_mul_lo_u32 v3, v1, s14
	s_addc_u32 s9, s9, 0
	s_add_i32 s12, s12, -1
	v_sub_u32_e32 v3, v2, v3
	s_cmp_lg_u32 s12, 0
	v_mov_b32_e32 v2, v1
	v_mad_u64_u32 v[0:1], s[14:15], v3, s16, v[0:1]
	s_cbranch_scc1 .LBB101_158
.LBB101_159:
	s_cbranch_execnz .LBB101_162
.LBB101_160:
	s_waitcnt lgkmcnt(0)
	v_mul_hi_u32 v0, s1, v12
	v_add_u32_e32 v0, v12, v0
	v_lshrrev_b32_e32 v1, s2, v0
	v_mul_lo_u32 v0, v1, s0
	v_sub_u32_e32 v0, v12, v0
	s_andn2_b64 vcc, exec, s[34:35]
	v_mul_lo_u32 v0, v0, s28
	s_cbranch_vccnz .LBB101_162
; %bb.161:
	v_mul_hi_u32 v2, s30, v1
	v_add_u32_e32 v2, v1, v2
	v_lshrrev_b32_e32 v2, s31, v2
	v_mul_lo_u32 v2, v2, s3
	v_sub_u32_e32 v1, v1, v2
	v_mad_u64_u32 v[0:1], s[8:9], v1, s29, v[0:1]
.LBB101_162:
	s_waitcnt lgkmcnt(0)
	v_mov_b32_e32 v1, s47
	v_add_u32_e32 v12, 0x80, v12
	global_store_short v0, v1, s[26:27]
	s_or_b64 exec, exec, s[40:41]
	v_cmp_gt_i32_e32 vcc, s48, v12
	s_and_saveexec_b64 s[40:41], vcc
	s_cbranch_execnz .LBB101_148
.LBB101_163:
	s_or_b64 exec, exec, s[40:41]
	v_cmp_gt_i32_e32 vcc, s48, v12
	s_and_saveexec_b64 s[40:41], vcc
	s_cbranch_execz .LBB101_179
.LBB101_164:
	s_andn2_b64 vcc, exec, s[6:7]
	s_cbranch_vccnz .LBB101_169
; %bb.165:
	s_andn2_b64 vcc, exec, s[38:39]
	s_cbranch_vccnz .LBB101_170
; %bb.166:
	s_add_i32 s51, s49, 1
	s_mov_b32 s50, 0
	s_cmp_eq_u32 s46, 2
	v_mov_b32_e32 v0, 0
	s_cbranch_scc1 .LBB101_187
; %bb.167:
	s_and_b32 s50, s51, 28
	s_mov_b32 s52, 0
	v_mov_b32_e32 v0, 0
	s_mov_b64 s[42:43], s[4:5]
	s_mov_b64 s[44:45], s[36:37]
	v_mov_b32_e32 v2, v12
.LBB101_168:                            ; =>This Inner Loop Header: Depth=1
	s_load_dwordx8 s[8:15], s[42:43], 0x4
	s_load_dwordx4 s[16:19], s[42:43], 0x24
	s_load_dwordx4 s[20:23], s[44:45], 0x0
	s_add_u32 s42, s42, 48
	s_addc_u32 s43, s43, 0
	s_waitcnt lgkmcnt(0)
	v_mul_hi_u32 v1, s9, v2
	v_add_u32_e32 v1, v2, v1
	v_lshrrev_b32_e32 v1, s10, v1
	v_mul_lo_u32 v3, v1, s8
	v_mul_hi_u32 v4, s12, v1
	v_sub_u32_e32 v2, v2, v3
	v_add_u32_e32 v3, v1, v4
	v_lshrrev_b32_e32 v3, s13, v3
	v_mul_lo_u32 v4, v3, s11
	v_mul_hi_u32 v5, s15, v3
	v_sub_u32_e32 v1, v1, v4
	v_add_u32_e32 v4, v3, v5
	v_mul_lo_u32 v2, v2, s20
	v_mul_lo_u32 v1, v1, s21
	v_lshrrev_b32_e32 v4, s16, v4
	v_add3_u32 v0, v2, v0, v1
	v_mul_hi_u32 v2, s18, v4
	v_add_u32_e32 v2, v4, v2
	v_mul_lo_u32 v1, v4, s14
	v_lshrrev_b32_e32 v2, s19, v2
	s_add_i32 s52, s52, 4
	v_sub_u32_e32 v1, v3, v1
	v_mul_lo_u32 v3, v2, s17
	s_add_u32 s44, s44, 16
	v_sub_u32_e32 v3, v4, v3
	s_addc_u32 s45, s45, 0
	v_mul_lo_u32 v1, v1, s22
	v_mul_lo_u32 v3, v3, s23
	s_cmp_eq_u32 s50, s52
	v_add3_u32 v0, v1, v0, v3
	s_cbranch_scc0 .LBB101_168
	s_branch .LBB101_188
.LBB101_169:
                                        ; implicit-def: $vgpr0
	s_branch .LBB101_192
.LBB101_170:
	v_mov_b32_e32 v0, 0
	s_branch .LBB101_191
.LBB101_171:
	v_mov_b32_e32 v2, v12
.LBB101_172:
	s_and_b32 s12, s51, 3
	s_cmp_eq_u32 s12, 0
	s_cbranch_scc1 .LBB101_175
; %bb.173:
	s_lshl_b32 s8, s50, 2
	s_add_u32 s8, s8, s4
	s_addc_u32 s9, s5, 0
	s_add_u32 s8, s8, 0xc4
	s_addc_u32 s9, s9, 0
	s_mul_i32 s10, s50, 12
	s_add_u32 s10, s4, s10
	s_addc_u32 s11, s5, 0
.LBB101_174:                            ; =>This Inner Loop Header: Depth=1
	s_load_dwordx2 s[14:15], s[10:11], 0x4
	s_load_dword s13, s[10:11], 0xc
	s_load_dword s16, s[8:9], 0x0
	s_add_u32 s10, s10, 12
	s_addc_u32 s11, s11, 0
	s_waitcnt lgkmcnt(0)
	v_mul_hi_u32 v1, s15, v2
	v_add_u32_e32 v1, v2, v1
	v_lshrrev_b32_e32 v1, s13, v1
	s_add_u32 s8, s8, 4
	v_mul_lo_u32 v3, v1, s14
	s_addc_u32 s9, s9, 0
	s_add_i32 s12, s12, -1
	v_sub_u32_e32 v3, v2, v3
	s_cmp_lg_u32 s12, 0
	v_mov_b32_e32 v2, v1
	v_mad_u64_u32 v[0:1], s[14:15], v3, s16, v[0:1]
	s_cbranch_scc1 .LBB101_174
.LBB101_175:
	s_cbranch_execnz .LBB101_178
.LBB101_176:
	s_waitcnt lgkmcnt(0)
	v_mul_hi_u32 v0, s1, v12
	v_add_u32_e32 v0, v12, v0
	v_lshrrev_b32_e32 v1, s2, v0
	v_mul_lo_u32 v0, v1, s0
	v_sub_u32_e32 v0, v12, v0
	s_andn2_b64 vcc, exec, s[34:35]
	v_mul_lo_u32 v0, v0, s28
	s_cbranch_vccnz .LBB101_178
; %bb.177:
	v_mul_hi_u32 v2, s30, v1
	v_add_u32_e32 v2, v1, v2
	v_lshrrev_b32_e32 v2, s31, v2
	v_mul_lo_u32 v2, v2, s3
	v_sub_u32_e32 v1, v1, v2
	v_mad_u64_u32 v[0:1], s[8:9], v1, s29, v[0:1]
.LBB101_178:
	s_waitcnt lgkmcnt(0)
	v_mov_b32_e32 v1, s47
	v_add_u32_e32 v12, 0x80, v12
	global_store_short v0, v1, s[26:27]
	s_or_b64 exec, exec, s[40:41]
	v_cmp_gt_i32_e32 vcc, s48, v12
	s_and_saveexec_b64 s[40:41], vcc
	s_cbranch_execnz .LBB101_164
.LBB101_179:
	s_or_b64 exec, exec, s[40:41]
	v_cmp_gt_i32_e32 vcc, s48, v12
	s_and_saveexec_b64 s[40:41], vcc
	s_cbranch_execz .LBB101_195
.LBB101_180:
	s_andn2_b64 vcc, exec, s[6:7]
	s_cbranch_vccnz .LBB101_185
; %bb.181:
	s_andn2_b64 vcc, exec, s[38:39]
	s_cbranch_vccnz .LBB101_186
; %bb.182:
	s_add_i32 s51, s49, 1
	s_mov_b32 s50, 0
	s_cmp_eq_u32 s46, 2
	v_mov_b32_e32 v0, 0
	s_cbranch_scc1 .LBB101_203
; %bb.183:
	s_and_b32 s50, s51, 28
	s_mov_b32 s52, 0
	v_mov_b32_e32 v0, 0
	s_mov_b64 s[42:43], s[4:5]
	s_mov_b64 s[44:45], s[36:37]
	v_mov_b32_e32 v2, v12
.LBB101_184:                            ; =>This Inner Loop Header: Depth=1
	s_load_dwordx8 s[8:15], s[42:43], 0x4
	s_load_dwordx4 s[16:19], s[42:43], 0x24
	s_load_dwordx4 s[20:23], s[44:45], 0x0
	s_add_u32 s42, s42, 48
	s_addc_u32 s43, s43, 0
	s_waitcnt lgkmcnt(0)
	v_mul_hi_u32 v1, s9, v2
	v_add_u32_e32 v1, v2, v1
	v_lshrrev_b32_e32 v1, s10, v1
	v_mul_lo_u32 v3, v1, s8
	v_mul_hi_u32 v4, s12, v1
	v_sub_u32_e32 v2, v2, v3
	v_add_u32_e32 v3, v1, v4
	v_lshrrev_b32_e32 v3, s13, v3
	v_mul_lo_u32 v4, v3, s11
	v_mul_hi_u32 v5, s15, v3
	v_sub_u32_e32 v1, v1, v4
	v_add_u32_e32 v4, v3, v5
	v_mul_lo_u32 v2, v2, s20
	v_mul_lo_u32 v1, v1, s21
	v_lshrrev_b32_e32 v4, s16, v4
	v_add3_u32 v0, v2, v0, v1
	v_mul_hi_u32 v2, s18, v4
	v_add_u32_e32 v2, v4, v2
	v_mul_lo_u32 v1, v4, s14
	v_lshrrev_b32_e32 v2, s19, v2
	s_add_i32 s52, s52, 4
	v_sub_u32_e32 v1, v3, v1
	v_mul_lo_u32 v3, v2, s17
	s_add_u32 s44, s44, 16
	v_sub_u32_e32 v3, v4, v3
	s_addc_u32 s45, s45, 0
	v_mul_lo_u32 v1, v1, s22
	v_mul_lo_u32 v3, v3, s23
	s_cmp_eq_u32 s50, s52
	v_add3_u32 v0, v1, v0, v3
	s_cbranch_scc0 .LBB101_184
	s_branch .LBB101_204
.LBB101_185:
                                        ; implicit-def: $vgpr0
	s_branch .LBB101_208
.LBB101_186:
	v_mov_b32_e32 v0, 0
	s_branch .LBB101_207
.LBB101_187:
	v_mov_b32_e32 v2, v12
.LBB101_188:
	s_and_b32 s12, s51, 3
	s_cmp_eq_u32 s12, 0
	s_cbranch_scc1 .LBB101_191
; %bb.189:
	s_lshl_b32 s8, s50, 2
	s_add_u32 s8, s8, s4
	s_addc_u32 s9, s5, 0
	s_add_u32 s8, s8, 0xc4
	s_addc_u32 s9, s9, 0
	s_mul_i32 s10, s50, 12
	s_add_u32 s10, s4, s10
	s_addc_u32 s11, s5, 0
.LBB101_190:                            ; =>This Inner Loop Header: Depth=1
	s_load_dwordx2 s[14:15], s[10:11], 0x4
	s_load_dword s13, s[10:11], 0xc
	s_load_dword s16, s[8:9], 0x0
	s_add_u32 s10, s10, 12
	s_addc_u32 s11, s11, 0
	s_waitcnt lgkmcnt(0)
	v_mul_hi_u32 v1, s15, v2
	v_add_u32_e32 v1, v2, v1
	v_lshrrev_b32_e32 v1, s13, v1
	s_add_u32 s8, s8, 4
	v_mul_lo_u32 v3, v1, s14
	s_addc_u32 s9, s9, 0
	s_add_i32 s12, s12, -1
	v_sub_u32_e32 v3, v2, v3
	s_cmp_lg_u32 s12, 0
	v_mov_b32_e32 v2, v1
	v_mad_u64_u32 v[0:1], s[14:15], v3, s16, v[0:1]
	s_cbranch_scc1 .LBB101_190
.LBB101_191:
	s_cbranch_execnz .LBB101_194
.LBB101_192:
	s_waitcnt lgkmcnt(0)
	v_mul_hi_u32 v0, s1, v12
	v_add_u32_e32 v0, v12, v0
	v_lshrrev_b32_e32 v1, s2, v0
	v_mul_lo_u32 v0, v1, s0
	v_sub_u32_e32 v0, v12, v0
	s_andn2_b64 vcc, exec, s[34:35]
	v_mul_lo_u32 v0, v0, s28
	s_cbranch_vccnz .LBB101_194
; %bb.193:
	v_mul_hi_u32 v2, s30, v1
	v_add_u32_e32 v2, v1, v2
	v_lshrrev_b32_e32 v2, s31, v2
	v_mul_lo_u32 v2, v2, s3
	v_sub_u32_e32 v1, v1, v2
	v_mad_u64_u32 v[0:1], s[8:9], v1, s29, v[0:1]
.LBB101_194:
	s_waitcnt lgkmcnt(0)
	v_mov_b32_e32 v1, s47
	v_add_u32_e32 v12, 0x80, v12
	global_store_short v0, v1, s[26:27]
	s_or_b64 exec, exec, s[40:41]
	v_cmp_gt_i32_e32 vcc, s48, v12
	s_and_saveexec_b64 s[40:41], vcc
	s_cbranch_execnz .LBB101_180
.LBB101_195:
	s_or_b64 exec, exec, s[40:41]
	v_cmp_gt_i32_e32 vcc, s48, v12
	s_and_saveexec_b64 s[40:41], vcc
	s_cbranch_execz .LBB101_211
.LBB101_196:
	s_andn2_b64 vcc, exec, s[6:7]
	s_cbranch_vccnz .LBB101_201
; %bb.197:
	s_andn2_b64 vcc, exec, s[38:39]
	s_cbranch_vccnz .LBB101_202
; %bb.198:
	s_add_i32 s51, s49, 1
	s_mov_b32 s50, 0
	s_cmp_eq_u32 s46, 2
	v_mov_b32_e32 v0, 0
	s_cbranch_scc1 .LBB101_214
; %bb.199:
	s_and_b32 s50, s51, 28
	s_mov_b32 s52, 0
	v_mov_b32_e32 v0, 0
	s_mov_b64 s[42:43], s[4:5]
	s_mov_b64 s[44:45], s[36:37]
	v_mov_b32_e32 v2, v12
.LBB101_200:                            ; =>This Inner Loop Header: Depth=1
	s_load_dwordx8 s[8:15], s[42:43], 0x4
	s_load_dwordx4 s[16:19], s[42:43], 0x24
	s_load_dwordx4 s[20:23], s[44:45], 0x0
	s_add_u32 s42, s42, 48
	s_addc_u32 s43, s43, 0
	s_waitcnt lgkmcnt(0)
	v_mul_hi_u32 v1, s9, v2
	v_add_u32_e32 v1, v2, v1
	v_lshrrev_b32_e32 v1, s10, v1
	v_mul_lo_u32 v3, v1, s8
	v_mul_hi_u32 v4, s12, v1
	v_sub_u32_e32 v2, v2, v3
	v_add_u32_e32 v3, v1, v4
	v_lshrrev_b32_e32 v3, s13, v3
	v_mul_lo_u32 v4, v3, s11
	v_mul_hi_u32 v5, s15, v3
	v_sub_u32_e32 v1, v1, v4
	v_add_u32_e32 v4, v3, v5
	v_mul_lo_u32 v2, v2, s20
	v_mul_lo_u32 v1, v1, s21
	v_lshrrev_b32_e32 v4, s16, v4
	v_add3_u32 v0, v2, v0, v1
	v_mul_hi_u32 v2, s18, v4
	v_add_u32_e32 v2, v4, v2
	v_mul_lo_u32 v1, v4, s14
	v_lshrrev_b32_e32 v2, s19, v2
	s_add_i32 s52, s52, 4
	v_sub_u32_e32 v1, v3, v1
	v_mul_lo_u32 v3, v2, s17
	s_add_u32 s44, s44, 16
	v_sub_u32_e32 v3, v4, v3
	s_addc_u32 s45, s45, 0
	v_mul_lo_u32 v1, v1, s22
	v_mul_lo_u32 v3, v3, s23
	s_cmp_eq_u32 s50, s52
	v_add3_u32 v0, v1, v0, v3
	s_cbranch_scc0 .LBB101_200
	s_branch .LBB101_215
.LBB101_201:
                                        ; implicit-def: $vgpr0
	s_branch .LBB101_219
.LBB101_202:
	v_mov_b32_e32 v0, 0
	s_branch .LBB101_218
.LBB101_203:
	v_mov_b32_e32 v2, v12
.LBB101_204:
	s_and_b32 s12, s51, 3
	s_cmp_eq_u32 s12, 0
	s_cbranch_scc1 .LBB101_207
; %bb.205:
	s_lshl_b32 s8, s50, 2
	s_add_u32 s8, s8, s4
	s_addc_u32 s9, s5, 0
	s_add_u32 s8, s8, 0xc4
	s_addc_u32 s9, s9, 0
	s_mul_i32 s10, s50, 12
	s_add_u32 s10, s4, s10
	s_addc_u32 s11, s5, 0
.LBB101_206:                            ; =>This Inner Loop Header: Depth=1
	s_load_dwordx2 s[14:15], s[10:11], 0x4
	s_load_dword s13, s[10:11], 0xc
	s_load_dword s16, s[8:9], 0x0
	s_add_u32 s10, s10, 12
	s_addc_u32 s11, s11, 0
	s_waitcnt lgkmcnt(0)
	v_mul_hi_u32 v1, s15, v2
	v_add_u32_e32 v1, v2, v1
	v_lshrrev_b32_e32 v1, s13, v1
	s_add_u32 s8, s8, 4
	v_mul_lo_u32 v3, v1, s14
	s_addc_u32 s9, s9, 0
	s_add_i32 s12, s12, -1
	v_sub_u32_e32 v3, v2, v3
	s_cmp_lg_u32 s12, 0
	v_mov_b32_e32 v2, v1
	v_mad_u64_u32 v[0:1], s[14:15], v3, s16, v[0:1]
	s_cbranch_scc1 .LBB101_206
.LBB101_207:
	s_cbranch_execnz .LBB101_210
.LBB101_208:
	s_waitcnt lgkmcnt(0)
	v_mul_hi_u32 v0, s1, v12
	v_add_u32_e32 v0, v12, v0
	v_lshrrev_b32_e32 v1, s2, v0
	v_mul_lo_u32 v0, v1, s0
	v_sub_u32_e32 v0, v12, v0
	s_andn2_b64 vcc, exec, s[34:35]
	v_mul_lo_u32 v0, v0, s28
	s_cbranch_vccnz .LBB101_210
; %bb.209:
	v_mul_hi_u32 v2, s30, v1
	v_add_u32_e32 v2, v1, v2
	v_lshrrev_b32_e32 v2, s31, v2
	v_mul_lo_u32 v2, v2, s3
	v_sub_u32_e32 v1, v1, v2
	v_mad_u64_u32 v[0:1], s[8:9], v1, s29, v[0:1]
.LBB101_210:
	s_waitcnt lgkmcnt(0)
	v_mov_b32_e32 v1, s47
	v_add_u32_e32 v12, 0x80, v12
	global_store_short v0, v1, s[26:27]
	s_or_b64 exec, exec, s[40:41]
	v_cmp_gt_i32_e32 vcc, s48, v12
	s_and_saveexec_b64 s[40:41], vcc
	s_cbranch_execnz .LBB101_196
.LBB101_211:
	s_or_b64 exec, exec, s[40:41]
	v_cmp_gt_i32_e32 vcc, s48, v12
	s_and_saveexec_b64 s[40:41], vcc
	s_cbranch_execnz .LBB101_222
.LBB101_212:
	s_or_b64 exec, exec, s[40:41]
                                        ; implicit-def: $vgpr16
                                        ; implicit-def: $vgpr12
	s_waitcnt lgkmcnt(0)
	s_andn2_saveexec_b64 s[0:1], s[24:25]
	s_cbranch_execnz .LBB101_8
.LBB101_213:
	s_endpgm
.LBB101_214:
	v_mov_b32_e32 v2, v12
.LBB101_215:
	s_and_b32 s12, s51, 3
	s_cmp_eq_u32 s12, 0
	s_cbranch_scc1 .LBB101_218
; %bb.216:
	s_lshl_b32 s8, s50, 2
	s_add_u32 s8, s8, s4
	s_addc_u32 s9, s5, 0
	s_add_u32 s8, s8, 0xc4
	s_addc_u32 s9, s9, 0
	s_mul_i32 s10, s50, 12
	s_add_u32 s10, s4, s10
	s_addc_u32 s11, s5, 0
.LBB101_217:                            ; =>This Inner Loop Header: Depth=1
	s_load_dwordx2 s[14:15], s[10:11], 0x4
	s_load_dword s13, s[10:11], 0xc
	s_load_dword s16, s[8:9], 0x0
	s_add_u32 s10, s10, 12
	s_addc_u32 s11, s11, 0
	s_waitcnt lgkmcnt(0)
	v_mul_hi_u32 v1, s15, v2
	v_add_u32_e32 v1, v2, v1
	v_lshrrev_b32_e32 v1, s13, v1
	s_add_u32 s8, s8, 4
	v_mul_lo_u32 v3, v1, s14
	s_addc_u32 s9, s9, 0
	s_add_i32 s12, s12, -1
	v_sub_u32_e32 v3, v2, v3
	s_cmp_lg_u32 s12, 0
	v_mov_b32_e32 v2, v1
	v_mad_u64_u32 v[0:1], s[14:15], v3, s16, v[0:1]
	s_cbranch_scc1 .LBB101_217
.LBB101_218:
	s_cbranch_execnz .LBB101_221
.LBB101_219:
	s_waitcnt lgkmcnt(0)
	v_mul_hi_u32 v0, s1, v12
	v_add_u32_e32 v0, v12, v0
	v_lshrrev_b32_e32 v1, s2, v0
	v_mul_lo_u32 v0, v1, s0
	v_sub_u32_e32 v0, v12, v0
	s_andn2_b64 vcc, exec, s[34:35]
	v_mul_lo_u32 v0, v0, s28
	s_cbranch_vccnz .LBB101_221
; %bb.220:
	v_mul_hi_u32 v2, s30, v1
	v_add_u32_e32 v2, v1, v2
	v_lshrrev_b32_e32 v2, s31, v2
	v_mul_lo_u32 v2, v2, s3
	v_sub_u32_e32 v1, v1, v2
	v_mad_u64_u32 v[0:1], s[8:9], v1, s29, v[0:1]
.LBB101_221:
	s_waitcnt lgkmcnt(0)
	v_mov_b32_e32 v1, s47
	v_add_u32_e32 v12, 0x80, v12
	global_store_short v0, v1, s[26:27]
	s_or_b64 exec, exec, s[40:41]
	v_cmp_gt_i32_e32 vcc, s48, v12
	s_and_saveexec_b64 s[40:41], vcc
	s_cbranch_execz .LBB101_212
.LBB101_222:
	s_andn2_b64 vcc, exec, s[6:7]
	s_cbranch_vccnz .LBB101_227
; %bb.223:
	s_andn2_b64 vcc, exec, s[38:39]
	s_cbranch_vccnz .LBB101_228
; %bb.224:
	s_add_i32 s49, s49, 1
	s_mov_b32 s42, 0
	s_cmp_eq_u32 s46, 2
	v_mov_b32_e32 v0, 0
	s_cbranch_scc1 .LBB101_229
; %bb.225:
	s_and_b32 s42, s49, 28
	s_mov_b32 s43, 0
	v_mov_b32_e32 v0, 0
	s_mov_b64 s[38:39], s[4:5]
	v_mov_b32_e32 v2, v12
.LBB101_226:                            ; =>This Inner Loop Header: Depth=1
	s_load_dwordx8 s[8:15], s[38:39], 0x4
	s_load_dwordx4 s[16:19], s[38:39], 0x24
	s_load_dwordx4 s[20:23], s[36:37], 0x0
	s_add_u32 s38, s38, 48
	s_addc_u32 s39, s39, 0
	s_waitcnt lgkmcnt(0)
	v_mul_hi_u32 v1, s9, v2
	v_add_u32_e32 v1, v2, v1
	v_lshrrev_b32_e32 v1, s10, v1
	v_mul_lo_u32 v3, v1, s8
	v_mul_hi_u32 v4, s12, v1
	v_sub_u32_e32 v2, v2, v3
	v_add_u32_e32 v3, v1, v4
	v_lshrrev_b32_e32 v3, s13, v3
	v_mul_lo_u32 v4, v3, s11
	v_mul_hi_u32 v5, s15, v3
	v_sub_u32_e32 v1, v1, v4
	v_add_u32_e32 v4, v3, v5
	v_mul_lo_u32 v2, v2, s20
	v_mul_lo_u32 v1, v1, s21
	v_lshrrev_b32_e32 v4, s16, v4
	v_add3_u32 v0, v2, v0, v1
	v_mul_hi_u32 v2, s18, v4
	v_add_u32_e32 v2, v4, v2
	v_mul_lo_u32 v1, v4, s14
	v_lshrrev_b32_e32 v2, s19, v2
	s_add_i32 s43, s43, 4
	v_sub_u32_e32 v1, v3, v1
	v_mul_lo_u32 v3, v2, s17
	s_add_u32 s36, s36, 16
	v_sub_u32_e32 v3, v4, v3
	s_addc_u32 s37, s37, 0
	v_mul_lo_u32 v1, v1, s22
	v_mul_lo_u32 v3, v3, s23
	s_cmp_eq_u32 s42, s43
	v_add3_u32 v0, v1, v0, v3
	s_cbranch_scc0 .LBB101_226
	s_branch .LBB101_230
.LBB101_227:
                                        ; implicit-def: $vgpr0
	s_branch .LBB101_234
.LBB101_228:
	v_mov_b32_e32 v0, 0
	s_branch .LBB101_233
.LBB101_229:
	v_mov_b32_e32 v2, v12
.LBB101_230:
	s_and_b32 s12, s49, 3
	s_cmp_eq_u32 s12, 0
	s_cbranch_scc1 .LBB101_233
; %bb.231:
	s_lshl_b32 s8, s42, 2
	s_add_u32 s8, s8, s4
	s_addc_u32 s9, s5, 0
	s_add_u32 s8, s8, 0xc4
	s_addc_u32 s9, s9, 0
	s_mul_i32 s10, s42, 12
	s_add_u32 s10, s4, s10
	s_addc_u32 s11, s5, 0
.LBB101_232:                            ; =>This Inner Loop Header: Depth=1
	s_load_dwordx2 s[14:15], s[10:11], 0x4
	s_load_dword s13, s[10:11], 0xc
	s_load_dword s16, s[8:9], 0x0
	s_add_u32 s10, s10, 12
	s_addc_u32 s11, s11, 0
	s_waitcnt lgkmcnt(0)
	v_mul_hi_u32 v1, s15, v2
	v_add_u32_e32 v1, v2, v1
	v_lshrrev_b32_e32 v1, s13, v1
	s_add_u32 s8, s8, 4
	v_mul_lo_u32 v3, v1, s14
	s_addc_u32 s9, s9, 0
	s_add_i32 s12, s12, -1
	v_sub_u32_e32 v3, v2, v3
	s_cmp_lg_u32 s12, 0
	v_mov_b32_e32 v2, v1
	v_mad_u64_u32 v[0:1], s[14:15], v3, s16, v[0:1]
	s_cbranch_scc1 .LBB101_232
.LBB101_233:
	s_cbranch_execnz .LBB101_236
.LBB101_234:
	s_waitcnt lgkmcnt(0)
	v_mul_hi_u32 v0, s1, v12
	v_add_u32_e32 v0, v12, v0
	v_lshrrev_b32_e32 v1, s2, v0
	v_mul_lo_u32 v0, v1, s0
	v_sub_u32_e32 v0, v12, v0
	s_andn2_b64 vcc, exec, s[34:35]
	v_mul_lo_u32 v0, v0, s28
	s_cbranch_vccnz .LBB101_236
; %bb.235:
	v_mul_hi_u32 v2, s30, v1
	v_add_u32_e32 v2, v1, v2
	v_lshrrev_b32_e32 v2, s31, v2
	v_mul_lo_u32 v2, v2, s3
	v_sub_u32_e32 v1, v1, v2
	v_mad_u64_u32 v[0:1], s[0:1], v1, s29, v[0:1]
.LBB101_236:
	s_waitcnt lgkmcnt(0)
	v_mov_b32_e32 v1, s47
	global_store_short v0, v1, s[26:27]
	s_or_b64 exec, exec, s[40:41]
                                        ; implicit-def: $vgpr16
                                        ; implicit-def: $vgpr12
	s_andn2_saveexec_b64 s[0:1], s[24:25]
	s_cbranch_execz .LBB101_213
	s_branch .LBB101_8
	.section	.rodata,"a",@progbits
	.p2align	6, 0x0
	.amdhsa_kernel _ZN2at6native32elementwise_kernel_manual_unrollILi128ELi8EZNS0_22gpu_kernel_impl_nocastINS0_11FillFunctorIN3c104HalfEEEEEvRNS_18TensorIteratorBaseERKT_EUlibE_EEviT1_
		.amdhsa_group_segment_fixed_size 0
		.amdhsa_private_segment_fixed_size 0
		.amdhsa_kernarg_size 288
		.amdhsa_user_sgpr_count 6
		.amdhsa_user_sgpr_private_segment_buffer 1
		.amdhsa_user_sgpr_dispatch_ptr 0
		.amdhsa_user_sgpr_queue_ptr 0
		.amdhsa_user_sgpr_kernarg_segment_ptr 1
		.amdhsa_user_sgpr_dispatch_id 0
		.amdhsa_user_sgpr_flat_scratch_init 0
		.amdhsa_user_sgpr_kernarg_preload_length 0
		.amdhsa_user_sgpr_kernarg_preload_offset 0
		.amdhsa_user_sgpr_private_segment_size 0
		.amdhsa_uses_dynamic_stack 0
		.amdhsa_system_sgpr_private_segment_wavefront_offset 0
		.amdhsa_system_sgpr_workgroup_id_x 1
		.amdhsa_system_sgpr_workgroup_id_y 0
		.amdhsa_system_sgpr_workgroup_id_z 0
		.amdhsa_system_sgpr_workgroup_info 0
		.amdhsa_system_vgpr_workitem_id 0
		.amdhsa_next_free_vgpr 17
		.amdhsa_next_free_sgpr 53
		.amdhsa_accum_offset 20
		.amdhsa_reserve_vcc 1
		.amdhsa_reserve_flat_scratch 0
		.amdhsa_float_round_mode_32 0
		.amdhsa_float_round_mode_16_64 0
		.amdhsa_float_denorm_mode_32 3
		.amdhsa_float_denorm_mode_16_64 3
		.amdhsa_dx10_clamp 1
		.amdhsa_ieee_mode 1
		.amdhsa_fp16_overflow 0
		.amdhsa_tg_split 0
		.amdhsa_exception_fp_ieee_invalid_op 0
		.amdhsa_exception_fp_denorm_src 0
		.amdhsa_exception_fp_ieee_div_zero 0
		.amdhsa_exception_fp_ieee_overflow 0
		.amdhsa_exception_fp_ieee_underflow 0
		.amdhsa_exception_fp_ieee_inexact 0
		.amdhsa_exception_int_div_zero 0
	.end_amdhsa_kernel
	.section	.text._ZN2at6native32elementwise_kernel_manual_unrollILi128ELi8EZNS0_22gpu_kernel_impl_nocastINS0_11FillFunctorIN3c104HalfEEEEEvRNS_18TensorIteratorBaseERKT_EUlibE_EEviT1_,"axG",@progbits,_ZN2at6native32elementwise_kernel_manual_unrollILi128ELi8EZNS0_22gpu_kernel_impl_nocastINS0_11FillFunctorIN3c104HalfEEEEEvRNS_18TensorIteratorBaseERKT_EUlibE_EEviT1_,comdat
.Lfunc_end101:
	.size	_ZN2at6native32elementwise_kernel_manual_unrollILi128ELi8EZNS0_22gpu_kernel_impl_nocastINS0_11FillFunctorIN3c104HalfEEEEEvRNS_18TensorIteratorBaseERKT_EUlibE_EEviT1_, .Lfunc_end101-_ZN2at6native32elementwise_kernel_manual_unrollILi128ELi8EZNS0_22gpu_kernel_impl_nocastINS0_11FillFunctorIN3c104HalfEEEEEvRNS_18TensorIteratorBaseERKT_EUlibE_EEviT1_
                                        ; -- End function
	.section	.AMDGPU.csdata,"",@progbits
; Kernel info:
; codeLenInByte = 9664
; NumSgprs: 57
; NumVgprs: 17
; NumAgprs: 0
; TotalNumVgprs: 17
; ScratchSize: 0
; MemoryBound: 0
; FloatMode: 240
; IeeeMode: 1
; LDSByteSize: 0 bytes/workgroup (compile time only)
; SGPRBlocks: 7
; VGPRBlocks: 2
; NumSGPRsForWavesPerEU: 57
; NumVGPRsForWavesPerEU: 17
; AccumOffset: 20
; Occupancy: 8
; WaveLimiterHint : 1
; COMPUTE_PGM_RSRC2:SCRATCH_EN: 0
; COMPUTE_PGM_RSRC2:USER_SGPR: 6
; COMPUTE_PGM_RSRC2:TRAP_HANDLER: 0
; COMPUTE_PGM_RSRC2:TGID_X_EN: 1
; COMPUTE_PGM_RSRC2:TGID_Y_EN: 0
; COMPUTE_PGM_RSRC2:TGID_Z_EN: 0
; COMPUTE_PGM_RSRC2:TIDIG_COMP_CNT: 0
; COMPUTE_PGM_RSRC3_GFX90A:ACCUM_OFFSET: 4
; COMPUTE_PGM_RSRC3_GFX90A:TG_SPLIT: 0
	.section	.text._ZN2at6native32elementwise_kernel_manual_unrollILi128ELi4EZNS0_15gpu_kernel_implINS0_11FillFunctorIN3c104HalfEEEEEvRNS_18TensorIteratorBaseERKT_EUlibE_EEviT1_,"axG",@progbits,_ZN2at6native32elementwise_kernel_manual_unrollILi128ELi4EZNS0_15gpu_kernel_implINS0_11FillFunctorIN3c104HalfEEEEEvRNS_18TensorIteratorBaseERKT_EUlibE_EEviT1_,comdat
	.protected	_ZN2at6native32elementwise_kernel_manual_unrollILi128ELi4EZNS0_15gpu_kernel_implINS0_11FillFunctorIN3c104HalfEEEEEvRNS_18TensorIteratorBaseERKT_EUlibE_EEviT1_ ; -- Begin function _ZN2at6native32elementwise_kernel_manual_unrollILi128ELi4EZNS0_15gpu_kernel_implINS0_11FillFunctorIN3c104HalfEEEEEvRNS_18TensorIteratorBaseERKT_EUlibE_EEviT1_
	.globl	_ZN2at6native32elementwise_kernel_manual_unrollILi128ELi4EZNS0_15gpu_kernel_implINS0_11FillFunctorIN3c104HalfEEEEEvRNS_18TensorIteratorBaseERKT_EUlibE_EEviT1_
	.p2align	8
	.type	_ZN2at6native32elementwise_kernel_manual_unrollILi128ELi4EZNS0_15gpu_kernel_implINS0_11FillFunctorIN3c104HalfEEEEEvRNS_18TensorIteratorBaseERKT_EUlibE_EEviT1_,@function
_ZN2at6native32elementwise_kernel_manual_unrollILi128ELi4EZNS0_15gpu_kernel_implINS0_11FillFunctorIN3c104HalfEEEEEvRNS_18TensorIteratorBaseERKT_EUlibE_EEviT1_: ; @_ZN2at6native32elementwise_kernel_manual_unrollILi128ELi4EZNS0_15gpu_kernel_implINS0_11FillFunctorIN3c104HalfEEEEEvRNS_18TensorIteratorBaseERKT_EUlibE_EEviT1_
; %bb.0:
	s_load_dwordx4 s[8:11], s[4:5], 0x8
	s_load_dword s48, s[4:5], 0x0
	v_lshl_or_b32 v20, s6, 9, v0
	v_or_b32_e32 v0, 0x180, v20
	s_mov_b64 s[6:7], 0
	s_waitcnt lgkmcnt(0)
	s_lshr_b32 s33, s11, 16
	v_cmp_le_i32_e32 vcc, s48, v0
	s_mov_b64 s[0:1], 0
	s_and_saveexec_b64 s[2:3], vcc
	s_xor_b64 s[12:13], exec, s[2:3]
	s_cbranch_execz .LBB102_404
; %bb.1:
	v_cvt_f32_f16_e32 v6, s11
	s_movk_i32 s0, 0xff
	s_and_b32 s52, 0xffff, s11
	v_mov_b32_e32 v9, 0
	v_and_b32_e32 v2, 0x400000, v6
	v_bfe_u32 v1, v6, 23, 8
	v_cmp_ne_u32_e32 vcc, 0, v2
	v_and_b32_e32 v2, 0x3fffff, v6
	v_cmp_eq_u32_e64 s[4:5], s0, v1
	v_or_b32_e32 v1, v1, v2
	v_cmp_ne_u32_e64 s[0:1], 0, v1
	v_readfirstlane_b32 s16, v6
	s_and_b64 s[0:1], vcc, s[0:1]
	s_and_b32 s30, s16, 0x7fffffff
	s_cmp_lt_u32 s30, 0x43800000
	s_cselect_b64 s[26:27], -1, 0
	s_cmp_gt_u32 s30, 0x3bffffff
	v_cndmask_b32_e64 v1, 0, 1, s[0:1]
	s_cselect_b64 s[2:3], -1, 0
	s_bfe_u32 s0, s16, 0x10014
	s_add_i32 s17, s16, s0
	s_add_i32 s0, s17, 0x487ffff
	s_lshr_b32 s60, s0, 20
	s_mov_b32 s0, 0x46000000
	v_add_f32_e64 v17, |v6|, s0
	v_readfirstlane_b32 s0, v17
	s_and_b32 s0, s0, 0xff
	s_cmp_lg_u32 s0, 0
	s_cselect_b64 s[28:29], -1, 0
	s_cmp_gt_u32 s30, 0x477fffff
	s_cselect_b64 s[14:15], -1, 0
	s_cmp_lt_u32 s30, 0x47800000
	s_movk_i32 s0, 0x80
	s_cselect_b64 s[22:23], -1, 0
	s_cmp_gt_u32 s30, 0x37ffffff
	v_and_b32_sdwa v14, v6, s0 dst_sel:DWORD dst_unused:UNUSED_PAD src0_sel:BYTE_3 src1_sel:DWORD
	s_cselect_b64 s[0:1], -1, 0
	s_bfe_u32 s18, s16, 0x10015
	s_add_i32 s31, s16, s18
	s_add_i32 s16, s31, 0x88fffff
	s_lshr_b32 s58, s16, 21
	s_mov_b32 s16, 0x42800000
	v_add_f32_e64 v16, |v6|, s16
	v_readfirstlane_b32 s16, v16
	s_and_b32 s16, s16, 0xff
	s_cmp_lg_u32 s16, 0
	s_cselect_b64 s[24:25], -1, 0
	s_cmp_gt_u32 s30, 0x43efffff
	s_cselect_b64 s[18:19], -1, 0
	s_cmp_lt_u32 s30, 0x3c800000
	s_cselect_b64 s[20:21], -1, 0
	s_add_i32 s17, s17, 0x407ffff
	s_lshr_b32 s16, s17, 20
	s_and_b32 s17, s17, 0xff00000
	s_cmp_lg_u32 s17, 0x7f00000
	v_lshrrev_b32_e32 v0, 23, v6
	s_cselect_b32 s56, s16, 0x7e
	s_mov_b32 s16, 0x46800000
	s_cmp_lt_u32 s30, 0x38800000
	v_add_u32_e32 v19, v0, v1
	v_add_f32_e64 v0, |v6|, s16
	s_cselect_b64 s[16:17], -1, 0
	s_add_i32 s31, s31, 0x80fffff
	s_lshr_b32 s53, s31, 21
	s_cmp_gt_u32 s30, 0x7f800000
	s_movk_i32 s30, 0x7f
	s_cselect_b32 s59, s30, 0x7e
	s_mov_b32 s30, 0x43000000
	v_readfirstlane_b32 s57, v0
	v_add_f32_e64 v0, |v6|, s30
	v_readfirstlane_b32 s54, v0
	v_bfe_u32 v0, v6, 16, 1
	v_add_u32_e32 v0, v6, v0
	v_add_u32_e32 v0, 0x7fff, v0
	v_lshrrev_b32_e32 v0, 16, v0
	v_mov_b32_e32 v1, 0x7fc0
	v_cmp_o_f16_e64 vcc, s11, s11
	v_cvt_i32_f32_e32 v4, v6
	v_cvt_u32_f32_e32 v8, v6
	v_cndmask_b32_e32 v15, v1, v0, vcc
	v_mov_b32_e32 v0, 0x7fff
	v_and_b32_e32 v0, s11, v0
	s_movk_i32 s30, 0x7c
	v_cmp_ne_u16_e32 vcc, 0, v0
	v_cvt_u16_f16_e32 v18, s11
	s_cselect_b32 s55, 0x7f, s30
	v_cndmask_b32_e64 v13, 0, 1, vcc
	v_cvt_f64_f32_e32 v[0:1], v6
	v_ashrrev_i32_e32 v5, 31, v4
	v_cvt_i16_f16_e32 v12, s11
	v_cmp_gt_i32_e32 vcc, s48, v20
	s_mov_b64 s[36:37], -1
	s_mov_b64 s[38:39], 0
	s_mov_b64 s[30:31], 0
	s_and_saveexec_b64 s[34:35], vcc
	s_cbranch_execz .LBB102_100
; %bb.2:
	v_mul_lo_u32 v2, v20, s10
	v_ashrrev_i32_e32 v3, 31, v2
	v_mov_b32_e32 v7, s9
	v_add_co_u32_e32 v10, vcc, s8, v2
	v_mov_b32_e32 v2, 11
	v_addc_co_u32_e32 v11, vcc, v7, v3, vcc
	v_cmp_lt_i16_sdwa s[30:31], s33, v2 src0_sel:BYTE_0 src1_sel:DWORD
	s_and_b64 vcc, exec, s[30:31]
	s_cbranch_vccnz .LBB102_9
; %bb.3:
	v_mov_b32_e32 v2, 25
	v_cmp_gt_i16_sdwa s[30:31], s33, v2 src0_sel:BYTE_0 src1_sel:DWORD
	s_and_b64 vcc, exec, s[30:31]
	s_cbranch_vccz .LBB102_12
; %bb.4:
	v_mov_b32_e32 v2, 28
	v_cmp_gt_i16_sdwa s[30:31], s33, v2 src0_sel:BYTE_0 src1_sel:DWORD
	s_and_b64 vcc, exec, s[30:31]
	s_cbranch_vccz .LBB102_13
	;; [unrolled: 5-line block ×4, first 2 shown]
; %bb.7:
	v_mov_b32_e32 v2, 46
	v_cmp_eq_u16_sdwa s[36:37], s33, v2 src0_sel:BYTE_0 src1_sel:DWORD
	s_mov_b64 s[40:41], 0
	s_mov_b64 s[30:31], -1
	s_and_b64 vcc, exec, s[36:37]
	s_mov_b64 s[36:37], 0
	s_cbranch_vccz .LBB102_16
; %bb.8:
	global_store_dword v[10:11], v15, off
	s_mov_b64 s[36:37], -1
	s_mov_b64 s[30:31], 0
	s_branch .LBB102_16
.LBB102_9:
	s_mov_b64 s[30:31], 0
	s_mov_b64 s[36:37], 0
	s_cbranch_execnz .LBB102_60
.LBB102_10:
	s_andn2_b64 vcc, exec, s[36:37]
	s_cbranch_vccnz .LBB102_98
.LBB102_11:
	v_add_u32_e32 v20, 0x80, v20
	s_mov_b64 s[36:37], -1
	s_branch .LBB102_99
.LBB102_12:
	s_mov_b64 s[30:31], 0
	s_mov_b64 s[36:37], 0
	s_cbranch_execnz .LBB102_38
	s_branch .LBB102_59
.LBB102_13:
	s_mov_b64 s[40:41], -1
	s_mov_b64 s[30:31], 0
	s_mov_b64 s[36:37], 0
	s_branch .LBB102_24
.LBB102_14:
	s_mov_b64 s[40:41], -1
	s_mov_b64 s[30:31], 0
	s_mov_b64 s[36:37], 0
	s_branch .LBB102_20
.LBB102_15:
	s_mov_b64 s[40:41], -1
	s_mov_b64 s[30:31], 0
	s_mov_b64 s[36:37], 0
.LBB102_16:
	s_and_b64 vcc, exec, s[40:41]
	s_cbranch_vccz .LBB102_19
; %bb.17:
	v_mov_b32_e32 v2, 44
	v_cmp_eq_u16_sdwa s[40:41], s33, v2 src0_sel:BYTE_0 src1_sel:DWORD
	s_mov_b64 s[30:31], -1
	s_and_b64 vcc, exec, s[40:41]
	s_cbranch_vccz .LBB102_19
; %bb.18:
	v_mov_b32_e32 v2, 0xff
	v_cndmask_b32_e64 v2, v19, v2, s[4:5]
	global_store_byte v[10:11], v2, off
	s_mov_b64 s[36:37], -1
	s_mov_b64 s[30:31], 0
.LBB102_19:
	s_mov_b64 s[40:41], 0
.LBB102_20:
	s_and_b64 vcc, exec, s[40:41]
	s_cbranch_vccz .LBB102_23
; %bb.21:
	v_mov_b32_e32 v2, 29
	v_cmp_eq_u16_sdwa s[40:41], s33, v2 src0_sel:BYTE_0 src1_sel:DWORD
	s_mov_b64 s[30:31], -1
	s_and_b64 vcc, exec, s[40:41]
	s_cbranch_vccz .LBB102_23
; %bb.22:
	global_store_dwordx2 v[10:11], v[8:9], off
	s_mov_b64 s[36:37], -1
	s_mov_b64 s[30:31], 0
.LBB102_23:
	s_mov_b64 s[40:41], 0
.LBB102_24:
	s_and_b64 vcc, exec, s[40:41]
	s_cbranch_vccz .LBB102_37
; %bb.25:
	v_mov_b32_e32 v2, 27
	v_cmp_lt_i16_sdwa s[40:41], s33, v2 src0_sel:BYTE_0 src1_sel:DWORD
	s_mov_b64 s[36:37], -1
	s_and_b64 vcc, exec, s[40:41]
	s_cbranch_vccnz .LBB102_31
; %bb.26:
	v_cmp_gt_i16_sdwa s[40:41], s33, v2 src0_sel:BYTE_0 src1_sel:DWORD
	s_and_b64 vcc, exec, s[40:41]
	s_cbranch_vccz .LBB102_28
; %bb.27:
	s_mov_b64 s[36:37], 0
	global_store_dword v[10:11], v8, off
.LBB102_28:
	s_andn2_b64 vcc, exec, s[36:37]
	s_cbranch_vccnz .LBB102_30
; %bb.29:
	global_store_short v[10:11], v18, off
.LBB102_30:
	s_mov_b64 s[36:37], 0
.LBB102_31:
	s_andn2_b64 vcc, exec, s[36:37]
	s_cbranch_vccnz .LBB102_36
; %bb.32:
	s_andn2_b64 vcc, exec, s[26:27]
	v_mov_b32_e32 v2, 0x80
	s_cbranch_vccnz .LBB102_35
; %bb.33:
	s_or_b64 s[36:37], s[2:3], s[28:29]
	s_andn2_b64 vcc, exec, s[36:37]
	v_mov_b32_e32 v2, 0
	s_cbranch_vccnz .LBB102_35
; %bb.34:
	v_mov_b32_e32 v2, s60
	v_cndmask_b32_e64 v2, v17, v2, s[2:3]
	v_or_b32_e32 v2, v2, v14
.LBB102_35:
	global_store_byte v[10:11], v2, off
.LBB102_36:
	s_mov_b64 s[36:37], -1
.LBB102_37:
	s_branch .LBB102_59
.LBB102_38:
	v_mov_b32_e32 v2, 22
	v_cmp_gt_i16_sdwa s[42:43], s33, v2 src0_sel:BYTE_0 src1_sel:DWORD
	s_mov_b64 s[40:41], -1
	s_and_b64 vcc, exec, s[42:43]
	s_cbranch_vccz .LBB102_51
; %bb.39:
	v_mov_b32_e32 v2, 24
	v_cmp_lt_i16_sdwa s[40:41], s33, v2 src0_sel:BYTE_0 src1_sel:DWORD
	s_mov_b64 s[36:37], -1
	s_and_b64 vcc, exec, s[40:41]
	s_cbranch_vccnz .LBB102_48
; %bb.40:
	v_cmp_gt_i16_sdwa s[40:41], s33, v2 src0_sel:BYTE_0 src1_sel:DWORD
	s_and_b64 vcc, exec, s[40:41]
	s_cbranch_vccz .LBB102_45
; %bb.41:
	s_andn2_b64 vcc, exec, s[22:23]
	v_mov_b32_e32 v2, 0x80
	s_cbranch_vccnz .LBB102_44
; %bb.42:
	s_or_b64 s[36:37], s[0:1], s[24:25]
	s_andn2_b64 vcc, exec, s[36:37]
	v_mov_b32_e32 v2, 0
	s_cbranch_vccnz .LBB102_44
; %bb.43:
	v_mov_b32_e32 v2, s58
	v_cndmask_b32_e64 v2, v16, v2, s[0:1]
	v_or_b32_e32 v2, v2, v14
.LBB102_44:
	s_mov_b64 s[36:37], 0
	global_store_byte v[10:11], v2, off
.LBB102_45:
	s_and_b64 vcc, exec, s[36:37]
	s_cbranch_vccz .LBB102_47
; %bb.46:
	s_and_b64 s[36:37], s[20:21], exec
	s_cselect_b32 s40, s57, s56
	s_and_b64 s[36:37], s[18:19], exec
	s_cselect_b32 s36, s59, s40
	v_or_b32_e32 v2, s36, v14
	global_store_byte v[10:11], v2, off
.LBB102_47:
	s_mov_b64 s[36:37], 0
.LBB102_48:
	s_andn2_b64 vcc, exec, s[36:37]
	s_cbranch_vccnz .LBB102_50
; %bb.49:
	s_and_b64 s[36:37], s[16:17], exec
	s_cselect_b32 s40, s54, s53
	s_and_b64 s[36:37], s[14:15], exec
	s_cselect_b32 s36, s55, s40
	v_or_b32_e32 v2, s36, v14
	global_store_byte v[10:11], v2, off
.LBB102_50:
	s_mov_b64 s[40:41], 0
	s_mov_b64 s[36:37], -1
.LBB102_51:
	s_andn2_b64 vcc, exec, s[40:41]
	s_cbranch_vccnz .LBB102_59
; %bb.52:
	v_mov_b32_e32 v2, 14
	v_cmp_gt_i16_sdwa s[42:43], s33, v2 src0_sel:BYTE_0 src1_sel:DWORD
	s_mov_b64 s[40:41], -1
	s_and_b64 vcc, exec, s[42:43]
	s_cbranch_vccz .LBB102_56
; %bb.53:
	v_mov_b32_e32 v2, 15
	v_cmp_eq_u16_sdwa s[40:41], s33, v2 src0_sel:BYTE_0 src1_sel:DWORD
	s_mov_b64 s[30:31], -1
	s_and_b64 vcc, exec, s[40:41]
	s_cbranch_vccz .LBB102_55
; %bb.54:
	global_store_short v[10:11], v15, off
	s_mov_b64 s[36:37], -1
	s_mov_b64 s[30:31], 0
.LBB102_55:
	s_mov_b64 s[40:41], 0
.LBB102_56:
	s_and_b64 vcc, exec, s[40:41]
	s_cbranch_vccz .LBB102_59
; %bb.57:
	v_mov_b32_e32 v2, 11
	v_cmp_eq_u16_sdwa s[40:41], s33, v2 src0_sel:BYTE_0 src1_sel:DWORD
	s_mov_b64 s[30:31], -1
	s_and_b64 vcc, exec, s[40:41]
	s_cbranch_vccz .LBB102_59
; %bb.58:
	s_mov_b64 s[36:37], -1
	s_mov_b64 s[30:31], 0
	global_store_byte v[10:11], v13, off
.LBB102_59:
	s_branch .LBB102_10
.LBB102_60:
	v_mov_b32_e32 v2, 5
	v_cmp_lt_i16_sdwa s[40:41], s33, v2 src0_sel:BYTE_0 src1_sel:DWORD
	s_mov_b64 s[36:37], -1
	s_and_b64 vcc, exec, s[40:41]
	s_cbranch_vccnz .LBB102_81
; %bb.61:
	v_mov_b32_e32 v2, 8
	v_cmp_lt_i16_sdwa s[40:41], s33, v2 src0_sel:BYTE_0 src1_sel:DWORD
	s_and_b64 vcc, exec, s[40:41]
	s_cbranch_vccnz .LBB102_71
; %bb.62:
	v_mov_b32_e32 v2, 9
	v_cmp_lt_i16_sdwa s[40:41], s33, v2 src0_sel:BYTE_0 src1_sel:DWORD
	s_and_b64 vcc, exec, s[40:41]
	s_cbranch_vccnz .LBB102_68
; %bb.63:
	v_cmp_gt_i16_sdwa s[40:41], s33, v2 src0_sel:BYTE_0 src1_sel:DWORD
	s_and_b64 vcc, exec, s[40:41]
	s_cbranch_vccz .LBB102_65
; %bb.64:
	v_mov_b32_e32 v2, 0
	v_mov_b32_e32 v3, v2
	global_store_dwordx4 v[10:11], v[0:3], off
	s_mov_b64 s[36:37], 0
.LBB102_65:
	s_andn2_b64 vcc, exec, s[36:37]
	s_cbranch_vccnz .LBB102_67
; %bb.66:
	v_mov_b32_e32 v7, 0
	global_store_dwordx2 v[10:11], v[6:7], off
.LBB102_67:
	s_mov_b64 s[36:37], 0
.LBB102_68:
	s_andn2_b64 vcc, exec, s[36:37]
	s_cbranch_vccnz .LBB102_70
; %bb.69:
	v_mov_b32_e32 v2, s52
	global_store_dword v[10:11], v2, off
.LBB102_70:
	s_mov_b64 s[36:37], 0
.LBB102_71:
	s_andn2_b64 vcc, exec, s[36:37]
	s_cbranch_vccnz .LBB102_80
; %bb.72:
	v_mov_b32_e32 v2, 6
	v_cmp_lt_i16_sdwa s[40:41], s33, v2 src0_sel:BYTE_0 src1_sel:DWORD
	s_mov_b64 s[36:37], -1
	s_and_b64 vcc, exec, s[40:41]
	s_cbranch_vccnz .LBB102_78
; %bb.73:
	v_cmp_gt_i16_sdwa s[40:41], s33, v2 src0_sel:BYTE_0 src1_sel:DWORD
	s_and_b64 vcc, exec, s[40:41]
	s_cbranch_vccz .LBB102_75
; %bb.74:
	global_store_dwordx2 v[10:11], v[0:1], off
	s_mov_b64 s[36:37], 0
.LBB102_75:
	s_andn2_b64 vcc, exec, s[36:37]
	s_cbranch_vccnz .LBB102_77
; %bb.76:
	global_store_dword v[10:11], v6, off
.LBB102_77:
	s_mov_b64 s[36:37], 0
.LBB102_78:
	s_andn2_b64 vcc, exec, s[36:37]
	s_cbranch_vccnz .LBB102_80
; %bb.79:
	v_mov_b32_e32 v2, s11
	global_store_short v[10:11], v2, off
.LBB102_80:
	s_mov_b64 s[36:37], 0
.LBB102_81:
	s_andn2_b64 vcc, exec, s[36:37]
	s_cbranch_vccnz .LBB102_97
; %bb.82:
	v_mov_b32_e32 v2, 2
	v_cmp_lt_i16_sdwa s[40:41], s33, v2 src0_sel:BYTE_0 src1_sel:DWORD
	s_mov_b64 s[36:37], -1
	s_and_b64 vcc, exec, s[40:41]
	s_cbranch_vccnz .LBB102_92
; %bb.83:
	v_mov_b32_e32 v2, 3
	v_cmp_lt_i16_sdwa s[40:41], s33, v2 src0_sel:BYTE_0 src1_sel:DWORD
	s_and_b64 vcc, exec, s[40:41]
	s_cbranch_vccnz .LBB102_89
; %bb.84:
	v_cmp_gt_i16_sdwa s[40:41], s33, v2 src0_sel:BYTE_0 src1_sel:DWORD
	s_and_b64 vcc, exec, s[40:41]
	s_cbranch_vccz .LBB102_86
; %bb.85:
	global_store_dwordx2 v[10:11], v[4:5], off
	s_mov_b64 s[36:37], 0
.LBB102_86:
	s_andn2_b64 vcc, exec, s[36:37]
	s_cbranch_vccnz .LBB102_88
; %bb.87:
	global_store_dword v[10:11], v4, off
.LBB102_88:
	s_mov_b64 s[36:37], 0
.LBB102_89:
	s_andn2_b64 vcc, exec, s[36:37]
	s_cbranch_vccnz .LBB102_91
; %bb.90:
	global_store_short v[10:11], v12, off
.LBB102_91:
	s_mov_b64 s[36:37], 0
.LBB102_92:
	s_andn2_b64 vcc, exec, s[36:37]
	s_cbranch_vccnz .LBB102_97
; %bb.93:
	v_mov_b32_e32 v2, 0
	v_cmp_gt_i16_sdwa s[40:41], s33, v2 src0_sel:BYTE_0 src1_sel:DWORD
	s_mov_b64 s[36:37], -1
	s_and_b64 vcc, exec, s[40:41]
	s_cbranch_vccz .LBB102_95
; %bb.94:
	global_store_byte v[10:11], v12, off
	s_mov_b64 s[36:37], 0
.LBB102_95:
	s_andn2_b64 vcc, exec, s[36:37]
	s_cbranch_vccnz .LBB102_97
; %bb.96:
	global_store_byte v[10:11], v4, off
.LBB102_97:
	s_branch .LBB102_11
.LBB102_98:
	s_mov_b64 s[36:37], 0
                                        ; implicit-def: $vgpr20
.LBB102_99:
	s_and_b64 s[30:31], s[30:31], exec
	s_orn2_b64 s[36:37], s[36:37], exec
.LBB102_100:
	s_or_b64 exec, exec, s[34:35]
	s_mov_b64 s[40:41], 0
                                        ; implicit-def: $vgpr21
                                        ; implicit-def: $vgpr10_vgpr11
	s_and_saveexec_b64 s[34:35], s[36:37]
	s_cbranch_execz .LBB102_109
; %bb.101:
	v_cmp_gt_i32_e32 vcc, s48, v20
	s_mov_b64 s[42:43], -1
	s_mov_b64 s[36:37], s[30:31]
	s_and_saveexec_b64 s[38:39], vcc
	s_cbranch_execz .LBB102_204
; %bb.102:
	v_mul_lo_u32 v2, v20, s10
	v_ashrrev_i32_e32 v3, 31, v2
	v_mov_b32_e32 v7, s9
	v_add_co_u32_e32 v10, vcc, s8, v2
	v_mov_b32_e32 v2, 11
	v_addc_co_u32_e32 v11, vcc, v7, v3, vcc
	v_cmp_lt_i16_sdwa s[36:37], s33, v2 src0_sel:BYTE_0 src1_sel:DWORD
	s_and_b64 vcc, exec, s[36:37]
	s_cbranch_vccnz .LBB102_112
; %bb.103:
	v_mov_b32_e32 v2, 25
	v_cmp_gt_i16_sdwa s[36:37], s33, v2 src0_sel:BYTE_0 src1_sel:DWORD
	s_and_b64 vcc, exec, s[36:37]
	s_cbranch_vccz .LBB102_115
; %bb.104:
	v_mov_b32_e32 v2, 28
	v_cmp_gt_i16_sdwa s[36:37], s33, v2 src0_sel:BYTE_0 src1_sel:DWORD
	s_and_b64 vcc, exec, s[36:37]
	s_cbranch_vccz .LBB102_116
	;; [unrolled: 5-line block ×4, first 2 shown]
; %bb.107:
	v_mov_b32_e32 v2, 46
	v_cmp_eq_u16_sdwa s[40:41], s33, v2 src0_sel:BYTE_0 src1_sel:DWORD
	s_mov_b64 s[42:43], 0
	s_mov_b64 s[36:37], -1
	s_and_b64 vcc, exec, s[40:41]
	s_mov_b64 s[40:41], 0
	s_cbranch_vccz .LBB102_119
; %bb.108:
	global_store_dword v[10:11], v15, off
	s_mov_b64 s[40:41], -1
	s_mov_b64 s[36:37], 0
	s_branch .LBB102_119
.LBB102_109:
	s_or_b64 exec, exec, s[34:35]
	s_mov_b64 s[0:1], 0
	s_and_saveexec_b64 s[2:3], s[30:31]
	s_cbranch_execnz .LBB102_364
.LBB102_110:
	s_or_b64 exec, exec, s[2:3]
	s_and_saveexec_b64 s[2:3], s[38:39]
	s_xor_b64 s[2:3], exec, s[2:3]
	s_cbranch_execz .LBB102_365
.LBB102_111:
	global_store_byte v[10:11], v13, off
	s_or_b64 exec, exec, s[2:3]
	s_and_saveexec_b64 s[2:3], s[40:41]
	s_xor_b64 s[2:3], exec, s[2:3]
	s_cbranch_execz .LBB102_403
	s_branch .LBB102_366
.LBB102_112:
	s_mov_b64 s[36:37], s[30:31]
	s_and_b64 vcc, exec, s[42:43]
	s_cbranch_vccnz .LBB102_164
.LBB102_113:
	s_andn2_b64 vcc, exec, s[40:41]
	s_cbranch_vccnz .LBB102_202
.LBB102_114:
	v_add_u32_e32 v20, 0x80, v20
	s_mov_b64 s[40:41], -1
	s_branch .LBB102_203
.LBB102_115:
	s_mov_b64 s[36:37], s[30:31]
	s_branch .LBB102_141
.LBB102_116:
	s_mov_b64 s[36:37], s[30:31]
	s_branch .LBB102_127
.LBB102_117:
	s_mov_b64 s[36:37], s[30:31]
	s_branch .LBB102_123
.LBB102_118:
	s_mov_b64 s[36:37], s[30:31]
.LBB102_119:
	s_and_b64 vcc, exec, s[42:43]
	s_cbranch_vccz .LBB102_122
; %bb.120:
	v_mov_b32_e32 v2, 44
	v_cmp_eq_u16_sdwa s[42:43], s33, v2 src0_sel:BYTE_0 src1_sel:DWORD
	s_mov_b64 s[36:37], -1
	s_and_b64 vcc, exec, s[42:43]
	s_cbranch_vccz .LBB102_122
; %bb.121:
	v_mov_b32_e32 v2, 0xff
	v_cndmask_b32_e64 v2, v19, v2, s[4:5]
	s_mov_b64 s[40:41], -1
	s_mov_b64 s[36:37], 0
	global_store_byte v[10:11], v2, off
.LBB102_122:
	s_mov_b64 s[42:43], 0
.LBB102_123:
	s_and_b64 vcc, exec, s[42:43]
	s_cbranch_vccz .LBB102_126
; %bb.124:
	v_mov_b32_e32 v2, 29
	v_cmp_eq_u16_sdwa s[42:43], s33, v2 src0_sel:BYTE_0 src1_sel:DWORD
	s_mov_b64 s[36:37], -1
	s_and_b64 vcc, exec, s[42:43]
	s_cbranch_vccz .LBB102_126
; %bb.125:
	global_store_dwordx2 v[10:11], v[8:9], off
	s_mov_b64 s[40:41], -1
	s_mov_b64 s[36:37], 0
.LBB102_126:
	s_mov_b64 s[42:43], 0
.LBB102_127:
	s_and_b64 vcc, exec, s[42:43]
	s_cbranch_vccz .LBB102_140
; %bb.128:
	v_mov_b32_e32 v2, 27
	v_cmp_lt_i16_sdwa s[42:43], s33, v2 src0_sel:BYTE_0 src1_sel:DWORD
	s_mov_b64 s[40:41], -1
	s_and_b64 vcc, exec, s[42:43]
	s_cbranch_vccnz .LBB102_134
; %bb.129:
	v_cmp_gt_i16_sdwa s[42:43], s33, v2 src0_sel:BYTE_0 src1_sel:DWORD
	s_and_b64 vcc, exec, s[42:43]
	s_cbranch_vccz .LBB102_131
; %bb.130:
	s_mov_b64 s[40:41], 0
	global_store_dword v[10:11], v8, off
.LBB102_131:
	s_andn2_b64 vcc, exec, s[40:41]
	s_cbranch_vccnz .LBB102_133
; %bb.132:
	global_store_short v[10:11], v18, off
.LBB102_133:
	s_mov_b64 s[40:41], 0
.LBB102_134:
	s_andn2_b64 vcc, exec, s[40:41]
	s_cbranch_vccnz .LBB102_139
; %bb.135:
	s_andn2_b64 vcc, exec, s[26:27]
	v_mov_b32_e32 v2, 0x80
	s_cbranch_vccnz .LBB102_138
; %bb.136:
	s_or_b64 s[40:41], s[2:3], s[28:29]
	s_andn2_b64 vcc, exec, s[40:41]
	v_mov_b32_e32 v2, 0
	s_cbranch_vccnz .LBB102_138
; %bb.137:
	v_mov_b32_e32 v2, s60
	v_cndmask_b32_e64 v2, v17, v2, s[2:3]
	v_or_b32_e32 v2, v2, v14
.LBB102_138:
	global_store_byte v[10:11], v2, off
.LBB102_139:
	s_mov_b64 s[40:41], -1
.LBB102_140:
	s_mov_b64 s[42:43], 0
.LBB102_141:
	s_and_b64 vcc, exec, s[42:43]
	s_cbranch_vccz .LBB102_163
; %bb.142:
	v_mov_b32_e32 v2, 22
	v_cmp_gt_i16_sdwa s[44:45], s33, v2 src0_sel:BYTE_0 src1_sel:DWORD
	s_mov_b64 s[42:43], -1
	s_and_b64 vcc, exec, s[44:45]
	s_cbranch_vccz .LBB102_155
; %bb.143:
	v_mov_b32_e32 v2, 24
	v_cmp_lt_i16_sdwa s[42:43], s33, v2 src0_sel:BYTE_0 src1_sel:DWORD
	s_mov_b64 s[40:41], -1
	s_and_b64 vcc, exec, s[42:43]
	s_cbranch_vccnz .LBB102_152
; %bb.144:
	v_cmp_gt_i16_sdwa s[42:43], s33, v2 src0_sel:BYTE_0 src1_sel:DWORD
	s_and_b64 vcc, exec, s[42:43]
	s_cbranch_vccz .LBB102_149
; %bb.145:
	s_andn2_b64 vcc, exec, s[22:23]
	v_mov_b32_e32 v2, 0x80
	s_cbranch_vccnz .LBB102_148
; %bb.146:
	s_or_b64 s[40:41], s[0:1], s[24:25]
	s_andn2_b64 vcc, exec, s[40:41]
	v_mov_b32_e32 v2, 0
	s_cbranch_vccnz .LBB102_148
; %bb.147:
	v_mov_b32_e32 v2, s58
	v_cndmask_b32_e64 v2, v16, v2, s[0:1]
	v_or_b32_e32 v2, v2, v14
.LBB102_148:
	s_mov_b64 s[40:41], 0
	global_store_byte v[10:11], v2, off
.LBB102_149:
	s_and_b64 vcc, exec, s[40:41]
	s_cbranch_vccz .LBB102_151
; %bb.150:
	s_and_b64 s[40:41], s[20:21], exec
	s_cselect_b32 s42, s57, s56
	s_and_b64 s[40:41], s[18:19], exec
	s_cselect_b32 s40, s59, s42
	v_or_b32_e32 v2, s40, v14
	global_store_byte v[10:11], v2, off
.LBB102_151:
	s_mov_b64 s[40:41], 0
.LBB102_152:
	s_andn2_b64 vcc, exec, s[40:41]
	s_cbranch_vccnz .LBB102_154
; %bb.153:
	s_and_b64 s[40:41], s[16:17], exec
	s_cselect_b32 s42, s54, s53
	s_and_b64 s[40:41], s[14:15], exec
	s_cselect_b32 s40, s55, s42
	v_or_b32_e32 v2, s40, v14
	global_store_byte v[10:11], v2, off
.LBB102_154:
	s_mov_b64 s[42:43], 0
	s_mov_b64 s[40:41], -1
.LBB102_155:
	s_andn2_b64 vcc, exec, s[42:43]
	s_cbranch_vccnz .LBB102_163
; %bb.156:
	v_mov_b32_e32 v2, 14
	v_cmp_gt_i16_sdwa s[44:45], s33, v2 src0_sel:BYTE_0 src1_sel:DWORD
	s_mov_b64 s[42:43], -1
	s_and_b64 vcc, exec, s[44:45]
	s_cbranch_vccz .LBB102_160
; %bb.157:
	v_mov_b32_e32 v2, 15
	v_cmp_eq_u16_sdwa s[42:43], s33, v2 src0_sel:BYTE_0 src1_sel:DWORD
	s_mov_b64 s[36:37], -1
	s_and_b64 vcc, exec, s[42:43]
	s_cbranch_vccz .LBB102_159
; %bb.158:
	global_store_short v[10:11], v15, off
	s_mov_b64 s[40:41], -1
	s_mov_b64 s[36:37], 0
.LBB102_159:
	s_mov_b64 s[42:43], 0
.LBB102_160:
	s_and_b64 vcc, exec, s[42:43]
	s_cbranch_vccz .LBB102_163
; %bb.161:
	v_mov_b32_e32 v2, 11
	v_cmp_eq_u16_sdwa s[42:43], s33, v2 src0_sel:BYTE_0 src1_sel:DWORD
	s_mov_b64 s[36:37], -1
	s_and_b64 vcc, exec, s[42:43]
	s_cbranch_vccz .LBB102_163
; %bb.162:
	s_mov_b64 s[40:41], -1
	s_mov_b64 s[36:37], 0
	global_store_byte v[10:11], v13, off
.LBB102_163:
	s_branch .LBB102_113
.LBB102_164:
	v_mov_b32_e32 v2, 5
	v_cmp_lt_i16_sdwa s[42:43], s33, v2 src0_sel:BYTE_0 src1_sel:DWORD
	s_mov_b64 s[40:41], -1
	s_and_b64 vcc, exec, s[42:43]
	s_cbranch_vccnz .LBB102_185
; %bb.165:
	v_mov_b32_e32 v2, 8
	v_cmp_lt_i16_sdwa s[42:43], s33, v2 src0_sel:BYTE_0 src1_sel:DWORD
	s_and_b64 vcc, exec, s[42:43]
	s_cbranch_vccnz .LBB102_175
; %bb.166:
	v_mov_b32_e32 v2, 9
	v_cmp_lt_i16_sdwa s[42:43], s33, v2 src0_sel:BYTE_0 src1_sel:DWORD
	s_and_b64 vcc, exec, s[42:43]
	s_cbranch_vccnz .LBB102_172
; %bb.167:
	v_cmp_gt_i16_sdwa s[42:43], s33, v2 src0_sel:BYTE_0 src1_sel:DWORD
	s_and_b64 vcc, exec, s[42:43]
	s_cbranch_vccz .LBB102_169
; %bb.168:
	v_mov_b32_e32 v2, 0
	v_mov_b32_e32 v3, v2
	s_mov_b64 s[40:41], 0
	global_store_dwordx4 v[10:11], v[0:3], off
.LBB102_169:
	s_andn2_b64 vcc, exec, s[40:41]
	s_cbranch_vccnz .LBB102_171
; %bb.170:
	v_mov_b32_e32 v7, 0
	global_store_dwordx2 v[10:11], v[6:7], off
.LBB102_171:
	s_mov_b64 s[40:41], 0
.LBB102_172:
	s_andn2_b64 vcc, exec, s[40:41]
	s_cbranch_vccnz .LBB102_174
; %bb.173:
	v_mov_b32_e32 v2, s52
	global_store_dword v[10:11], v2, off
.LBB102_174:
	s_mov_b64 s[40:41], 0
.LBB102_175:
	s_andn2_b64 vcc, exec, s[40:41]
	s_cbranch_vccnz .LBB102_184
; %bb.176:
	v_mov_b32_e32 v2, 6
	v_cmp_lt_i16_sdwa s[42:43], s33, v2 src0_sel:BYTE_0 src1_sel:DWORD
	s_mov_b64 s[40:41], -1
	s_and_b64 vcc, exec, s[42:43]
	s_cbranch_vccnz .LBB102_182
; %bb.177:
	v_cmp_gt_i16_sdwa s[42:43], s33, v2 src0_sel:BYTE_0 src1_sel:DWORD
	s_and_b64 vcc, exec, s[42:43]
	s_cbranch_vccz .LBB102_179
; %bb.178:
	s_mov_b64 s[40:41], 0
	global_store_dwordx2 v[10:11], v[0:1], off
.LBB102_179:
	s_andn2_b64 vcc, exec, s[40:41]
	s_cbranch_vccnz .LBB102_181
; %bb.180:
	global_store_dword v[10:11], v6, off
.LBB102_181:
	s_mov_b64 s[40:41], 0
.LBB102_182:
	s_andn2_b64 vcc, exec, s[40:41]
	s_cbranch_vccnz .LBB102_184
; %bb.183:
	v_mov_b32_e32 v2, s11
	global_store_short v[10:11], v2, off
.LBB102_184:
	s_mov_b64 s[40:41], 0
.LBB102_185:
	s_andn2_b64 vcc, exec, s[40:41]
	s_cbranch_vccnz .LBB102_201
; %bb.186:
	v_mov_b32_e32 v2, 2
	v_cmp_lt_i16_sdwa s[42:43], s33, v2 src0_sel:BYTE_0 src1_sel:DWORD
	s_mov_b64 s[40:41], -1
	s_and_b64 vcc, exec, s[42:43]
	s_cbranch_vccnz .LBB102_196
; %bb.187:
	v_mov_b32_e32 v2, 3
	v_cmp_lt_i16_sdwa s[42:43], s33, v2 src0_sel:BYTE_0 src1_sel:DWORD
	s_and_b64 vcc, exec, s[42:43]
	s_cbranch_vccnz .LBB102_193
; %bb.188:
	v_cmp_gt_i16_sdwa s[42:43], s33, v2 src0_sel:BYTE_0 src1_sel:DWORD
	s_and_b64 vcc, exec, s[42:43]
	s_cbranch_vccz .LBB102_190
; %bb.189:
	s_mov_b64 s[40:41], 0
	global_store_dwordx2 v[10:11], v[4:5], off
.LBB102_190:
	s_andn2_b64 vcc, exec, s[40:41]
	s_cbranch_vccnz .LBB102_192
; %bb.191:
	global_store_dword v[10:11], v4, off
.LBB102_192:
	s_mov_b64 s[40:41], 0
.LBB102_193:
	s_andn2_b64 vcc, exec, s[40:41]
	s_cbranch_vccnz .LBB102_195
; %bb.194:
	global_store_short v[10:11], v12, off
.LBB102_195:
	s_mov_b64 s[40:41], 0
.LBB102_196:
	s_andn2_b64 vcc, exec, s[40:41]
	s_cbranch_vccnz .LBB102_201
; %bb.197:
	v_mov_b32_e32 v2, 0
	v_cmp_gt_i16_sdwa s[42:43], s33, v2 src0_sel:BYTE_0 src1_sel:DWORD
	s_mov_b64 s[40:41], -1
	s_and_b64 vcc, exec, s[42:43]
	s_cbranch_vccz .LBB102_199
; %bb.198:
	s_mov_b64 s[40:41], 0
	global_store_byte v[10:11], v12, off
.LBB102_199:
	s_andn2_b64 vcc, exec, s[40:41]
	s_cbranch_vccnz .LBB102_201
; %bb.200:
	global_store_byte v[10:11], v4, off
.LBB102_201:
	s_branch .LBB102_114
.LBB102_202:
	s_mov_b64 s[40:41], 0
                                        ; implicit-def: $vgpr20
.LBB102_203:
	s_andn2_b64 s[42:43], s[30:31], exec
	s_and_b64 s[36:37], s[36:37], exec
	s_or_b64 s[36:37], s[42:43], s[36:37]
	s_orn2_b64 s[42:43], s[40:41], exec
.LBB102_204:
	s_or_b64 exec, exec, s[38:39]
	s_mov_b64 s[44:45], 0
	s_mov_b64 s[40:41], 0
                                        ; implicit-def: $vgpr21
                                        ; implicit-def: $vgpr10_vgpr11
	s_and_saveexec_b64 s[38:39], s[42:43]
	s_cbranch_execz .LBB102_363
; %bb.205:
	v_cmp_gt_i32_e32 vcc, s48, v20
	s_mov_b64 s[46:47], -1
	s_mov_b64 s[42:43], s[36:37]
	s_and_saveexec_b64 s[40:41], vcc
	s_cbranch_execz .LBB102_306
; %bb.206:
	v_mul_lo_u32 v2, v20, s10
	v_ashrrev_i32_e32 v3, 31, v2
	v_mov_b32_e32 v7, s9
	v_add_co_u32_e32 v10, vcc, s8, v2
	v_mov_b32_e32 v2, 11
	v_addc_co_u32_e32 v11, vcc, v7, v3, vcc
	v_cmp_lt_i16_sdwa s[42:43], s33, v2 src0_sel:BYTE_0 src1_sel:DWORD
	s_and_b64 vcc, exec, s[42:43]
	s_cbranch_vccnz .LBB102_213
; %bb.207:
	v_mov_b32_e32 v2, 25
	v_cmp_gt_i16_sdwa s[42:43], s33, v2 src0_sel:BYTE_0 src1_sel:DWORD
	s_and_b64 vcc, exec, s[42:43]
	s_cbranch_vccz .LBB102_214
; %bb.208:
	v_mov_b32_e32 v2, 28
	v_cmp_gt_i16_sdwa s[42:43], s33, v2 src0_sel:BYTE_0 src1_sel:DWORD
	s_and_b64 vcc, exec, s[42:43]
	s_cbranch_vccz .LBB102_215
	;; [unrolled: 5-line block ×4, first 2 shown]
; %bb.211:
	v_mov_b32_e32 v2, 46
	v_cmp_eq_u16_sdwa s[44:45], s33, v2 src0_sel:BYTE_0 src1_sel:DWORD
	s_mov_b64 s[46:47], 0
	s_mov_b64 s[42:43], -1
	s_and_b64 vcc, exec, s[44:45]
	s_mov_b64 s[44:45], 0
	s_cbranch_vccz .LBB102_218
; %bb.212:
	global_store_dword v[10:11], v15, off
	s_mov_b64 s[44:45], -1
	s_mov_b64 s[42:43], 0
	s_branch .LBB102_218
.LBB102_213:
	s_mov_b64 s[42:43], s[36:37]
	s_branch .LBB102_263
.LBB102_214:
	s_mov_b64 s[42:43], s[36:37]
	s_branch .LBB102_240
.LBB102_215:
	s_mov_b64 s[42:43], s[36:37]
	s_branch .LBB102_226
.LBB102_216:
	s_mov_b64 s[42:43], s[36:37]
	s_branch .LBB102_222
.LBB102_217:
	s_mov_b64 s[42:43], s[36:37]
.LBB102_218:
	s_and_b64 vcc, exec, s[46:47]
	s_cbranch_vccz .LBB102_221
; %bb.219:
	v_mov_b32_e32 v2, 44
	v_cmp_eq_u16_sdwa s[46:47], s33, v2 src0_sel:BYTE_0 src1_sel:DWORD
	s_mov_b64 s[42:43], -1
	s_and_b64 vcc, exec, s[46:47]
	s_cbranch_vccz .LBB102_221
; %bb.220:
	v_mov_b32_e32 v2, 0xff
	v_cndmask_b32_e64 v2, v19, v2, s[4:5]
	s_mov_b64 s[44:45], -1
	s_mov_b64 s[42:43], 0
	global_store_byte v[10:11], v2, off
.LBB102_221:
	s_mov_b64 s[46:47], 0
.LBB102_222:
	s_and_b64 vcc, exec, s[46:47]
	s_cbranch_vccz .LBB102_225
; %bb.223:
	v_mov_b32_e32 v2, 29
	v_cmp_eq_u16_sdwa s[46:47], s33, v2 src0_sel:BYTE_0 src1_sel:DWORD
	s_mov_b64 s[42:43], -1
	s_and_b64 vcc, exec, s[46:47]
	s_cbranch_vccz .LBB102_225
; %bb.224:
	global_store_dwordx2 v[10:11], v[8:9], off
	s_mov_b64 s[44:45], -1
	s_mov_b64 s[42:43], 0
.LBB102_225:
	s_mov_b64 s[46:47], 0
.LBB102_226:
	s_and_b64 vcc, exec, s[46:47]
	s_cbranch_vccz .LBB102_239
; %bb.227:
	v_mov_b32_e32 v2, 27
	v_cmp_lt_i16_sdwa s[46:47], s33, v2 src0_sel:BYTE_0 src1_sel:DWORD
	s_mov_b64 s[44:45], -1
	s_and_b64 vcc, exec, s[46:47]
	s_cbranch_vccnz .LBB102_233
; %bb.228:
	v_cmp_gt_i16_sdwa s[46:47], s33, v2 src0_sel:BYTE_0 src1_sel:DWORD
	s_and_b64 vcc, exec, s[46:47]
	s_cbranch_vccz .LBB102_230
; %bb.229:
	s_mov_b64 s[44:45], 0
	global_store_dword v[10:11], v8, off
.LBB102_230:
	s_andn2_b64 vcc, exec, s[44:45]
	s_cbranch_vccnz .LBB102_232
; %bb.231:
	global_store_short v[10:11], v18, off
.LBB102_232:
	s_mov_b64 s[44:45], 0
.LBB102_233:
	s_andn2_b64 vcc, exec, s[44:45]
	s_cbranch_vccnz .LBB102_238
; %bb.234:
	s_andn2_b64 vcc, exec, s[26:27]
	v_mov_b32_e32 v2, 0x80
	s_cbranch_vccnz .LBB102_237
; %bb.235:
	s_or_b64 s[44:45], s[2:3], s[28:29]
	s_andn2_b64 vcc, exec, s[44:45]
	v_mov_b32_e32 v2, 0
	s_cbranch_vccnz .LBB102_237
; %bb.236:
	v_mov_b32_e32 v2, s60
	v_cndmask_b32_e64 v2, v17, v2, s[2:3]
	v_or_b32_e32 v2, v2, v14
.LBB102_237:
	global_store_byte v[10:11], v2, off
.LBB102_238:
	s_mov_b64 s[44:45], -1
.LBB102_239:
	s_mov_b64 s[46:47], 0
.LBB102_240:
	s_and_b64 vcc, exec, s[46:47]
	s_cbranch_vccz .LBB102_262
; %bb.241:
	v_mov_b32_e32 v2, 22
	v_cmp_gt_i16_sdwa s[50:51], s33, v2 src0_sel:BYTE_0 src1_sel:DWORD
	s_mov_b64 s[46:47], -1
	s_and_b64 vcc, exec, s[50:51]
	s_cbranch_vccz .LBB102_254
; %bb.242:
	v_mov_b32_e32 v2, 24
	v_cmp_lt_i16_sdwa s[46:47], s33, v2 src0_sel:BYTE_0 src1_sel:DWORD
	s_mov_b64 s[44:45], -1
	s_and_b64 vcc, exec, s[46:47]
	s_cbranch_vccnz .LBB102_251
; %bb.243:
	v_cmp_gt_i16_sdwa s[46:47], s33, v2 src0_sel:BYTE_0 src1_sel:DWORD
	s_and_b64 vcc, exec, s[46:47]
	s_cbranch_vccz .LBB102_248
; %bb.244:
	s_andn2_b64 vcc, exec, s[22:23]
	v_mov_b32_e32 v2, 0x80
	s_cbranch_vccnz .LBB102_247
; %bb.245:
	s_or_b64 s[44:45], s[0:1], s[24:25]
	s_andn2_b64 vcc, exec, s[44:45]
	v_mov_b32_e32 v2, 0
	s_cbranch_vccnz .LBB102_247
; %bb.246:
	v_mov_b32_e32 v2, s58
	v_cndmask_b32_e64 v2, v16, v2, s[0:1]
	v_or_b32_e32 v2, v2, v14
.LBB102_247:
	s_mov_b64 s[44:45], 0
	global_store_byte v[10:11], v2, off
.LBB102_248:
	s_and_b64 vcc, exec, s[44:45]
	s_cbranch_vccz .LBB102_250
; %bb.249:
	s_and_b64 s[44:45], s[20:21], exec
	s_cselect_b32 s46, s57, s56
	s_and_b64 s[44:45], s[18:19], exec
	s_cselect_b32 s44, s59, s46
	v_or_b32_e32 v2, s44, v14
	global_store_byte v[10:11], v2, off
.LBB102_250:
	s_mov_b64 s[44:45], 0
.LBB102_251:
	s_andn2_b64 vcc, exec, s[44:45]
	s_cbranch_vccnz .LBB102_253
; %bb.252:
	s_and_b64 s[44:45], s[16:17], exec
	s_cselect_b32 s46, s54, s53
	s_and_b64 s[44:45], s[14:15], exec
	s_cselect_b32 s44, s55, s46
	v_or_b32_e32 v2, s44, v14
	global_store_byte v[10:11], v2, off
.LBB102_253:
	s_mov_b64 s[46:47], 0
	s_mov_b64 s[44:45], -1
.LBB102_254:
	s_andn2_b64 vcc, exec, s[46:47]
	s_cbranch_vccnz .LBB102_262
; %bb.255:
	v_mov_b32_e32 v2, 14
	v_cmp_gt_i16_sdwa s[50:51], s33, v2 src0_sel:BYTE_0 src1_sel:DWORD
	s_mov_b64 s[46:47], -1
	s_and_b64 vcc, exec, s[50:51]
	s_cbranch_vccz .LBB102_259
; %bb.256:
	v_mov_b32_e32 v2, 15
	v_cmp_eq_u16_sdwa s[46:47], s33, v2 src0_sel:BYTE_0 src1_sel:DWORD
	s_mov_b64 s[42:43], -1
	s_and_b64 vcc, exec, s[46:47]
	s_cbranch_vccz .LBB102_258
; %bb.257:
	global_store_short v[10:11], v15, off
	s_mov_b64 s[44:45], -1
	s_mov_b64 s[42:43], 0
.LBB102_258:
	s_mov_b64 s[46:47], 0
.LBB102_259:
	s_and_b64 vcc, exec, s[46:47]
	s_cbranch_vccz .LBB102_262
; %bb.260:
	v_mov_b32_e32 v2, 11
	v_cmp_eq_u16_sdwa s[46:47], s33, v2 src0_sel:BYTE_0 src1_sel:DWORD
	s_mov_b64 s[42:43], -1
	s_and_b64 vcc, exec, s[46:47]
	s_cbranch_vccz .LBB102_262
; %bb.261:
	s_mov_b64 s[44:45], -1
	s_mov_b64 s[42:43], 0
	global_store_byte v[10:11], v13, off
.LBB102_262:
	s_mov_b64 s[46:47], 0
.LBB102_263:
	s_and_b64 vcc, exec, s[46:47]
	s_cbranch_vccz .LBB102_302
; %bb.264:
	v_mov_b32_e32 v2, 5
	v_cmp_lt_i16_sdwa s[46:47], s33, v2 src0_sel:BYTE_0 src1_sel:DWORD
	s_mov_b64 s[44:45], -1
	s_and_b64 vcc, exec, s[46:47]
	s_cbranch_vccnz .LBB102_285
; %bb.265:
	v_mov_b32_e32 v2, 8
	v_cmp_lt_i16_sdwa s[46:47], s33, v2 src0_sel:BYTE_0 src1_sel:DWORD
	s_and_b64 vcc, exec, s[46:47]
	s_cbranch_vccnz .LBB102_275
; %bb.266:
	v_mov_b32_e32 v2, 9
	v_cmp_lt_i16_sdwa s[46:47], s33, v2 src0_sel:BYTE_0 src1_sel:DWORD
	s_and_b64 vcc, exec, s[46:47]
	s_cbranch_vccnz .LBB102_272
; %bb.267:
	v_cmp_gt_i16_sdwa s[46:47], s33, v2 src0_sel:BYTE_0 src1_sel:DWORD
	s_and_b64 vcc, exec, s[46:47]
	s_cbranch_vccz .LBB102_269
; %bb.268:
	v_mov_b32_e32 v2, 0
	v_mov_b32_e32 v3, v2
	s_mov_b64 s[44:45], 0
	global_store_dwordx4 v[10:11], v[0:3], off
.LBB102_269:
	s_andn2_b64 vcc, exec, s[44:45]
	s_cbranch_vccnz .LBB102_271
; %bb.270:
	v_mov_b32_e32 v7, 0
	global_store_dwordx2 v[10:11], v[6:7], off
.LBB102_271:
	s_mov_b64 s[44:45], 0
.LBB102_272:
	s_andn2_b64 vcc, exec, s[44:45]
	s_cbranch_vccnz .LBB102_274
; %bb.273:
	v_mov_b32_e32 v2, s52
	global_store_dword v[10:11], v2, off
.LBB102_274:
	s_mov_b64 s[44:45], 0
.LBB102_275:
	s_andn2_b64 vcc, exec, s[44:45]
	s_cbranch_vccnz .LBB102_284
; %bb.276:
	v_mov_b32_e32 v2, 6
	v_cmp_lt_i16_sdwa s[46:47], s33, v2 src0_sel:BYTE_0 src1_sel:DWORD
	s_mov_b64 s[44:45], -1
	s_and_b64 vcc, exec, s[46:47]
	s_cbranch_vccnz .LBB102_282
; %bb.277:
	v_cmp_gt_i16_sdwa s[46:47], s33, v2 src0_sel:BYTE_0 src1_sel:DWORD
	s_and_b64 vcc, exec, s[46:47]
	s_cbranch_vccz .LBB102_279
; %bb.278:
	s_mov_b64 s[44:45], 0
	global_store_dwordx2 v[10:11], v[0:1], off
.LBB102_279:
	s_andn2_b64 vcc, exec, s[44:45]
	s_cbranch_vccnz .LBB102_281
; %bb.280:
	global_store_dword v[10:11], v6, off
.LBB102_281:
	s_mov_b64 s[44:45], 0
.LBB102_282:
	s_andn2_b64 vcc, exec, s[44:45]
	s_cbranch_vccnz .LBB102_284
; %bb.283:
	v_mov_b32_e32 v2, s11
	global_store_short v[10:11], v2, off
.LBB102_284:
	s_mov_b64 s[44:45], 0
.LBB102_285:
	s_andn2_b64 vcc, exec, s[44:45]
	s_cbranch_vccnz .LBB102_301
; %bb.286:
	v_mov_b32_e32 v2, 2
	v_cmp_lt_i16_sdwa s[46:47], s33, v2 src0_sel:BYTE_0 src1_sel:DWORD
	s_mov_b64 s[44:45], -1
	s_and_b64 vcc, exec, s[46:47]
	s_cbranch_vccnz .LBB102_296
; %bb.287:
	v_mov_b32_e32 v2, 3
	v_cmp_lt_i16_sdwa s[46:47], s33, v2 src0_sel:BYTE_0 src1_sel:DWORD
	s_and_b64 vcc, exec, s[46:47]
	s_cbranch_vccnz .LBB102_293
; %bb.288:
	v_cmp_gt_i16_sdwa s[46:47], s33, v2 src0_sel:BYTE_0 src1_sel:DWORD
	s_and_b64 vcc, exec, s[46:47]
	s_cbranch_vccz .LBB102_290
; %bb.289:
	s_mov_b64 s[44:45], 0
	global_store_dwordx2 v[10:11], v[4:5], off
.LBB102_290:
	s_andn2_b64 vcc, exec, s[44:45]
	s_cbranch_vccnz .LBB102_292
; %bb.291:
	global_store_dword v[10:11], v4, off
.LBB102_292:
	s_mov_b64 s[44:45], 0
.LBB102_293:
	s_andn2_b64 vcc, exec, s[44:45]
	s_cbranch_vccnz .LBB102_295
; %bb.294:
	global_store_short v[10:11], v12, off
.LBB102_295:
	s_mov_b64 s[44:45], 0
.LBB102_296:
	s_andn2_b64 vcc, exec, s[44:45]
	s_cbranch_vccnz .LBB102_301
; %bb.297:
	v_mov_b32_e32 v2, 0
	v_cmp_gt_i16_sdwa s[46:47], s33, v2 src0_sel:BYTE_0 src1_sel:DWORD
	s_mov_b64 s[44:45], -1
	s_and_b64 vcc, exec, s[46:47]
	s_cbranch_vccz .LBB102_299
; %bb.298:
	s_mov_b64 s[44:45], 0
	global_store_byte v[10:11], v12, off
.LBB102_299:
	s_andn2_b64 vcc, exec, s[44:45]
	s_cbranch_vccnz .LBB102_301
; %bb.300:
	global_store_byte v[10:11], v4, off
.LBB102_301:
	s_mov_b64 s[44:45], -1
.LBB102_302:
	s_andn2_b64 vcc, exec, s[44:45]
	s_cbranch_vccnz .LBB102_304
; %bb.303:
	v_add_u32_e32 v20, 0x80, v20
	s_mov_b64 s[44:45], -1
	s_branch .LBB102_305
.LBB102_304:
	s_mov_b64 s[44:45], 0
                                        ; implicit-def: $vgpr20
.LBB102_305:
	s_andn2_b64 s[46:47], s[36:37], exec
	s_and_b64 s[42:43], s[42:43], exec
	s_or_b64 s[42:43], s[46:47], s[42:43]
	s_orn2_b64 s[46:47], s[44:45], exec
.LBB102_306:
	s_or_b64 exec, exec, s[40:41]
	s_mov_b64 s[44:45], 0
	s_mov_b64 s[50:51], 0
                                        ; implicit-def: $vgpr21
                                        ; implicit-def: $vgpr10_vgpr11
	s_and_saveexec_b64 s[40:41], s[46:47]
	s_cbranch_execz .LBB102_362
; %bb.307:
	v_cmp_gt_i32_e32 vcc, s48, v20
	s_mov_b64 s[48:49], 0
	s_mov_b64 s[46:47], s[42:43]
                                        ; implicit-def: $vgpr21
                                        ; implicit-def: $vgpr10_vgpr11
	s_and_saveexec_b64 s[44:45], vcc
	s_cbranch_execz .LBB102_361
; %bb.308:
	v_mul_lo_u32 v2, v20, s10
	v_ashrrev_i32_e32 v3, 31, v2
	v_mov_b32_e32 v7, s9
	v_add_co_u32_e32 v10, vcc, s8, v2
	v_mov_b32_e32 v2, 0xff
	v_addc_co_u32_e32 v11, vcc, v7, v3, vcc
	v_and_b32_e32 v21, s33, v2
	v_cmp_gt_i16_e32 vcc, 11, v21
	s_cbranch_vccnz .LBB102_358
; %bb.309:
	v_cmp_lt_i16_e32 vcc, 25, v21
	s_mov_b64 s[48:49], -1
	s_mov_b64 s[46:47], s[42:43]
	s_cbranch_vccz .LBB102_337
; %bb.310:
	v_cmp_lt_i16_e32 vcc, 28, v21
	s_mov_b64 s[46:47], s[42:43]
	s_cbranch_vccz .LBB102_324
; %bb.311:
	v_cmp_lt_i16_e32 vcc, 43, v21
	;; [unrolled: 4-line block ×3, first 2 shown]
	s_mov_b64 s[46:47], s[42:43]
	s_cbranch_vccz .LBB102_316
; %bb.313:
	v_cmp_eq_u16_e32 vcc, 46, v21
	s_mov_b64 s[46:47], -1
	s_cbranch_vccz .LBB102_315
; %bb.314:
	global_store_dword v[10:11], v15, off
	s_mov_b64 s[46:47], 0
.LBB102_315:
	s_mov_b64 s[48:49], 0
.LBB102_316:
	s_and_b64 vcc, exec, s[48:49]
	s_cbranch_vccz .LBB102_319
; %bb.317:
	v_cmp_eq_u16_e32 vcc, 44, v21
	s_mov_b64 s[46:47], -1
	s_cbranch_vccz .LBB102_319
; %bb.318:
	v_mov_b32_e32 v2, 0xff
	v_cndmask_b32_e64 v2, v19, v2, s[4:5]
	global_store_byte v[10:11], v2, off
	s_mov_b64 s[46:47], 0
.LBB102_319:
	s_mov_b64 s[48:49], 0
.LBB102_320:
	s_and_b64 vcc, exec, s[48:49]
	s_cbranch_vccz .LBB102_323
; %bb.321:
	v_cmp_eq_u16_e32 vcc, 29, v21
	s_mov_b64 s[46:47], -1
	s_cbranch_vccz .LBB102_323
; %bb.322:
	global_store_dwordx2 v[10:11], v[8:9], off
	s_mov_b64 s[46:47], 0
.LBB102_323:
	s_mov_b64 s[48:49], 0
.LBB102_324:
	s_and_b64 vcc, exec, s[48:49]
	s_cbranch_vccz .LBB102_336
; %bb.325:
	v_cmp_gt_i16_e32 vcc, 27, v21
	s_mov_b64 s[4:5], -1
	s_cbranch_vccnz .LBB102_331
; %bb.326:
	v_cmp_lt_i16_e32 vcc, 27, v21
	s_cbranch_vccz .LBB102_328
; %bb.327:
	s_mov_b64 s[4:5], 0
	global_store_dword v[10:11], v8, off
.LBB102_328:
	s_andn2_b64 vcc, exec, s[4:5]
	s_cbranch_vccnz .LBB102_330
; %bb.329:
	global_store_short v[10:11], v18, off
.LBB102_330:
	s_mov_b64 s[4:5], 0
.LBB102_331:
	s_andn2_b64 vcc, exec, s[4:5]
	s_cbranch_vccnz .LBB102_336
; %bb.332:
	s_andn2_b64 vcc, exec, s[26:27]
	v_mov_b32_e32 v2, 0x80
	s_cbranch_vccnz .LBB102_335
; %bb.333:
	s_or_b64 s[4:5], s[2:3], s[28:29]
	s_andn2_b64 vcc, exec, s[4:5]
	v_mov_b32_e32 v2, 0
	s_cbranch_vccnz .LBB102_335
; %bb.334:
	v_mov_b32_e32 v2, s60
	v_cndmask_b32_e64 v2, v17, v2, s[2:3]
	v_or_b32_e32 v2, v2, v14
.LBB102_335:
	global_store_byte v[10:11], v2, off
.LBB102_336:
	s_mov_b64 s[48:49], 0
.LBB102_337:
	s_mov_b64 s[2:3], 0
	s_and_b64 vcc, exec, s[48:49]
	s_cbranch_vccz .LBB102_359
; %bb.338:
	v_cmp_lt_i16_e32 vcc, 22, v21
	s_mov_b64 s[4:5], -1
	s_cbranch_vccz .LBB102_351
; %bb.339:
	v_cmp_gt_i16_e32 vcc, 24, v21
	s_cbranch_vccnz .LBB102_348
; %bb.340:
	v_cmp_lt_i16_e32 vcc, 24, v21
	s_cbranch_vccz .LBB102_345
; %bb.341:
	s_andn2_b64 vcc, exec, s[22:23]
	v_mov_b32_e32 v2, 0x80
	s_cbranch_vccnz .LBB102_344
; %bb.342:
	s_or_b64 s[4:5], s[0:1], s[24:25]
	s_andn2_b64 vcc, exec, s[4:5]
	v_mov_b32_e32 v2, 0
	s_cbranch_vccnz .LBB102_344
; %bb.343:
	v_mov_b32_e32 v2, s58
	v_cndmask_b32_e64 v2, v16, v2, s[0:1]
	v_or_b32_e32 v2, v2, v14
.LBB102_344:
	s_mov_b64 s[4:5], 0
	global_store_byte v[10:11], v2, off
.LBB102_345:
	s_and_b64 vcc, exec, s[4:5]
	s_cbranch_vccz .LBB102_347
; %bb.346:
	s_and_b64 s[0:1], s[20:21], exec
	s_cselect_b32 s4, s57, s56
	s_and_b64 s[0:1], s[18:19], exec
	s_cselect_b32 s0, s59, s4
	v_or_b32_e32 v2, s0, v14
	global_store_byte v[10:11], v2, off
.LBB102_347:
	s_mov_b64 s[4:5], 0
.LBB102_348:
	s_andn2_b64 vcc, exec, s[4:5]
	s_cbranch_vccnz .LBB102_350
; %bb.349:
	s_and_b64 s[0:1], s[16:17], exec
	s_cselect_b32 s4, s54, s53
	s_and_b64 s[0:1], s[14:15], exec
	s_cselect_b32 s0, s55, s4
	v_or_b32_e32 v2, s0, v14
	global_store_byte v[10:11], v2, off
.LBB102_350:
	s_mov_b64 s[4:5], 0
.LBB102_351:
	s_andn2_b64 vcc, exec, s[4:5]
	s_mov_b64 s[0:1], 0
	s_cbranch_vccnz .LBB102_360
; %bb.352:
	v_cmp_lt_i16_e32 vcc, 14, v21
	s_mov_b64 s[4:5], -1
	s_cbranch_vccz .LBB102_356
; %bb.353:
	v_cmp_eq_u16_e32 vcc, 15, v21
	s_mov_b64 s[46:47], -1
	s_cbranch_vccz .LBB102_355
; %bb.354:
	global_store_short v[10:11], v15, off
	s_mov_b64 s[46:47], 0
.LBB102_355:
	s_mov_b64 s[4:5], 0
.LBB102_356:
	s_and_b64 vcc, exec, s[4:5]
	s_cbranch_vccz .LBB102_360
; %bb.357:
	v_cmp_ne_u16_e32 vcc, 11, v21
	s_andn2_b64 s[4:5], s[46:47], exec
	s_and_b64 s[14:15], vcc, exec
	s_mov_b64 s[0:1], -1
	s_or_b64 s[46:47], s[4:5], s[14:15]
	s_branch .LBB102_360
.LBB102_358:
	s_mov_b64 s[0:1], 0
	s_mov_b64 s[2:3], -1
	s_mov_b64 s[46:47], s[42:43]
	s_branch .LBB102_360
.LBB102_359:
	s_mov_b64 s[0:1], 0
.LBB102_360:
	s_and_b64 s[50:51], s[2:3], exec
	s_and_b64 s[48:49], s[0:1], exec
	s_andn2_b64 s[0:1], s[42:43], exec
	s_and_b64 s[2:3], s[46:47], exec
	s_or_b64 s[46:47], s[0:1], s[2:3]
.LBB102_361:
	s_or_b64 exec, exec, s[44:45]
	s_andn2_b64 s[0:1], s[42:43], exec
	s_and_b64 s[2:3], s[46:47], exec
	s_and_b64 s[50:51], s[50:51], exec
	;; [unrolled: 1-line block ×3, first 2 shown]
	s_or_b64 s[42:43], s[0:1], s[2:3]
.LBB102_362:
	s_or_b64 exec, exec, s[40:41]
	s_andn2_b64 s[0:1], s[36:37], exec
	s_and_b64 s[2:3], s[42:43], exec
	s_and_b64 s[40:41], s[50:51], exec
	;; [unrolled: 1-line block ×3, first 2 shown]
	s_or_b64 s[36:37], s[0:1], s[2:3]
.LBB102_363:
	s_or_b64 exec, exec, s[38:39]
	s_andn2_b64 s[0:1], s[30:31], exec
	s_and_b64 s[2:3], s[36:37], exec
	s_and_b64 s[40:41], s[40:41], exec
	;; [unrolled: 1-line block ×3, first 2 shown]
	s_or_b64 s[30:31], s[0:1], s[2:3]
	s_or_b64 exec, exec, s[34:35]
	s_mov_b64 s[0:1], 0
	s_and_saveexec_b64 s[2:3], s[30:31]
	s_cbranch_execz .LBB102_110
.LBB102_364:
	s_mov_b64 s[0:1], exec
	s_andn2_b64 s[38:39], s[38:39], exec
	s_trap 2
	s_or_b64 exec, exec, s[2:3]
	s_and_saveexec_b64 s[2:3], s[38:39]
	s_xor_b64 s[2:3], exec, s[2:3]
	s_cbranch_execnz .LBB102_111
.LBB102_365:
	s_or_b64 exec, exec, s[2:3]
	s_and_saveexec_b64 s[2:3], s[40:41]
	s_xor_b64 s[2:3], exec, s[2:3]
	s_cbranch_execz .LBB102_403
.LBB102_366:
	v_cmp_gt_i16_e32 vcc, 5, v21
	s_mov_b64 s[4:5], -1
	s_cbranch_vccnz .LBB102_387
; %bb.367:
	v_cmp_gt_i16_e32 vcc, 8, v21
	s_cbranch_vccnz .LBB102_377
; %bb.368:
	v_cmp_gt_i16_e32 vcc, 9, v21
	s_cbranch_vccnz .LBB102_374
; %bb.369:
	v_cmp_lt_i16_e32 vcc, 9, v21
	s_cbranch_vccz .LBB102_371
; %bb.370:
	v_mov_b32_e32 v2, 0
	v_mov_b32_e32 v3, v2
	s_mov_b64 s[4:5], 0
	global_store_dwordx4 v[10:11], v[0:3], off
.LBB102_371:
	s_andn2_b64 vcc, exec, s[4:5]
	s_cbranch_vccnz .LBB102_373
; %bb.372:
	v_mov_b32_e32 v7, 0
	global_store_dwordx2 v[10:11], v[6:7], off
.LBB102_373:
	s_mov_b64 s[4:5], 0
.LBB102_374:
	s_andn2_b64 vcc, exec, s[4:5]
	s_cbranch_vccnz .LBB102_376
; %bb.375:
	v_mov_b32_e32 v2, s52
	global_store_dword v[10:11], v2, off
.LBB102_376:
	s_mov_b64 s[4:5], 0
.LBB102_377:
	s_andn2_b64 vcc, exec, s[4:5]
	s_cbranch_vccnz .LBB102_386
; %bb.378:
	v_cmp_gt_i16_e32 vcc, 6, v21
	s_mov_b64 s[4:5], -1
	s_cbranch_vccnz .LBB102_384
; %bb.379:
	v_cmp_lt_i16_e32 vcc, 6, v21
	s_cbranch_vccz .LBB102_381
; %bb.380:
	s_mov_b64 s[4:5], 0
	global_store_dwordx2 v[10:11], v[0:1], off
.LBB102_381:
	s_andn2_b64 vcc, exec, s[4:5]
	s_cbranch_vccnz .LBB102_383
; %bb.382:
	global_store_dword v[10:11], v6, off
.LBB102_383:
	s_mov_b64 s[4:5], 0
.LBB102_384:
	s_andn2_b64 vcc, exec, s[4:5]
	s_cbranch_vccnz .LBB102_386
; %bb.385:
	v_mov_b32_e32 v0, s11
	global_store_short v[10:11], v0, off
.LBB102_386:
	s_mov_b64 s[4:5], 0
.LBB102_387:
	s_andn2_b64 vcc, exec, s[4:5]
	s_cbranch_vccnz .LBB102_403
; %bb.388:
	v_cmp_gt_i16_e32 vcc, 2, v21
	s_mov_b64 s[4:5], -1
	s_cbranch_vccnz .LBB102_398
; %bb.389:
	v_cmp_gt_i16_e32 vcc, 3, v21
	s_cbranch_vccnz .LBB102_395
; %bb.390:
	v_cmp_lt_i16_e32 vcc, 3, v21
	s_cbranch_vccz .LBB102_392
; %bb.391:
	s_mov_b64 s[4:5], 0
	global_store_dwordx2 v[10:11], v[4:5], off
.LBB102_392:
	s_andn2_b64 vcc, exec, s[4:5]
	s_cbranch_vccnz .LBB102_394
; %bb.393:
	global_store_dword v[10:11], v4, off
.LBB102_394:
	s_mov_b64 s[4:5], 0
.LBB102_395:
	s_andn2_b64 vcc, exec, s[4:5]
	s_cbranch_vccnz .LBB102_397
; %bb.396:
	global_store_short v[10:11], v12, off
.LBB102_397:
	s_mov_b64 s[4:5], 0
.LBB102_398:
	s_andn2_b64 vcc, exec, s[4:5]
	s_cbranch_vccnz .LBB102_403
; %bb.399:
	v_cmp_lt_i16_e32 vcc, 0, v21
	s_mov_b64 s[4:5], -1
	s_cbranch_vccz .LBB102_401
; %bb.400:
	s_mov_b64 s[4:5], 0
	global_store_byte v[10:11], v12, off
.LBB102_401:
	s_andn2_b64 vcc, exec, s[4:5]
	s_cbranch_vccnz .LBB102_403
; %bb.402:
	global_store_byte v[10:11], v4, off
.LBB102_403:
	s_or_b64 exec, exec, s[2:3]
	s_and_b64 s[0:1], s[0:1], exec
                                        ; implicit-def: $vgpr20
.LBB102_404:
	s_or_saveexec_b64 s[2:3], s[12:13]
	s_mov_b64 s[12:13], 0
                                        ; implicit-def: $vgpr2
                                        ; implicit-def: $vgpr0_vgpr1
	s_xor_b64 exec, exec, s[2:3]
	s_cbranch_execz .LBB102_412
; %bb.405:
	v_mul_lo_u32 v2, s10, v20
	v_ashrrev_i32_e32 v1, 31, v2
	v_mov_b32_e32 v3, s9
	v_add_co_u32_e32 v0, vcc, s8, v2
	v_addc_co_u32_e32 v1, vcc, v3, v1, vcc
	v_mov_b32_e32 v3, 11
	v_cmp_lt_i16_sdwa s[4:5], s33, v3 src0_sel:BYTE_0 src1_sel:DWORD
	s_and_b64 vcc, exec, s[4:5]
	s_cbranch_vccnz .LBB102_415
; %bb.406:
	v_mov_b32_e32 v3, 25
	v_cmp_gt_i16_sdwa s[4:5], s33, v3 src0_sel:BYTE_0 src1_sel:DWORD
	s_mov_b64 s[14:15], -1
	s_and_b64 vcc, exec, s[4:5]
	s_mov_b64 s[4:5], 0
	s_cbranch_vccz .LBB102_448
; %bb.407:
	v_mov_b32_e32 v3, 28
	v_cmp_gt_i16_sdwa s[4:5], s33, v3 src0_sel:BYTE_0 src1_sel:DWORD
	s_and_b64 vcc, exec, s[4:5]
	s_cbranch_vccz .LBB102_417
; %bb.408:
	v_mov_b32_e32 v3, 43
	v_cmp_gt_i16_sdwa s[4:5], s33, v3 src0_sel:BYTE_0 src1_sel:DWORD
	s_and_b64 vcc, exec, s[4:5]
	;; [unrolled: 5-line block ×3, first 2 shown]
	s_cbranch_vccz .LBB102_419
; %bb.410:
	v_mov_b32_e32 v3, 46
	v_cmp_eq_u16_sdwa s[12:13], s33, v3 src0_sel:BYTE_0 src1_sel:DWORD
	s_mov_b64 s[4:5], -1
	s_mov_b64 s[14:15], 0
	s_and_b64 vcc, exec, s[12:13]
	s_mov_b64 s[12:13], 0
	s_cbranch_vccz .LBB102_420
; %bb.411:
	v_cvt_f32_f16_e32 v3, s11
	v_mov_b32_e32 v4, 0x7fc0
	v_cmp_o_f16_e64 vcc, s11, s11
	s_mov_b64 s[4:5], 0
	v_bfe_u32 v5, v3, 16, 1
	v_add_u32_e32 v3, v3, v5
	v_add_u32_e32 v3, 0x7fff, v3
	v_lshrrev_b32_e32 v3, 16, v3
	v_cndmask_b32_e32 v3, v4, v3, vcc
	global_store_dword v[0:1], v3, off
	s_mov_b64 s[12:13], -1
	s_branch .LBB102_420
.LBB102_412:
	s_or_b64 exec, exec, s[2:3]
	s_and_saveexec_b64 s[2:3], s[0:1]
	s_cbranch_execz .LBB102_842
.LBB102_413:
	; divergent unreachable
	s_or_b64 exec, exec, s[2:3]
	s_and_saveexec_b64 s[0:1], s[6:7]
	s_xor_b64 s[0:1], exec, s[0:1]
	s_cbranch_execnz .LBB102_843
.LBB102_414:
	s_or_b64 exec, exec, s[0:1]
	s_and_saveexec_b64 s[0:1], s[12:13]
	s_cbranch_execnz .LBB102_844
	s_branch .LBB102_881
.LBB102_415:
	s_mov_b64 s[4:5], s[0:1]
	s_cbranch_execnz .LBB102_498
.LBB102_416:
	s_andn2_b64 vcc, exec, s[12:13]
	s_cbranch_vccz .LBB102_536
	s_branch .LBB102_840
.LBB102_417:
	s_mov_b64 s[4:5], 0
	s_branch .LBB102_429
.LBB102_418:
	s_mov_b64 s[4:5], 0
	s_and_b64 vcc, exec, s[14:15]
	s_cbranch_vccnz .LBB102_426
	s_branch .LBB102_428
.LBB102_419:
	s_mov_b64 s[4:5], 0
.LBB102_420:
	s_and_b64 vcc, exec, s[14:15]
	s_cbranch_vccz .LBB102_425
; %bb.421:
	v_mov_b32_e32 v3, 44
	v_cmp_eq_u16_sdwa s[14:15], s33, v3 src0_sel:BYTE_0 src1_sel:DWORD
	s_mov_b64 s[4:5], -1
	s_and_b64 vcc, exec, s[14:15]
	s_cbranch_vccz .LBB102_425
; %bb.422:
	v_cvt_f32_f16_e32 v3, s11
	v_mov_b32_e32 v4, 0xff
	v_readfirstlane_b32 s4, v3
	s_bfe_u32 s5, s4, 0x80017
	s_cmpk_eq_i32 s5, 0xff
	s_cbranch_scc1 .LBB102_424
; %bb.423:
	s_bitcmp1_b32 s4, 22
	s_cselect_b64 s[12:13], -1, 0
	s_and_b32 s4, s4, 0x3fffff
	s_or_b32 s4, s5, s4
	s_cmp_lg_u32 s4, 0
	s_cselect_b64 s[4:5], -1, 0
	s_and_b64 s[4:5], s[12:13], s[4:5]
	v_lshrrev_b32_e32 v3, 23, v3
	v_cndmask_b32_e64 v4, 0, 1, s[4:5]
	v_add_u32_e32 v4, v3, v4
.LBB102_424:
	s_mov_b64 s[4:5], 0
	s_mov_b64 s[12:13], -1
	global_store_byte v[0:1], v4, off
.LBB102_425:
	s_branch .LBB102_428
.LBB102_426:
	v_mov_b32_e32 v3, 29
	v_cmp_eq_u16_sdwa s[14:15], s33, v3 src0_sel:BYTE_0 src1_sel:DWORD
	s_mov_b64 s[4:5], -1
	s_and_b64 vcc, exec, s[14:15]
	s_cbranch_vccz .LBB102_428
; %bb.427:
	v_cvt_f32_f16_e32 v3, s11
	v_mov_b32_e32 v5, 0
	s_mov_b64 s[4:5], 0
	s_mov_b64 s[12:13], -1
	v_cvt_u32_f32_e32 v4, v3
	s_mov_b64 s[14:15], 0
	global_store_dwordx2 v[0:1], v[4:5], off
	s_branch .LBB102_429
.LBB102_428:
	s_mov_b64 s[14:15], 0
.LBB102_429:
	s_and_b64 vcc, exec, s[14:15]
	s_cbranch_vccz .LBB102_447
; %bb.430:
	v_mov_b32_e32 v3, 27
	v_cmp_lt_i16_sdwa s[14:15], s33, v3 src0_sel:BYTE_0 src1_sel:DWORD
	s_mov_b64 s[12:13], -1
	s_and_b64 vcc, exec, s[14:15]
	s_cbranch_vccnz .LBB102_436
; %bb.431:
	v_cmp_gt_i16_sdwa s[14:15], s33, v3 src0_sel:BYTE_0 src1_sel:DWORD
	s_and_b64 vcc, exec, s[14:15]
	s_cbranch_vccz .LBB102_433
; %bb.432:
	v_cvt_f32_f16_e32 v3, s11
	s_mov_b64 s[12:13], 0
	v_cvt_u32_f32_e32 v3, v3
	global_store_dword v[0:1], v3, off
.LBB102_433:
	s_andn2_b64 vcc, exec, s[12:13]
	s_cbranch_vccnz .LBB102_435
; %bb.434:
	v_cvt_u16_f16_e32 v3, s11
	global_store_short v[0:1], v3, off
.LBB102_435:
	s_mov_b64 s[12:13], 0
.LBB102_436:
	s_andn2_b64 vcc, exec, s[12:13]
	s_cbranch_vccnz .LBB102_446
; %bb.437:
	v_cvt_f32_f16_e32 v3, s11
	v_mov_b32_e32 v4, 0x80
	v_readfirstlane_b32 s16, v3
	s_and_b32 s12, s16, 0x7fffffff
	s_cmp_gt_u32 s12, 0x437fffff
	s_cbranch_scc1 .LBB102_445
; %bb.438:
	s_cmp_gt_u32 s12, 0x3bffffff
	s_cbranch_scc0 .LBB102_440
; %bb.439:
	s_bfe_u32 s12, s16, 0x10014
	s_add_i32 s12, s16, s12
	s_add_i32 s12, s12, 0x487ffff
	s_lshr_b32 s17, s12, 20
	s_mov_b64 s[14:15], 0
	s_mov_b64 s[12:13], -1
	s_branch .LBB102_441
.LBB102_440:
	s_mov_b64 s[14:15], -1
	s_mov_b64 s[12:13], 0
                                        ; implicit-def: $sgpr17
.LBB102_441:
	s_andn2_b64 vcc, exec, s[14:15]
	v_mov_b32_e32 v3, s17
                                        ; implicit-def: $sgpr14
	s_cbranch_vccnz .LBB102_443
; %bb.442:
	v_mov_b32_e32 v3, 0x46000000
	v_add_f32_e64 v3, |s16|, v3
	v_and_b32_e32 v3, 0xff, v3
	s_mov_b32 s14, 0
	v_cmp_ne_u32_e64 s[12:13], 0, v3
.LBB102_443:
	s_andn2_b64 vcc, exec, s[12:13]
	v_mov_b32_e32 v4, s14
	s_cbranch_vccnz .LBB102_445
; %bb.444:
	s_lshr_b32 s12, s16, 24
	s_and_b32 s12, s12, 0x80
	v_or_b32_e32 v4, s12, v3
.LBB102_445:
	global_store_byte v[0:1], v4, off
.LBB102_446:
	s_mov_b64 s[12:13], -1
.LBB102_447:
	s_mov_b64 s[14:15], 0
.LBB102_448:
	s_and_b64 vcc, exec, s[14:15]
	s_cbranch_vccz .LBB102_494
; %bb.449:
	v_mov_b32_e32 v3, 22
	v_cmp_gt_i16_sdwa s[14:15], s33, v3 src0_sel:BYTE_0 src1_sel:DWORD
	s_mov_b64 s[6:7], -1
	s_and_b64 vcc, exec, s[14:15]
	s_cbranch_vccz .LBB102_487
; %bb.450:
	v_mov_b32_e32 v3, 24
	v_cmp_lt_i16_sdwa s[12:13], s33, v3 src0_sel:BYTE_0 src1_sel:DWORD
	s_and_b64 vcc, exec, s[12:13]
	s_cbranch_vccnz .LBB102_474
; %bb.451:
	v_cmp_gt_i16_sdwa s[12:13], s33, v3 src0_sel:BYTE_0 src1_sel:DWORD
	s_and_b64 vcc, exec, s[12:13]
	s_cbranch_vccz .LBB102_461
; %bb.452:
	v_cvt_f32_f16_e32 v3, s11
	v_mov_b32_e32 v4, 0x80
	v_readfirstlane_b32 s14, v3
	s_and_b32 s6, s14, 0x7fffffff
	s_cmp_gt_u32 s6, 0x477fffff
	s_cbranch_scc1 .LBB102_460
; %bb.453:
	s_cmp_gt_u32 s6, 0x37ffffff
	s_cbranch_scc0 .LBB102_455
; %bb.454:
	s_bfe_u32 s6, s14, 0x10015
	s_add_i32 s6, s14, s6
	s_add_i32 s6, s6, 0x88fffff
	s_lshr_b32 s15, s6, 21
	s_mov_b64 s[12:13], 0
	s_mov_b64 s[6:7], -1
	s_branch .LBB102_456
.LBB102_455:
	s_mov_b64 s[12:13], -1
	s_mov_b64 s[6:7], 0
                                        ; implicit-def: $sgpr15
.LBB102_456:
	s_andn2_b64 vcc, exec, s[12:13]
	v_mov_b32_e32 v3, s15
                                        ; implicit-def: $sgpr12
	s_cbranch_vccnz .LBB102_458
; %bb.457:
	v_mov_b32_e32 v3, 0x42800000
	v_add_f32_e64 v3, |s14|, v3
	v_and_b32_e32 v3, 0xff, v3
	s_mov_b32 s12, 0
	v_cmp_ne_u32_e64 s[6:7], 0, v3
.LBB102_458:
	s_andn2_b64 vcc, exec, s[6:7]
	v_mov_b32_e32 v4, s12
	s_cbranch_vccnz .LBB102_460
; %bb.459:
	s_lshr_b32 s6, s14, 24
	s_and_b32 s6, s6, 0x80
	v_or_b32_e32 v4, s6, v3
.LBB102_460:
	s_mov_b64 s[6:7], 0
	global_store_byte v[0:1], v4, off
.LBB102_461:
	s_and_b64 vcc, exec, s[6:7]
	s_cbranch_vccz .LBB102_473
; %bb.462:
	v_cvt_f32_f16_e32 v3, s11
	v_readfirstlane_b32 s12, v3
	s_and_b32 s13, s12, 0x7fffffff
	s_cmp_lt_u32 s13, 0x43f00000
	s_cbranch_scc0 .LBB102_465
; %bb.463:
	s_cmp_gt_u32 s13, 0x3c7fffff
	s_cbranch_scc0 .LBB102_466
; %bb.464:
	s_bfe_u32 s6, s12, 0x10014
	s_add_i32 s6, s12, s6
	s_add_i32 s6, s6, 0x407ffff
	s_lshr_b32 s7, s6, 20
	s_and_b32 s6, s6, 0xff00000
	s_cmp_lg_u32 s6, 0x7f00000
	s_cselect_b32 s14, s7, 0x7e
	s_mov_b64 s[6:7], 0
	s_branch .LBB102_467
.LBB102_465:
	s_mov_b64 s[6:7], -1
                                        ; implicit-def: $vgpr4
	s_branch .LBB102_470
.LBB102_466:
	s_mov_b64 s[6:7], -1
                                        ; implicit-def: $sgpr14
.LBB102_467:
	s_andn2_b64 vcc, exec, s[6:7]
	v_mov_b32_e32 v4, s14
	s_cbranch_vccnz .LBB102_469
; %bb.468:
	s_mov_b32 s6, 0x46800000
	v_add_f32_e64 v4, |v3|, s6
.LBB102_469:
	s_mov_b64 s[6:7], 0
.LBB102_470:
	s_andn2_b64 vcc, exec, s[6:7]
	s_cbranch_vccnz .LBB102_472
; %bb.471:
	s_cmp_gt_u32 s13, 0x7f800000
	s_movk_i32 s6, 0x7f
	s_cselect_b32 s6, s6, 0x7e
	v_mov_b32_e32 v4, s6
.LBB102_472:
	s_lshr_b32 s6, s12, 24
	s_and_b32 s6, s6, 0x80
	v_or_b32_e32 v3, s6, v4
	global_store_byte v[0:1], v3, off
.LBB102_473:
	s_mov_b64 s[6:7], 0
.LBB102_474:
	s_andn2_b64 vcc, exec, s[6:7]
	s_cbranch_vccnz .LBB102_486
; %bb.475:
	v_cvt_f32_f16_e32 v3, s11
	v_readfirstlane_b32 s12, v3
	s_and_b32 s13, s12, 0x7fffffff
	s_cmp_lt_u32 s13, 0x47800000
	s_cbranch_scc0 .LBB102_478
; %bb.476:
	s_cmp_gt_u32 s13, 0x387fffff
	s_cbranch_scc0 .LBB102_479
; %bb.477:
	s_bfe_u32 s6, s12, 0x10015
	s_add_i32 s6, s12, s6
	s_add_i32 s6, s6, 0x80fffff
	s_lshr_b32 s14, s6, 21
	s_mov_b64 s[6:7], 0
	s_branch .LBB102_480
.LBB102_478:
	s_mov_b64 s[6:7], -1
                                        ; implicit-def: $vgpr4
	s_branch .LBB102_483
.LBB102_479:
	s_mov_b64 s[6:7], -1
                                        ; implicit-def: $sgpr14
.LBB102_480:
	s_andn2_b64 vcc, exec, s[6:7]
	v_mov_b32_e32 v4, s14
	s_cbranch_vccnz .LBB102_482
; %bb.481:
	s_mov_b32 s6, 0x43000000
	v_add_f32_e64 v4, |v3|, s6
.LBB102_482:
	s_mov_b64 s[6:7], 0
.LBB102_483:
	s_andn2_b64 vcc, exec, s[6:7]
	s_cbranch_vccnz .LBB102_485
; %bb.484:
	s_cmp_gt_u32 s13, 0x7f800000
	s_movk_i32 s6, 0x7f
	s_cselect_b32 s6, s6, 0x7c
	v_mov_b32_e32 v4, s6
.LBB102_485:
	s_lshr_b32 s6, s12, 24
	s_and_b32 s6, s6, 0x80
	v_or_b32_e32 v3, s6, v4
	global_store_byte v[0:1], v3, off
.LBB102_486:
	s_mov_b64 s[6:7], 0
	s_mov_b64 s[12:13], -1
.LBB102_487:
	s_andn2_b64 vcc, exec, s[6:7]
	s_mov_b64 s[6:7], 0
	s_cbranch_vccnz .LBB102_494
; %bb.488:
	v_mov_b32_e32 v3, 14
	v_cmp_gt_i16_sdwa s[6:7], s33, v3 src0_sel:BYTE_0 src1_sel:DWORD
	s_mov_b64 s[14:15], -1
	s_and_b64 vcc, exec, s[6:7]
	s_cbranch_vccz .LBB102_492
; %bb.489:
	v_mov_b32_e32 v3, 15
	v_cmp_eq_u16_sdwa s[6:7], s33, v3 src0_sel:BYTE_0 src1_sel:DWORD
	s_mov_b64 s[4:5], -1
	s_and_b64 vcc, exec, s[6:7]
	s_cbranch_vccz .LBB102_491
; %bb.490:
	v_cvt_f32_f16_e32 v3, s11
	v_mov_b32_e32 v4, 0x7fc0
	v_cmp_o_f16_e64 vcc, s11, s11
	s_mov_b64 s[4:5], 0
	v_bfe_u32 v5, v3, 16, 1
	v_add_u32_e32 v3, v3, v5
	v_add_u32_e32 v3, 0x7fff, v3
	v_lshrrev_b32_e32 v3, 16, v3
	v_cndmask_b32_e32 v3, v4, v3, vcc
	global_store_short v[0:1], v3, off
	s_mov_b64 s[12:13], -1
.LBB102_491:
	s_mov_b64 s[14:15], 0
.LBB102_492:
	s_mov_b64 s[6:7], 0
	s_and_b64 vcc, exec, s[14:15]
	s_cbranch_vccz .LBB102_494
; %bb.493:
	v_mov_b32_e32 v3, 11
	v_cmp_ne_u16_sdwa s[4:5], s33, v3 src0_sel:BYTE_0 src1_sel:DWORD
	s_mov_b64 s[6:7], -1
.LBB102_494:
	s_and_b64 vcc, exec, s[4:5]
	s_mov_b64 s[4:5], s[0:1]
	s_cbranch_vccnz .LBB102_547
; %bb.495:
	s_andn2_b64 vcc, exec, s[6:7]
	s_cbranch_vccnz .LBB102_497
.LBB102_496:
	v_mov_b32_e32 v3, 0x7fff
	v_and_b32_e32 v3, s11, v3
	v_cmp_ne_u16_e32 vcc, 0, v3
	v_cndmask_b32_e64 v3, 0, 1, vcc
	s_mov_b64 s[12:13], -1
	global_store_byte v[0:1], v3, off
.LBB102_497:
	s_branch .LBB102_416
.LBB102_498:
	v_mov_b32_e32 v3, 5
	v_cmp_lt_i16_sdwa s[12:13], s33, v3 src0_sel:BYTE_0 src1_sel:DWORD
	s_mov_b64 s[6:7], -1
	s_and_b64 vcc, exec, s[12:13]
	s_cbranch_vccnz .LBB102_519
; %bb.499:
	v_mov_b32_e32 v3, 8
	v_cmp_lt_i16_sdwa s[12:13], s33, v3 src0_sel:BYTE_0 src1_sel:DWORD
	s_and_b64 vcc, exec, s[12:13]
	s_cbranch_vccnz .LBB102_509
; %bb.500:
	v_mov_b32_e32 v3, 9
	v_cmp_lt_i16_sdwa s[12:13], s33, v3 src0_sel:BYTE_0 src1_sel:DWORD
	s_and_b64 vcc, exec, s[12:13]
	s_cbranch_vccnz .LBB102_506
; %bb.501:
	v_cmp_gt_i16_sdwa s[12:13], s33, v3 src0_sel:BYTE_0 src1_sel:DWORD
	s_and_b64 vcc, exec, s[12:13]
	s_cbranch_vccz .LBB102_503
; %bb.502:
	v_cvt_f32_f16_e32 v3, s11
	v_mov_b32_e32 v6, 0
	v_mov_b32_e32 v7, v6
	s_mov_b64 s[6:7], 0
	v_cvt_f64_f32_e32 v[4:5], v3
	global_store_dwordx4 v[0:1], v[4:7], off
.LBB102_503:
	s_andn2_b64 vcc, exec, s[6:7]
	s_cbranch_vccnz .LBB102_505
; %bb.504:
	v_cvt_f32_f16_e32 v4, s11
	v_mov_b32_e32 v5, 0
	global_store_dwordx2 v[0:1], v[4:5], off
.LBB102_505:
	s_mov_b64 s[6:7], 0
.LBB102_506:
	s_andn2_b64 vcc, exec, s[6:7]
	s_cbranch_vccnz .LBB102_508
; %bb.507:
	s_and_b32 s6, 0xffff, s11
	v_mov_b32_e32 v3, s6
	global_store_dword v[0:1], v3, off
.LBB102_508:
	s_mov_b64 s[6:7], 0
.LBB102_509:
	s_andn2_b64 vcc, exec, s[6:7]
	s_cbranch_vccnz .LBB102_518
; %bb.510:
	v_mov_b32_e32 v3, 6
	v_cmp_lt_i16_sdwa s[12:13], s33, v3 src0_sel:BYTE_0 src1_sel:DWORD
	s_mov_b64 s[6:7], -1
	s_and_b64 vcc, exec, s[12:13]
	s_cbranch_vccnz .LBB102_516
; %bb.511:
	v_cmp_gt_i16_sdwa s[12:13], s33, v3 src0_sel:BYTE_0 src1_sel:DWORD
	s_and_b64 vcc, exec, s[12:13]
	s_cbranch_vccz .LBB102_513
; %bb.512:
	v_cvt_f32_f16_e32 v3, s11
	s_mov_b64 s[6:7], 0
	v_cvt_f64_f32_e32 v[4:5], v3
	global_store_dwordx2 v[0:1], v[4:5], off
.LBB102_513:
	s_andn2_b64 vcc, exec, s[6:7]
	s_cbranch_vccnz .LBB102_515
; %bb.514:
	v_cvt_f32_f16_e32 v3, s11
	global_store_dword v[0:1], v3, off
.LBB102_515:
	s_mov_b64 s[6:7], 0
.LBB102_516:
	s_andn2_b64 vcc, exec, s[6:7]
	s_cbranch_vccnz .LBB102_518
; %bb.517:
	v_mov_b32_e32 v3, s11
	global_store_short v[0:1], v3, off
.LBB102_518:
	s_mov_b64 s[6:7], 0
.LBB102_519:
	s_andn2_b64 vcc, exec, s[6:7]
	s_cbranch_vccnz .LBB102_535
; %bb.520:
	v_mov_b32_e32 v3, 2
	v_cmp_lt_i16_sdwa s[12:13], s33, v3 src0_sel:BYTE_0 src1_sel:DWORD
	s_mov_b64 s[6:7], -1
	s_and_b64 vcc, exec, s[12:13]
	s_cbranch_vccnz .LBB102_530
; %bb.521:
	v_mov_b32_e32 v3, 3
	v_cmp_lt_i16_sdwa s[12:13], s33, v3 src0_sel:BYTE_0 src1_sel:DWORD
	s_and_b64 vcc, exec, s[12:13]
	s_cbranch_vccnz .LBB102_527
; %bb.522:
	v_cmp_gt_i16_sdwa s[12:13], s33, v3 src0_sel:BYTE_0 src1_sel:DWORD
	s_and_b64 vcc, exec, s[12:13]
	s_cbranch_vccz .LBB102_524
; %bb.523:
	v_cvt_f32_f16_e32 v3, s11
	s_mov_b64 s[6:7], 0
	v_cvt_i32_f32_e32 v4, v3
	v_ashrrev_i32_e32 v5, 31, v4
	global_store_dwordx2 v[0:1], v[4:5], off
.LBB102_524:
	s_andn2_b64 vcc, exec, s[6:7]
	s_cbranch_vccnz .LBB102_526
; %bb.525:
	v_cvt_f32_f16_e32 v3, s11
	v_cvt_i32_f32_e32 v3, v3
	global_store_dword v[0:1], v3, off
.LBB102_526:
	s_mov_b64 s[6:7], 0
.LBB102_527:
	s_andn2_b64 vcc, exec, s[6:7]
	s_cbranch_vccnz .LBB102_529
; %bb.528:
	v_cvt_i16_f16_e32 v3, s11
	global_store_short v[0:1], v3, off
.LBB102_529:
	s_mov_b64 s[6:7], 0
.LBB102_530:
	s_andn2_b64 vcc, exec, s[6:7]
	s_cbranch_vccnz .LBB102_535
; %bb.531:
	v_mov_b32_e32 v3, 0
	v_cmp_gt_i16_sdwa s[12:13], s33, v3 src0_sel:BYTE_0 src1_sel:DWORD
	s_mov_b64 s[6:7], -1
	s_and_b64 vcc, exec, s[12:13]
	s_cbranch_vccz .LBB102_533
; %bb.532:
	v_cvt_i16_f16_e32 v3, s11
	global_store_byte v[0:1], v3, off
	s_mov_b64 s[6:7], 0
.LBB102_533:
	s_andn2_b64 vcc, exec, s[6:7]
	s_cbranch_vccnz .LBB102_535
; %bb.534:
	v_cvt_f32_f16_e32 v3, s11
	v_cvt_i32_f32_e32 v3, v3
	global_store_byte v[0:1], v3, off
.LBB102_535:
.LBB102_536:
	s_lshl_b32 s10, s10, 7
	v_add_u32_e32 v2, s10, v2
	v_ashrrev_i32_e32 v1, 31, v2
	v_mov_b32_e32 v3, s9
	v_add_co_u32_e32 v0, vcc, s8, v2
	v_addc_co_u32_e32 v1, vcc, v3, v1, vcc
	v_mov_b32_e32 v3, 11
	v_cmp_lt_i16_sdwa s[6:7], s33, v3 src0_sel:BYTE_0 src1_sel:DWORD
	s_and_b64 vcc, exec, s[6:7]
	s_cbranch_vccnz .LBB102_543
; %bb.537:
	v_mov_b32_e32 v3, 25
	v_cmp_gt_i16_sdwa s[6:7], s33, v3 src0_sel:BYTE_0 src1_sel:DWORD
	s_mov_b64 s[16:17], -1
	s_mov_b64 s[12:13], 0
	s_and_b64 vcc, exec, s[6:7]
	s_mov_b64 s[14:15], 0
	s_mov_b64 s[6:7], 0
	s_cbranch_vccz .LBB102_578
; %bb.538:
	v_mov_b32_e32 v3, 28
	v_cmp_gt_i16_sdwa s[6:7], s33, v3 src0_sel:BYTE_0 src1_sel:DWORD
	s_and_b64 vcc, exec, s[6:7]
	s_cbranch_vccz .LBB102_545
; %bb.539:
	v_mov_b32_e32 v3, 43
	v_cmp_gt_i16_sdwa s[6:7], s33, v3 src0_sel:BYTE_0 src1_sel:DWORD
	s_and_b64 vcc, exec, s[6:7]
	;; [unrolled: 5-line block ×3, first 2 shown]
	s_cbranch_vccz .LBB102_548
; %bb.541:
	v_mov_b32_e32 v3, 46
	v_cmp_eq_u16_sdwa s[14:15], s33, v3 src0_sel:BYTE_0 src1_sel:DWORD
	s_mov_b64 s[6:7], -1
	s_mov_b64 s[16:17], 0
	s_and_b64 vcc, exec, s[14:15]
	s_mov_b64 s[14:15], 0
	s_cbranch_vccz .LBB102_549
; %bb.542:
	v_cvt_f32_f16_e32 v3, s11
	v_mov_b32_e32 v4, 0x7fc0
	v_cmp_o_f16_e64 vcc, s11, s11
	s_mov_b64 s[6:7], 0
	v_bfe_u32 v5, v3, 16, 1
	v_add_u32_e32 v3, v3, v5
	v_add_u32_e32 v3, 0x7fff, v3
	v_lshrrev_b32_e32 v3, 16, v3
	v_cndmask_b32_e32 v3, v4, v3, vcc
	global_store_dword v[0:1], v3, off
	s_mov_b64 s[14:15], -1
	s_branch .LBB102_549
.LBB102_543:
	s_mov_b64 s[14:15], 0
	s_cbranch_execnz .LBB102_628
.LBB102_544:
	s_andn2_b64 vcc, exec, s[14:15]
	s_cbranch_vccz .LBB102_666
	s_branch .LBB102_840
.LBB102_545:
	s_mov_b64 s[6:7], 0
	s_branch .LBB102_559
.LBB102_546:
	s_mov_b64 s[6:7], 0
	s_branch .LBB102_555
.LBB102_547:
	s_or_b64 s[4:5], s[0:1], exec
	s_trap 2
	s_cbranch_execz .LBB102_496
	s_branch .LBB102_497
.LBB102_548:
	s_mov_b64 s[6:7], 0
.LBB102_549:
	s_and_b64 vcc, exec, s[16:17]
	s_cbranch_vccz .LBB102_554
; %bb.550:
	v_mov_b32_e32 v3, 44
	v_cmp_eq_u16_sdwa s[16:17], s33, v3 src0_sel:BYTE_0 src1_sel:DWORD
	s_mov_b64 s[6:7], -1
	s_and_b64 vcc, exec, s[16:17]
	s_cbranch_vccz .LBB102_554
; %bb.551:
	v_cvt_f32_f16_e32 v3, s11
	v_mov_b32_e32 v4, 0xff
	v_readfirstlane_b32 s6, v3
	s_bfe_u32 s7, s6, 0x80017
	s_cmpk_eq_i32 s7, 0xff
	s_cbranch_scc1 .LBB102_553
; %bb.552:
	s_bitcmp1_b32 s6, 22
	s_cselect_b64 s[14:15], -1, 0
	s_and_b32 s6, s6, 0x3fffff
	s_or_b32 s6, s7, s6
	s_cmp_lg_u32 s6, 0
	s_cselect_b64 s[6:7], -1, 0
	s_and_b64 s[6:7], s[14:15], s[6:7]
	v_lshrrev_b32_e32 v3, 23, v3
	v_cndmask_b32_e64 v4, 0, 1, s[6:7]
	v_add_u32_e32 v4, v3, v4
.LBB102_553:
	s_mov_b64 s[6:7], 0
	s_mov_b64 s[14:15], -1
	global_store_byte v[0:1], v4, off
.LBB102_554:
	s_mov_b64 s[16:17], 0
.LBB102_555:
	s_and_b64 vcc, exec, s[16:17]
	s_cbranch_vccz .LBB102_558
; %bb.556:
	v_mov_b32_e32 v3, 29
	v_cmp_eq_u16_sdwa s[16:17], s33, v3 src0_sel:BYTE_0 src1_sel:DWORD
	s_mov_b64 s[6:7], -1
	s_and_b64 vcc, exec, s[16:17]
	s_cbranch_vccz .LBB102_558
; %bb.557:
	v_cvt_f32_f16_e32 v3, s11
	v_mov_b32_e32 v5, 0
	s_mov_b64 s[6:7], 0
	s_mov_b64 s[14:15], -1
	v_cvt_u32_f32_e32 v4, v3
	s_mov_b64 s[16:17], 0
	global_store_dwordx2 v[0:1], v[4:5], off
	s_branch .LBB102_559
.LBB102_558:
	s_mov_b64 s[16:17], 0
.LBB102_559:
	s_and_b64 vcc, exec, s[16:17]
	s_cbranch_vccz .LBB102_577
; %bb.560:
	v_mov_b32_e32 v3, 27
	v_cmp_lt_i16_sdwa s[16:17], s33, v3 src0_sel:BYTE_0 src1_sel:DWORD
	s_mov_b64 s[14:15], -1
	s_and_b64 vcc, exec, s[16:17]
	s_cbranch_vccnz .LBB102_566
; %bb.561:
	v_cmp_gt_i16_sdwa s[16:17], s33, v3 src0_sel:BYTE_0 src1_sel:DWORD
	s_and_b64 vcc, exec, s[16:17]
	s_cbranch_vccz .LBB102_563
; %bb.562:
	v_cvt_f32_f16_e32 v3, s11
	s_mov_b64 s[14:15], 0
	v_cvt_u32_f32_e32 v3, v3
	global_store_dword v[0:1], v3, off
.LBB102_563:
	s_andn2_b64 vcc, exec, s[14:15]
	s_cbranch_vccnz .LBB102_565
; %bb.564:
	v_cvt_u16_f16_e32 v3, s11
	global_store_short v[0:1], v3, off
.LBB102_565:
	s_mov_b64 s[14:15], 0
.LBB102_566:
	s_andn2_b64 vcc, exec, s[14:15]
	s_cbranch_vccnz .LBB102_576
; %bb.567:
	v_cvt_f32_f16_e32 v3, s11
	v_mov_b32_e32 v4, 0x80
	v_readfirstlane_b32 s18, v3
	s_and_b32 s14, s18, 0x7fffffff
	s_cmp_gt_u32 s14, 0x437fffff
	s_cbranch_scc1 .LBB102_575
; %bb.568:
	s_cmp_gt_u32 s14, 0x3bffffff
	s_cbranch_scc0 .LBB102_570
; %bb.569:
	s_bfe_u32 s14, s18, 0x10014
	s_add_i32 s14, s18, s14
	s_add_i32 s14, s14, 0x487ffff
	s_lshr_b32 s19, s14, 20
	s_mov_b64 s[16:17], 0
	s_mov_b64 s[14:15], -1
	s_branch .LBB102_571
.LBB102_570:
	s_mov_b64 s[16:17], -1
	s_mov_b64 s[14:15], 0
                                        ; implicit-def: $sgpr19
.LBB102_571:
	s_andn2_b64 vcc, exec, s[16:17]
	v_mov_b32_e32 v3, s19
                                        ; implicit-def: $sgpr16
	s_cbranch_vccnz .LBB102_573
; %bb.572:
	v_mov_b32_e32 v3, 0x46000000
	v_add_f32_e64 v3, |s18|, v3
	v_and_b32_e32 v3, 0xff, v3
	s_mov_b32 s16, 0
	v_cmp_ne_u32_e64 s[14:15], 0, v3
.LBB102_573:
	s_andn2_b64 vcc, exec, s[14:15]
	v_mov_b32_e32 v4, s16
	s_cbranch_vccnz .LBB102_575
; %bb.574:
	s_lshr_b32 s14, s18, 24
	s_and_b32 s14, s14, 0x80
	v_or_b32_e32 v4, s14, v3
.LBB102_575:
	global_store_byte v[0:1], v4, off
.LBB102_576:
	s_mov_b64 s[14:15], -1
.LBB102_577:
	s_mov_b64 s[16:17], 0
.LBB102_578:
	s_and_b64 vcc, exec, s[16:17]
	s_cbranch_vccz .LBB102_624
; %bb.579:
	v_mov_b32_e32 v3, 22
	v_cmp_gt_i16_sdwa s[16:17], s33, v3 src0_sel:BYTE_0 src1_sel:DWORD
	s_mov_b64 s[12:13], -1
	s_and_b64 vcc, exec, s[16:17]
	s_cbranch_vccz .LBB102_617
; %bb.580:
	v_mov_b32_e32 v3, 24
	v_cmp_lt_i16_sdwa s[14:15], s33, v3 src0_sel:BYTE_0 src1_sel:DWORD
	s_and_b64 vcc, exec, s[14:15]
	s_cbranch_vccnz .LBB102_604
; %bb.581:
	v_cmp_gt_i16_sdwa s[14:15], s33, v3 src0_sel:BYTE_0 src1_sel:DWORD
	s_and_b64 vcc, exec, s[14:15]
	s_cbranch_vccz .LBB102_591
; %bb.582:
	v_cvt_f32_f16_e32 v3, s11
	v_mov_b32_e32 v4, 0x80
	v_readfirstlane_b32 s16, v3
	s_and_b32 s12, s16, 0x7fffffff
	s_cmp_gt_u32 s12, 0x477fffff
	s_cbranch_scc1 .LBB102_590
; %bb.583:
	s_cmp_gt_u32 s12, 0x37ffffff
	s_cbranch_scc0 .LBB102_585
; %bb.584:
	s_bfe_u32 s12, s16, 0x10015
	s_add_i32 s12, s16, s12
	s_add_i32 s12, s12, 0x88fffff
	s_lshr_b32 s17, s12, 21
	s_mov_b64 s[14:15], 0
	s_mov_b64 s[12:13], -1
	s_branch .LBB102_586
.LBB102_585:
	s_mov_b64 s[14:15], -1
	s_mov_b64 s[12:13], 0
                                        ; implicit-def: $sgpr17
.LBB102_586:
	s_andn2_b64 vcc, exec, s[14:15]
	v_mov_b32_e32 v3, s17
                                        ; implicit-def: $sgpr14
	s_cbranch_vccnz .LBB102_588
; %bb.587:
	v_mov_b32_e32 v3, 0x42800000
	v_add_f32_e64 v3, |s16|, v3
	v_and_b32_e32 v3, 0xff, v3
	s_mov_b32 s14, 0
	v_cmp_ne_u32_e64 s[12:13], 0, v3
.LBB102_588:
	s_andn2_b64 vcc, exec, s[12:13]
	v_mov_b32_e32 v4, s14
	s_cbranch_vccnz .LBB102_590
; %bb.589:
	s_lshr_b32 s12, s16, 24
	s_and_b32 s12, s12, 0x80
	v_or_b32_e32 v4, s12, v3
.LBB102_590:
	s_mov_b64 s[12:13], 0
	global_store_byte v[0:1], v4, off
.LBB102_591:
	s_and_b64 vcc, exec, s[12:13]
	s_cbranch_vccz .LBB102_603
; %bb.592:
	v_cvt_f32_f16_e32 v3, s11
	v_readfirstlane_b32 s14, v3
	s_and_b32 s15, s14, 0x7fffffff
	s_cmp_lt_u32 s15, 0x43f00000
	s_cbranch_scc0 .LBB102_595
; %bb.593:
	s_cmp_gt_u32 s15, 0x3c7fffff
	s_cbranch_scc0 .LBB102_596
; %bb.594:
	s_bfe_u32 s12, s14, 0x10014
	s_add_i32 s12, s14, s12
	s_add_i32 s12, s12, 0x407ffff
	s_lshr_b32 s13, s12, 20
	s_and_b32 s12, s12, 0xff00000
	s_cmp_lg_u32 s12, 0x7f00000
	s_cselect_b32 s16, s13, 0x7e
	s_mov_b64 s[12:13], 0
	s_branch .LBB102_597
.LBB102_595:
	s_mov_b64 s[12:13], -1
                                        ; implicit-def: $vgpr4
	s_branch .LBB102_600
.LBB102_596:
	s_mov_b64 s[12:13], -1
                                        ; implicit-def: $sgpr16
.LBB102_597:
	s_andn2_b64 vcc, exec, s[12:13]
	v_mov_b32_e32 v4, s16
	s_cbranch_vccnz .LBB102_599
; %bb.598:
	s_mov_b32 s12, 0x46800000
	v_add_f32_e64 v4, |v3|, s12
.LBB102_599:
	s_mov_b64 s[12:13], 0
.LBB102_600:
	s_andn2_b64 vcc, exec, s[12:13]
	s_cbranch_vccnz .LBB102_602
; %bb.601:
	s_cmp_gt_u32 s15, 0x7f800000
	s_movk_i32 s12, 0x7f
	s_cselect_b32 s12, s12, 0x7e
	v_mov_b32_e32 v4, s12
.LBB102_602:
	s_lshr_b32 s12, s14, 24
	s_and_b32 s12, s12, 0x80
	v_or_b32_e32 v3, s12, v4
	global_store_byte v[0:1], v3, off
.LBB102_603:
	s_mov_b64 s[12:13], 0
.LBB102_604:
	s_andn2_b64 vcc, exec, s[12:13]
	s_cbranch_vccnz .LBB102_616
; %bb.605:
	v_cvt_f32_f16_e32 v3, s11
	v_readfirstlane_b32 s14, v3
	s_and_b32 s15, s14, 0x7fffffff
	s_cmp_lt_u32 s15, 0x47800000
	s_cbranch_scc0 .LBB102_608
; %bb.606:
	s_cmp_gt_u32 s15, 0x387fffff
	s_cbranch_scc0 .LBB102_609
; %bb.607:
	s_bfe_u32 s12, s14, 0x10015
	s_add_i32 s12, s14, s12
	s_add_i32 s12, s12, 0x80fffff
	s_lshr_b32 s16, s12, 21
	s_mov_b64 s[12:13], 0
	s_branch .LBB102_610
.LBB102_608:
	s_mov_b64 s[12:13], -1
                                        ; implicit-def: $vgpr4
	s_branch .LBB102_613
.LBB102_609:
	s_mov_b64 s[12:13], -1
                                        ; implicit-def: $sgpr16
.LBB102_610:
	s_andn2_b64 vcc, exec, s[12:13]
	v_mov_b32_e32 v4, s16
	s_cbranch_vccnz .LBB102_612
; %bb.611:
	s_mov_b32 s12, 0x43000000
	v_add_f32_e64 v4, |v3|, s12
.LBB102_612:
	s_mov_b64 s[12:13], 0
.LBB102_613:
	s_andn2_b64 vcc, exec, s[12:13]
	s_cbranch_vccnz .LBB102_615
; %bb.614:
	s_cmp_gt_u32 s15, 0x7f800000
	s_movk_i32 s12, 0x7f
	s_cselect_b32 s12, s12, 0x7c
	v_mov_b32_e32 v4, s12
.LBB102_615:
	s_lshr_b32 s12, s14, 24
	s_and_b32 s12, s12, 0x80
	v_or_b32_e32 v3, s12, v4
	global_store_byte v[0:1], v3, off
.LBB102_616:
	s_mov_b64 s[12:13], 0
	s_mov_b64 s[14:15], -1
.LBB102_617:
	s_andn2_b64 vcc, exec, s[12:13]
	s_mov_b64 s[12:13], 0
	s_cbranch_vccnz .LBB102_624
; %bb.618:
	v_mov_b32_e32 v3, 14
	v_cmp_gt_i16_sdwa s[12:13], s33, v3 src0_sel:BYTE_0 src1_sel:DWORD
	s_mov_b64 s[16:17], -1
	s_and_b64 vcc, exec, s[12:13]
	s_cbranch_vccz .LBB102_622
; %bb.619:
	v_mov_b32_e32 v3, 15
	v_cmp_eq_u16_sdwa s[12:13], s33, v3 src0_sel:BYTE_0 src1_sel:DWORD
	s_mov_b64 s[6:7], -1
	s_and_b64 vcc, exec, s[12:13]
	s_cbranch_vccz .LBB102_621
; %bb.620:
	v_cvt_f32_f16_e32 v3, s11
	v_mov_b32_e32 v4, 0x7fc0
	v_cmp_o_f16_e64 vcc, s11, s11
	s_mov_b64 s[6:7], 0
	v_bfe_u32 v5, v3, 16, 1
	v_add_u32_e32 v3, v3, v5
	v_add_u32_e32 v3, 0x7fff, v3
	v_lshrrev_b32_e32 v3, 16, v3
	v_cndmask_b32_e32 v3, v4, v3, vcc
	global_store_short v[0:1], v3, off
	s_mov_b64 s[14:15], -1
.LBB102_621:
	s_mov_b64 s[16:17], 0
.LBB102_622:
	s_mov_b64 s[12:13], 0
	s_and_b64 vcc, exec, s[16:17]
	s_cbranch_vccz .LBB102_624
; %bb.623:
	v_mov_b32_e32 v3, 11
	v_cmp_ne_u16_sdwa s[6:7], s33, v3 src0_sel:BYTE_0 src1_sel:DWORD
	s_mov_b64 s[12:13], -1
.LBB102_624:
	s_and_b64 vcc, exec, s[6:7]
	s_cbranch_vccnz .LBB102_707
; %bb.625:
	s_andn2_b64 vcc, exec, s[12:13]
	s_cbranch_vccnz .LBB102_627
.LBB102_626:
	v_mov_b32_e32 v3, 0x7fff
	v_and_b32_e32 v3, s11, v3
	v_cmp_ne_u16_e32 vcc, 0, v3
	v_cndmask_b32_e64 v3, 0, 1, vcc
	s_mov_b64 s[14:15], -1
	global_store_byte v[0:1], v3, off
.LBB102_627:
	s_branch .LBB102_544
.LBB102_628:
	v_mov_b32_e32 v3, 5
	v_cmp_lt_i16_sdwa s[12:13], s33, v3 src0_sel:BYTE_0 src1_sel:DWORD
	s_mov_b64 s[6:7], -1
	s_and_b64 vcc, exec, s[12:13]
	s_cbranch_vccnz .LBB102_649
; %bb.629:
	v_mov_b32_e32 v3, 8
	v_cmp_lt_i16_sdwa s[12:13], s33, v3 src0_sel:BYTE_0 src1_sel:DWORD
	s_and_b64 vcc, exec, s[12:13]
	s_cbranch_vccnz .LBB102_639
; %bb.630:
	v_mov_b32_e32 v3, 9
	v_cmp_lt_i16_sdwa s[12:13], s33, v3 src0_sel:BYTE_0 src1_sel:DWORD
	s_and_b64 vcc, exec, s[12:13]
	s_cbranch_vccnz .LBB102_636
; %bb.631:
	v_cmp_gt_i16_sdwa s[12:13], s33, v3 src0_sel:BYTE_0 src1_sel:DWORD
	s_and_b64 vcc, exec, s[12:13]
	s_cbranch_vccz .LBB102_633
; %bb.632:
	v_cvt_f32_f16_e32 v3, s11
	v_mov_b32_e32 v6, 0
	v_mov_b32_e32 v7, v6
	s_mov_b64 s[6:7], 0
	v_cvt_f64_f32_e32 v[4:5], v3
	global_store_dwordx4 v[0:1], v[4:7], off
.LBB102_633:
	s_andn2_b64 vcc, exec, s[6:7]
	s_cbranch_vccnz .LBB102_635
; %bb.634:
	v_cvt_f32_f16_e32 v4, s11
	v_mov_b32_e32 v5, 0
	global_store_dwordx2 v[0:1], v[4:5], off
.LBB102_635:
	s_mov_b64 s[6:7], 0
.LBB102_636:
	s_andn2_b64 vcc, exec, s[6:7]
	s_cbranch_vccnz .LBB102_638
; %bb.637:
	s_and_b32 s6, 0xffff, s11
	v_mov_b32_e32 v3, s6
	global_store_dword v[0:1], v3, off
.LBB102_638:
	s_mov_b64 s[6:7], 0
.LBB102_639:
	s_andn2_b64 vcc, exec, s[6:7]
	s_cbranch_vccnz .LBB102_648
; %bb.640:
	v_mov_b32_e32 v3, 6
	v_cmp_lt_i16_sdwa s[12:13], s33, v3 src0_sel:BYTE_0 src1_sel:DWORD
	s_mov_b64 s[6:7], -1
	s_and_b64 vcc, exec, s[12:13]
	s_cbranch_vccnz .LBB102_646
; %bb.641:
	v_cmp_gt_i16_sdwa s[12:13], s33, v3 src0_sel:BYTE_0 src1_sel:DWORD
	s_and_b64 vcc, exec, s[12:13]
	s_cbranch_vccz .LBB102_643
; %bb.642:
	v_cvt_f32_f16_e32 v3, s11
	s_mov_b64 s[6:7], 0
	v_cvt_f64_f32_e32 v[4:5], v3
	global_store_dwordx2 v[0:1], v[4:5], off
.LBB102_643:
	s_andn2_b64 vcc, exec, s[6:7]
	s_cbranch_vccnz .LBB102_645
; %bb.644:
	v_cvt_f32_f16_e32 v3, s11
	global_store_dword v[0:1], v3, off
.LBB102_645:
	s_mov_b64 s[6:7], 0
.LBB102_646:
	s_andn2_b64 vcc, exec, s[6:7]
	s_cbranch_vccnz .LBB102_648
; %bb.647:
	v_mov_b32_e32 v3, s11
	global_store_short v[0:1], v3, off
.LBB102_648:
	s_mov_b64 s[6:7], 0
.LBB102_649:
	s_andn2_b64 vcc, exec, s[6:7]
	s_cbranch_vccnz .LBB102_665
; %bb.650:
	v_mov_b32_e32 v3, 2
	v_cmp_lt_i16_sdwa s[12:13], s33, v3 src0_sel:BYTE_0 src1_sel:DWORD
	s_mov_b64 s[6:7], -1
	s_and_b64 vcc, exec, s[12:13]
	s_cbranch_vccnz .LBB102_660
; %bb.651:
	v_mov_b32_e32 v3, 3
	v_cmp_lt_i16_sdwa s[12:13], s33, v3 src0_sel:BYTE_0 src1_sel:DWORD
	s_and_b64 vcc, exec, s[12:13]
	s_cbranch_vccnz .LBB102_657
; %bb.652:
	v_cmp_gt_i16_sdwa s[12:13], s33, v3 src0_sel:BYTE_0 src1_sel:DWORD
	s_and_b64 vcc, exec, s[12:13]
	s_cbranch_vccz .LBB102_654
; %bb.653:
	v_cvt_f32_f16_e32 v3, s11
	s_mov_b64 s[6:7], 0
	v_cvt_i32_f32_e32 v4, v3
	v_ashrrev_i32_e32 v5, 31, v4
	global_store_dwordx2 v[0:1], v[4:5], off
.LBB102_654:
	s_andn2_b64 vcc, exec, s[6:7]
	s_cbranch_vccnz .LBB102_656
; %bb.655:
	v_cvt_f32_f16_e32 v3, s11
	v_cvt_i32_f32_e32 v3, v3
	global_store_dword v[0:1], v3, off
.LBB102_656:
	s_mov_b64 s[6:7], 0
.LBB102_657:
	s_andn2_b64 vcc, exec, s[6:7]
	s_cbranch_vccnz .LBB102_659
; %bb.658:
	v_cvt_i16_f16_e32 v3, s11
	global_store_short v[0:1], v3, off
.LBB102_659:
	s_mov_b64 s[6:7], 0
.LBB102_660:
	s_andn2_b64 vcc, exec, s[6:7]
	s_cbranch_vccnz .LBB102_665
; %bb.661:
	v_mov_b32_e32 v3, 0
	v_cmp_gt_i16_sdwa s[12:13], s33, v3 src0_sel:BYTE_0 src1_sel:DWORD
	s_mov_b64 s[6:7], -1
	s_and_b64 vcc, exec, s[12:13]
	s_cbranch_vccz .LBB102_663
; %bb.662:
	v_cvt_i16_f16_e32 v3, s11
	global_store_byte v[0:1], v3, off
	s_mov_b64 s[6:7], 0
.LBB102_663:
	s_andn2_b64 vcc, exec, s[6:7]
	s_cbranch_vccnz .LBB102_665
; %bb.664:
	v_cvt_f32_f16_e32 v3, s11
	v_cvt_i32_f32_e32 v3, v3
	global_store_byte v[0:1], v3, off
.LBB102_665:
.LBB102_666:
	v_add_u32_e32 v2, s10, v2
	v_ashrrev_i32_e32 v1, 31, v2
	v_mov_b32_e32 v3, s9
	v_add_co_u32_e32 v0, vcc, s8, v2
	v_addc_co_u32_e32 v1, vcc, v3, v1, vcc
	v_mov_b32_e32 v3, 11
	v_cmp_lt_i16_sdwa s[6:7], s33, v3 src0_sel:BYTE_0 src1_sel:DWORD
	s_and_b64 vcc, exec, s[6:7]
	s_cbranch_vccnz .LBB102_673
; %bb.667:
	v_mov_b32_e32 v3, 25
	v_cmp_gt_i16_sdwa s[6:7], s33, v3 src0_sel:BYTE_0 src1_sel:DWORD
	s_mov_b64 s[16:17], -1
	s_mov_b64 s[12:13], 0
	s_and_b64 vcc, exec, s[6:7]
	s_mov_b64 s[14:15], 0
	s_mov_b64 s[6:7], 0
	s_cbranch_vccz .LBB102_738
; %bb.668:
	v_mov_b32_e32 v3, 28
	v_cmp_gt_i16_sdwa s[6:7], s33, v3 src0_sel:BYTE_0 src1_sel:DWORD
	s_and_b64 vcc, exec, s[6:7]
	s_cbranch_vccz .LBB102_705
; %bb.669:
	v_mov_b32_e32 v3, 43
	v_cmp_gt_i16_sdwa s[6:7], s33, v3 src0_sel:BYTE_0 src1_sel:DWORD
	s_and_b64 vcc, exec, s[6:7]
	;; [unrolled: 5-line block ×3, first 2 shown]
	s_cbranch_vccz .LBB102_708
; %bb.671:
	v_mov_b32_e32 v3, 46
	v_cmp_eq_u16_sdwa s[14:15], s33, v3 src0_sel:BYTE_0 src1_sel:DWORD
	s_mov_b64 s[6:7], -1
	s_mov_b64 s[16:17], 0
	s_and_b64 vcc, exec, s[14:15]
	s_mov_b64 s[14:15], 0
	s_cbranch_vccz .LBB102_709
; %bb.672:
	v_cvt_f32_f16_e32 v3, s11
	v_mov_b32_e32 v4, 0x7fc0
	v_cmp_o_f16_e64 vcc, s11, s11
	s_mov_b64 s[6:7], 0
	v_bfe_u32 v5, v3, 16, 1
	v_add_u32_e32 v3, v3, v5
	v_add_u32_e32 v3, 0x7fff, v3
	v_lshrrev_b32_e32 v3, 16, v3
	v_cndmask_b32_e32 v3, v4, v3, vcc
	global_store_dword v[0:1], v3, off
	s_mov_b64 s[14:15], -1
	s_branch .LBB102_709
.LBB102_673:
	s_mov_b64 s[14:15], 0
	s_cbranch_execnz .LBB102_802
.LBB102_674:
	s_andn2_b64 vcc, exec, s[14:15]
	s_cbranch_vccnz .LBB102_840
.LBB102_675:
	v_add_u32_e32 v0, s10, v2
	v_ashrrev_i32_e32 v1, 31, v0
	v_mov_b32_e32 v2, s9
	v_add_co_u32_e32 v0, vcc, s8, v0
	v_addc_co_u32_e32 v1, vcc, v2, v1, vcc
	v_mov_b32_e32 v2, 0xff
	v_and_b32_e32 v2, s33, v2
	v_cmp_gt_i16_e32 vcc, 11, v2
	s_cbranch_vccnz .LBB102_704
; %bb.676:
	v_cmp_lt_i16_e32 vcc, 25, v2
	s_mov_b64 s[12:13], -1
	s_mov_b64 s[8:9], 0
	s_mov_b64 s[6:7], 0
	s_cbranch_vccz .LBB102_752
; %bb.677:
	v_cmp_lt_i16_e32 vcc, 28, v2
	s_cbranch_vccz .LBB102_693
; %bb.678:
	v_cmp_lt_i16_e32 vcc, 43, v2
	;; [unrolled: 3-line block ×3, first 2 shown]
	s_cbranch_vccz .LBB102_683
; %bb.680:
	v_cmp_eq_u16_e32 vcc, 46, v2
	s_mov_b64 s[6:7], -1
	s_cbranch_vccz .LBB102_682
; %bb.681:
	v_cvt_f32_f16_e32 v3, s11
	v_mov_b32_e32 v4, 0x7fc0
	v_cmp_o_f16_e64 vcc, s11, s11
	s_mov_b64 s[6:7], 0
	v_bfe_u32 v5, v3, 16, 1
	v_add_u32_e32 v3, v3, v5
	v_add_u32_e32 v3, 0x7fff, v3
	v_lshrrev_b32_e32 v3, 16, v3
	v_cndmask_b32_e32 v3, v4, v3, vcc
	global_store_dword v[0:1], v3, off
.LBB102_682:
	s_mov_b64 s[12:13], 0
.LBB102_683:
	s_and_b64 vcc, exec, s[12:13]
	s_cbranch_vccz .LBB102_688
; %bb.684:
	v_cmp_eq_u16_e32 vcc, 44, v2
	s_mov_b64 s[6:7], -1
	s_cbranch_vccz .LBB102_688
; %bb.685:
	v_cvt_f32_f16_e32 v3, s11
	v_mov_b32_e32 v4, 0xff
	v_readfirstlane_b32 s6, v3
	s_bfe_u32 s7, s6, 0x80017
	s_cmpk_eq_i32 s7, 0xff
	s_cbranch_scc1 .LBB102_687
; %bb.686:
	s_bitcmp1_b32 s6, 22
	s_cselect_b64 s[12:13], -1, 0
	s_and_b32 s6, s6, 0x3fffff
	s_or_b32 s6, s7, s6
	s_cmp_lg_u32 s6, 0
	s_cselect_b64 s[6:7], -1, 0
	s_and_b64 s[6:7], s[12:13], s[6:7]
	v_lshrrev_b32_e32 v3, 23, v3
	v_cndmask_b32_e64 v4, 0, 1, s[6:7]
	v_add_u32_e32 v4, v3, v4
.LBB102_687:
	s_mov_b64 s[6:7], 0
	global_store_byte v[0:1], v4, off
.LBB102_688:
	s_mov_b64 s[12:13], 0
.LBB102_689:
	s_and_b64 vcc, exec, s[12:13]
	s_cbranch_vccz .LBB102_692
; %bb.690:
	v_cmp_eq_u16_e32 vcc, 29, v2
	s_mov_b64 s[6:7], -1
	s_cbranch_vccz .LBB102_692
; %bb.691:
	v_cvt_f32_f16_e32 v3, s11
	v_mov_b32_e32 v5, 0
	s_mov_b64 s[6:7], 0
	v_cvt_u32_f32_e32 v4, v3
	global_store_dwordx2 v[0:1], v[4:5], off
.LBB102_692:
	s_mov_b64 s[12:13], 0
.LBB102_693:
	s_and_b64 vcc, exec, s[12:13]
	s_cbranch_vccz .LBB102_751
; %bb.694:
	v_cmp_gt_i16_e32 vcc, 27, v2
	s_mov_b64 s[12:13], -1
	s_cbranch_vccnz .LBB102_700
; %bb.695:
	v_cmp_lt_i16_e32 vcc, 27, v2
	s_cbranch_vccz .LBB102_697
; %bb.696:
	v_cvt_f32_f16_e32 v3, s11
	s_mov_b64 s[12:13], 0
	v_cvt_u32_f32_e32 v3, v3
	global_store_dword v[0:1], v3, off
.LBB102_697:
	s_andn2_b64 vcc, exec, s[12:13]
	s_cbranch_vccnz .LBB102_699
; %bb.698:
	v_cvt_u16_f16_e32 v3, s11
	global_store_short v[0:1], v3, off
.LBB102_699:
	s_mov_b64 s[12:13], 0
.LBB102_700:
	s_andn2_b64 vcc, exec, s[12:13]
	s_cbranch_vccnz .LBB102_751
; %bb.701:
	v_cvt_f32_f16_e32 v3, s11
	v_mov_b32_e32 v4, 0x80
	v_readfirstlane_b32 s10, v3
	s_and_b32 s12, s10, 0x7fffffff
	s_cmp_gt_u32 s12, 0x437fffff
	s_cbranch_scc1 .LBB102_750
; %bb.702:
	s_cmp_gt_u32 s12, 0x3bffffff
	s_cbranch_scc0 .LBB102_745
; %bb.703:
	s_bfe_u32 s12, s10, 0x10014
	s_add_i32 s12, s10, s12
	s_add_i32 s12, s12, 0x487ffff
	s_lshr_b32 s16, s12, 20
	s_mov_b64 s[14:15], 0
	s_mov_b64 s[12:13], -1
	s_branch .LBB102_746
.LBB102_704:
	s_mov_b64 s[8:9], 0
	s_mov_b64 s[6:7], -1
	s_branch .LBB102_841
.LBB102_705:
	s_mov_b64 s[6:7], 0
	s_branch .LBB102_719
.LBB102_706:
	s_mov_b64 s[6:7], 0
	s_branch .LBB102_715
.LBB102_707:
	s_trap 2
	s_or_b64 s[4:5], s[4:5], exec
	s_cbranch_execz .LBB102_626
	s_branch .LBB102_627
.LBB102_708:
	s_mov_b64 s[6:7], 0
.LBB102_709:
	s_and_b64 vcc, exec, s[16:17]
	s_cbranch_vccz .LBB102_714
; %bb.710:
	v_mov_b32_e32 v3, 44
	v_cmp_eq_u16_sdwa s[16:17], s33, v3 src0_sel:BYTE_0 src1_sel:DWORD
	s_mov_b64 s[6:7], -1
	s_and_b64 vcc, exec, s[16:17]
	s_cbranch_vccz .LBB102_714
; %bb.711:
	v_cvt_f32_f16_e32 v3, s11
	v_mov_b32_e32 v4, 0xff
	v_readfirstlane_b32 s6, v3
	s_bfe_u32 s7, s6, 0x80017
	s_cmpk_eq_i32 s7, 0xff
	s_cbranch_scc1 .LBB102_713
; %bb.712:
	s_bitcmp1_b32 s6, 22
	s_cselect_b64 s[14:15], -1, 0
	s_and_b32 s6, s6, 0x3fffff
	s_or_b32 s6, s7, s6
	s_cmp_lg_u32 s6, 0
	s_cselect_b64 s[6:7], -1, 0
	s_and_b64 s[6:7], s[14:15], s[6:7]
	v_lshrrev_b32_e32 v3, 23, v3
	v_cndmask_b32_e64 v4, 0, 1, s[6:7]
	v_add_u32_e32 v4, v3, v4
.LBB102_713:
	s_mov_b64 s[6:7], 0
	s_mov_b64 s[14:15], -1
	global_store_byte v[0:1], v4, off
.LBB102_714:
	s_mov_b64 s[16:17], 0
.LBB102_715:
	s_and_b64 vcc, exec, s[16:17]
	s_cbranch_vccz .LBB102_718
; %bb.716:
	v_mov_b32_e32 v3, 29
	v_cmp_eq_u16_sdwa s[16:17], s33, v3 src0_sel:BYTE_0 src1_sel:DWORD
	s_mov_b64 s[6:7], -1
	s_and_b64 vcc, exec, s[16:17]
	s_cbranch_vccz .LBB102_718
; %bb.717:
	v_cvt_f32_f16_e32 v3, s11
	v_mov_b32_e32 v5, 0
	s_mov_b64 s[6:7], 0
	s_mov_b64 s[14:15], -1
	v_cvt_u32_f32_e32 v4, v3
	s_mov_b64 s[16:17], 0
	global_store_dwordx2 v[0:1], v[4:5], off
	s_branch .LBB102_719
.LBB102_718:
	s_mov_b64 s[16:17], 0
.LBB102_719:
	s_and_b64 vcc, exec, s[16:17]
	s_cbranch_vccz .LBB102_737
; %bb.720:
	v_mov_b32_e32 v3, 27
	v_cmp_lt_i16_sdwa s[16:17], s33, v3 src0_sel:BYTE_0 src1_sel:DWORD
	s_mov_b64 s[14:15], -1
	s_and_b64 vcc, exec, s[16:17]
	s_cbranch_vccnz .LBB102_726
; %bb.721:
	v_cmp_gt_i16_sdwa s[16:17], s33, v3 src0_sel:BYTE_0 src1_sel:DWORD
	s_and_b64 vcc, exec, s[16:17]
	s_cbranch_vccz .LBB102_723
; %bb.722:
	v_cvt_f32_f16_e32 v3, s11
	s_mov_b64 s[14:15], 0
	v_cvt_u32_f32_e32 v3, v3
	global_store_dword v[0:1], v3, off
.LBB102_723:
	s_andn2_b64 vcc, exec, s[14:15]
	s_cbranch_vccnz .LBB102_725
; %bb.724:
	v_cvt_u16_f16_e32 v3, s11
	global_store_short v[0:1], v3, off
.LBB102_725:
	s_mov_b64 s[14:15], 0
.LBB102_726:
	s_andn2_b64 vcc, exec, s[14:15]
	s_cbranch_vccnz .LBB102_736
; %bb.727:
	v_cvt_f32_f16_e32 v3, s11
	v_mov_b32_e32 v4, 0x80
	v_readfirstlane_b32 s18, v3
	s_and_b32 s14, s18, 0x7fffffff
	s_cmp_gt_u32 s14, 0x437fffff
	s_cbranch_scc1 .LBB102_735
; %bb.728:
	s_cmp_gt_u32 s14, 0x3bffffff
	s_cbranch_scc0 .LBB102_730
; %bb.729:
	s_bfe_u32 s14, s18, 0x10014
	s_add_i32 s14, s18, s14
	s_add_i32 s14, s14, 0x487ffff
	s_lshr_b32 s19, s14, 20
	s_mov_b64 s[16:17], 0
	s_mov_b64 s[14:15], -1
	s_branch .LBB102_731
.LBB102_730:
	s_mov_b64 s[16:17], -1
	s_mov_b64 s[14:15], 0
                                        ; implicit-def: $sgpr19
.LBB102_731:
	s_andn2_b64 vcc, exec, s[16:17]
	v_mov_b32_e32 v3, s19
                                        ; implicit-def: $sgpr16
	s_cbranch_vccnz .LBB102_733
; %bb.732:
	v_mov_b32_e32 v3, 0x46000000
	v_add_f32_e64 v3, |s18|, v3
	v_and_b32_e32 v3, 0xff, v3
	s_mov_b32 s16, 0
	v_cmp_ne_u32_e64 s[14:15], 0, v3
.LBB102_733:
	s_andn2_b64 vcc, exec, s[14:15]
	v_mov_b32_e32 v4, s16
	s_cbranch_vccnz .LBB102_735
; %bb.734:
	s_lshr_b32 s14, s18, 24
	s_and_b32 s14, s14, 0x80
	v_or_b32_e32 v4, s14, v3
.LBB102_735:
	global_store_byte v[0:1], v4, off
.LBB102_736:
	s_mov_b64 s[14:15], -1
.LBB102_737:
	s_mov_b64 s[16:17], 0
.LBB102_738:
	s_and_b64 vcc, exec, s[16:17]
	s_cbranch_vccz .LBB102_798
; %bb.739:
	v_mov_b32_e32 v3, 22
	v_cmp_gt_i16_sdwa s[16:17], s33, v3 src0_sel:BYTE_0 src1_sel:DWORD
	s_mov_b64 s[12:13], -1
	s_and_b64 vcc, exec, s[16:17]
	s_cbranch_vccz .LBB102_791
; %bb.740:
	v_mov_b32_e32 v3, 24
	v_cmp_lt_i16_sdwa s[14:15], s33, v3 src0_sel:BYTE_0 src1_sel:DWORD
	s_and_b64 vcc, exec, s[14:15]
	s_cbranch_vccnz .LBB102_778
; %bb.741:
	v_cmp_gt_i16_sdwa s[14:15], s33, v3 src0_sel:BYTE_0 src1_sel:DWORD
	s_and_b64 vcc, exec, s[14:15]
	s_cbranch_vccz .LBB102_765
; %bb.742:
	v_cvt_f32_f16_e32 v3, s11
	v_mov_b32_e32 v4, 0x80
	v_readfirstlane_b32 s16, v3
	s_and_b32 s12, s16, 0x7fffffff
	s_cmp_gt_u32 s12, 0x477fffff
	s_cbranch_scc1 .LBB102_764
; %bb.743:
	s_cmp_gt_u32 s12, 0x37ffffff
	s_cbranch_scc0 .LBB102_759
; %bb.744:
	s_bfe_u32 s12, s16, 0x10015
	s_add_i32 s12, s16, s12
	s_add_i32 s12, s12, 0x88fffff
	s_lshr_b32 s17, s12, 21
	s_mov_b64 s[14:15], 0
	s_mov_b64 s[12:13], -1
	s_branch .LBB102_760
.LBB102_745:
	s_mov_b64 s[14:15], -1
	s_mov_b64 s[12:13], 0
                                        ; implicit-def: $sgpr16
.LBB102_746:
	s_andn2_b64 vcc, exec, s[14:15]
	v_mov_b32_e32 v3, s16
                                        ; implicit-def: $sgpr14
	s_cbranch_vccnz .LBB102_748
; %bb.747:
	v_mov_b32_e32 v3, 0x46000000
	v_add_f32_e64 v3, |s10|, v3
	v_and_b32_e32 v3, 0xff, v3
	s_mov_b32 s14, 0
	v_cmp_ne_u32_e64 s[12:13], 0, v3
.LBB102_748:
	s_andn2_b64 vcc, exec, s[12:13]
	v_mov_b32_e32 v4, s14
	s_cbranch_vccnz .LBB102_750
; %bb.749:
	s_lshr_b32 s10, s10, 24
	s_and_b32 s10, s10, 0x80
	v_or_b32_e32 v4, s10, v3
.LBB102_750:
	global_store_byte v[0:1], v4, off
.LBB102_751:
	s_mov_b64 s[12:13], 0
.LBB102_752:
	s_and_b64 vcc, exec, s[12:13]
	s_cbranch_vccz .LBB102_922
; %bb.753:
	v_cmp_lt_i16_e32 vcc, 22, v2
	s_mov_b64 s[8:9], -1
	s_cbranch_vccz .LBB102_915
; %bb.754:
	v_cmp_gt_i16_e32 vcc, 24, v2
	s_cbranch_vccnz .LBB102_902
; %bb.755:
	v_cmp_lt_i16_e32 vcc, 24, v2
	s_cbranch_vccz .LBB102_889
; %bb.756:
	v_cvt_f32_f16_e32 v3, s11
	v_mov_b32_e32 v4, 0x80
	v_readfirstlane_b32 s10, v3
	s_and_b32 s8, s10, 0x7fffffff
	s_cmp_gt_u32 s8, 0x477fffff
	s_cbranch_scc1 .LBB102_888
; %bb.757:
	s_cmp_gt_u32 s8, 0x37ffffff
	s_cbranch_scc0 .LBB102_883
; %bb.758:
	s_bfe_u32 s8, s10, 0x10015
	s_add_i32 s8, s10, s8
	s_add_i32 s8, s8, 0x88fffff
	s_lshr_b32 s14, s8, 21
	s_mov_b64 s[12:13], 0
	s_mov_b64 s[8:9], -1
	s_branch .LBB102_884
.LBB102_759:
	s_mov_b64 s[14:15], -1
	s_mov_b64 s[12:13], 0
                                        ; implicit-def: $sgpr17
.LBB102_760:
	s_andn2_b64 vcc, exec, s[14:15]
	v_mov_b32_e32 v3, s17
                                        ; implicit-def: $sgpr14
	s_cbranch_vccnz .LBB102_762
; %bb.761:
	v_mov_b32_e32 v3, 0x42800000
	v_add_f32_e64 v3, |s16|, v3
	v_and_b32_e32 v3, 0xff, v3
	s_mov_b32 s14, 0
	v_cmp_ne_u32_e64 s[12:13], 0, v3
.LBB102_762:
	s_andn2_b64 vcc, exec, s[12:13]
	v_mov_b32_e32 v4, s14
	s_cbranch_vccnz .LBB102_764
; %bb.763:
	s_lshr_b32 s12, s16, 24
	s_and_b32 s12, s12, 0x80
	v_or_b32_e32 v4, s12, v3
.LBB102_764:
	s_mov_b64 s[12:13], 0
	global_store_byte v[0:1], v4, off
.LBB102_765:
	s_and_b64 vcc, exec, s[12:13]
	s_cbranch_vccz .LBB102_777
; %bb.766:
	v_cvt_f32_f16_e32 v3, s11
	v_readfirstlane_b32 s14, v3
	s_and_b32 s15, s14, 0x7fffffff
	s_cmp_lt_u32 s15, 0x43f00000
	s_cbranch_scc0 .LBB102_769
; %bb.767:
	s_cmp_gt_u32 s15, 0x3c7fffff
	s_cbranch_scc0 .LBB102_770
; %bb.768:
	s_bfe_u32 s12, s14, 0x10014
	s_add_i32 s12, s14, s12
	s_add_i32 s12, s12, 0x407ffff
	s_lshr_b32 s13, s12, 20
	s_and_b32 s12, s12, 0xff00000
	s_cmp_lg_u32 s12, 0x7f00000
	s_cselect_b32 s16, s13, 0x7e
	s_mov_b64 s[12:13], 0
	s_branch .LBB102_771
.LBB102_769:
	s_mov_b64 s[12:13], -1
                                        ; implicit-def: $vgpr4
	s_branch .LBB102_774
.LBB102_770:
	s_mov_b64 s[12:13], -1
                                        ; implicit-def: $sgpr16
.LBB102_771:
	s_andn2_b64 vcc, exec, s[12:13]
	v_mov_b32_e32 v4, s16
	s_cbranch_vccnz .LBB102_773
; %bb.772:
	s_mov_b32 s12, 0x46800000
	v_add_f32_e64 v4, |v3|, s12
.LBB102_773:
	s_mov_b64 s[12:13], 0
.LBB102_774:
	s_andn2_b64 vcc, exec, s[12:13]
	s_cbranch_vccnz .LBB102_776
; %bb.775:
	s_cmp_gt_u32 s15, 0x7f800000
	s_movk_i32 s12, 0x7f
	s_cselect_b32 s12, s12, 0x7e
	v_mov_b32_e32 v4, s12
.LBB102_776:
	s_lshr_b32 s12, s14, 24
	s_and_b32 s12, s12, 0x80
	v_or_b32_e32 v3, s12, v4
	global_store_byte v[0:1], v3, off
.LBB102_777:
	s_mov_b64 s[12:13], 0
.LBB102_778:
	s_andn2_b64 vcc, exec, s[12:13]
	s_cbranch_vccnz .LBB102_790
; %bb.779:
	v_cvt_f32_f16_e32 v3, s11
	v_readfirstlane_b32 s14, v3
	s_and_b32 s15, s14, 0x7fffffff
	s_cmp_lt_u32 s15, 0x47800000
	s_cbranch_scc0 .LBB102_782
; %bb.780:
	s_cmp_gt_u32 s15, 0x387fffff
	s_cbranch_scc0 .LBB102_783
; %bb.781:
	s_bfe_u32 s12, s14, 0x10015
	s_add_i32 s12, s14, s12
	s_add_i32 s12, s12, 0x80fffff
	s_lshr_b32 s16, s12, 21
	s_mov_b64 s[12:13], 0
	s_branch .LBB102_784
.LBB102_782:
	s_mov_b64 s[12:13], -1
                                        ; implicit-def: $vgpr4
	s_branch .LBB102_787
.LBB102_783:
	s_mov_b64 s[12:13], -1
                                        ; implicit-def: $sgpr16
.LBB102_784:
	s_andn2_b64 vcc, exec, s[12:13]
	v_mov_b32_e32 v4, s16
	s_cbranch_vccnz .LBB102_786
; %bb.785:
	s_mov_b32 s12, 0x43000000
	v_add_f32_e64 v4, |v3|, s12
.LBB102_786:
	s_mov_b64 s[12:13], 0
.LBB102_787:
	s_andn2_b64 vcc, exec, s[12:13]
	s_cbranch_vccnz .LBB102_789
; %bb.788:
	s_cmp_gt_u32 s15, 0x7f800000
	s_movk_i32 s12, 0x7f
	s_cselect_b32 s12, s12, 0x7c
	v_mov_b32_e32 v4, s12
.LBB102_789:
	s_lshr_b32 s12, s14, 24
	s_and_b32 s12, s12, 0x80
	v_or_b32_e32 v3, s12, v4
	global_store_byte v[0:1], v3, off
.LBB102_790:
	s_mov_b64 s[12:13], 0
	s_mov_b64 s[14:15], -1
.LBB102_791:
	s_andn2_b64 vcc, exec, s[12:13]
	s_mov_b64 s[12:13], 0
	s_cbranch_vccnz .LBB102_798
; %bb.792:
	v_mov_b32_e32 v3, 14
	v_cmp_gt_i16_sdwa s[12:13], s33, v3 src0_sel:BYTE_0 src1_sel:DWORD
	s_mov_b64 s[16:17], -1
	s_and_b64 vcc, exec, s[12:13]
	s_cbranch_vccz .LBB102_796
; %bb.793:
	v_mov_b32_e32 v3, 15
	v_cmp_eq_u16_sdwa s[12:13], s33, v3 src0_sel:BYTE_0 src1_sel:DWORD
	s_mov_b64 s[6:7], -1
	s_and_b64 vcc, exec, s[12:13]
	s_cbranch_vccz .LBB102_795
; %bb.794:
	v_cvt_f32_f16_e32 v3, s11
	v_mov_b32_e32 v4, 0x7fc0
	v_cmp_o_f16_e64 vcc, s11, s11
	s_mov_b64 s[6:7], 0
	v_bfe_u32 v5, v3, 16, 1
	v_add_u32_e32 v3, v3, v5
	v_add_u32_e32 v3, 0x7fff, v3
	v_lshrrev_b32_e32 v3, 16, v3
	v_cndmask_b32_e32 v3, v4, v3, vcc
	global_store_short v[0:1], v3, off
	s_mov_b64 s[14:15], -1
.LBB102_795:
	s_mov_b64 s[16:17], 0
.LBB102_796:
	s_mov_b64 s[12:13], 0
	s_and_b64 vcc, exec, s[16:17]
	s_cbranch_vccz .LBB102_798
; %bb.797:
	v_mov_b32_e32 v3, 11
	v_cmp_ne_u16_sdwa s[6:7], s33, v3 src0_sel:BYTE_0 src1_sel:DWORD
	s_mov_b64 s[12:13], -1
.LBB102_798:
	s_and_b64 vcc, exec, s[6:7]
	s_cbranch_vccnz .LBB102_882
; %bb.799:
	s_andn2_b64 vcc, exec, s[12:13]
	s_cbranch_vccnz .LBB102_801
.LBB102_800:
	v_mov_b32_e32 v3, 0x7fff
	v_and_b32_e32 v3, s11, v3
	v_cmp_ne_u16_e32 vcc, 0, v3
	v_cndmask_b32_e64 v3, 0, 1, vcc
	s_mov_b64 s[14:15], -1
	global_store_byte v[0:1], v3, off
.LBB102_801:
	s_branch .LBB102_674
.LBB102_802:
	v_mov_b32_e32 v3, 5
	v_cmp_lt_i16_sdwa s[12:13], s33, v3 src0_sel:BYTE_0 src1_sel:DWORD
	s_mov_b64 s[6:7], -1
	s_and_b64 vcc, exec, s[12:13]
	s_cbranch_vccnz .LBB102_823
; %bb.803:
	v_mov_b32_e32 v3, 8
	v_cmp_lt_i16_sdwa s[12:13], s33, v3 src0_sel:BYTE_0 src1_sel:DWORD
	s_and_b64 vcc, exec, s[12:13]
	s_cbranch_vccnz .LBB102_813
; %bb.804:
	v_mov_b32_e32 v3, 9
	v_cmp_lt_i16_sdwa s[12:13], s33, v3 src0_sel:BYTE_0 src1_sel:DWORD
	s_and_b64 vcc, exec, s[12:13]
	s_cbranch_vccnz .LBB102_810
; %bb.805:
	v_cmp_gt_i16_sdwa s[12:13], s33, v3 src0_sel:BYTE_0 src1_sel:DWORD
	s_and_b64 vcc, exec, s[12:13]
	s_cbranch_vccz .LBB102_807
; %bb.806:
	v_cvt_f32_f16_e32 v3, s11
	v_mov_b32_e32 v6, 0
	v_mov_b32_e32 v7, v6
	s_mov_b64 s[6:7], 0
	v_cvt_f64_f32_e32 v[4:5], v3
	global_store_dwordx4 v[0:1], v[4:7], off
.LBB102_807:
	s_andn2_b64 vcc, exec, s[6:7]
	s_cbranch_vccnz .LBB102_809
; %bb.808:
	v_cvt_f32_f16_e32 v4, s11
	v_mov_b32_e32 v5, 0
	global_store_dwordx2 v[0:1], v[4:5], off
.LBB102_809:
	s_mov_b64 s[6:7], 0
.LBB102_810:
	s_andn2_b64 vcc, exec, s[6:7]
	s_cbranch_vccnz .LBB102_812
; %bb.811:
	s_and_b32 s6, 0xffff, s11
	v_mov_b32_e32 v3, s6
	global_store_dword v[0:1], v3, off
.LBB102_812:
	s_mov_b64 s[6:7], 0
.LBB102_813:
	s_andn2_b64 vcc, exec, s[6:7]
	s_cbranch_vccnz .LBB102_822
; %bb.814:
	v_mov_b32_e32 v3, 6
	v_cmp_lt_i16_sdwa s[12:13], s33, v3 src0_sel:BYTE_0 src1_sel:DWORD
	s_mov_b64 s[6:7], -1
	s_and_b64 vcc, exec, s[12:13]
	s_cbranch_vccnz .LBB102_820
; %bb.815:
	v_cmp_gt_i16_sdwa s[12:13], s33, v3 src0_sel:BYTE_0 src1_sel:DWORD
	s_and_b64 vcc, exec, s[12:13]
	s_cbranch_vccz .LBB102_817
; %bb.816:
	v_cvt_f32_f16_e32 v3, s11
	s_mov_b64 s[6:7], 0
	v_cvt_f64_f32_e32 v[4:5], v3
	global_store_dwordx2 v[0:1], v[4:5], off
.LBB102_817:
	s_andn2_b64 vcc, exec, s[6:7]
	s_cbranch_vccnz .LBB102_819
; %bb.818:
	v_cvt_f32_f16_e32 v3, s11
	global_store_dword v[0:1], v3, off
.LBB102_819:
	s_mov_b64 s[6:7], 0
.LBB102_820:
	s_andn2_b64 vcc, exec, s[6:7]
	s_cbranch_vccnz .LBB102_822
; %bb.821:
	v_mov_b32_e32 v3, s11
	global_store_short v[0:1], v3, off
.LBB102_822:
	s_mov_b64 s[6:7], 0
.LBB102_823:
	s_andn2_b64 vcc, exec, s[6:7]
	s_cbranch_vccnz .LBB102_839
; %bb.824:
	v_mov_b32_e32 v3, 2
	v_cmp_lt_i16_sdwa s[12:13], s33, v3 src0_sel:BYTE_0 src1_sel:DWORD
	s_mov_b64 s[6:7], -1
	s_and_b64 vcc, exec, s[12:13]
	s_cbranch_vccnz .LBB102_834
; %bb.825:
	v_mov_b32_e32 v3, 3
	v_cmp_lt_i16_sdwa s[12:13], s33, v3 src0_sel:BYTE_0 src1_sel:DWORD
	s_and_b64 vcc, exec, s[12:13]
	s_cbranch_vccnz .LBB102_831
; %bb.826:
	v_cmp_gt_i16_sdwa s[12:13], s33, v3 src0_sel:BYTE_0 src1_sel:DWORD
	s_and_b64 vcc, exec, s[12:13]
	s_cbranch_vccz .LBB102_828
; %bb.827:
	v_cvt_f32_f16_e32 v3, s11
	s_mov_b64 s[6:7], 0
	v_cvt_i32_f32_e32 v4, v3
	v_ashrrev_i32_e32 v5, 31, v4
	global_store_dwordx2 v[0:1], v[4:5], off
.LBB102_828:
	s_andn2_b64 vcc, exec, s[6:7]
	s_cbranch_vccnz .LBB102_830
; %bb.829:
	v_cvt_f32_f16_e32 v3, s11
	v_cvt_i32_f32_e32 v3, v3
	global_store_dword v[0:1], v3, off
.LBB102_830:
	s_mov_b64 s[6:7], 0
.LBB102_831:
	s_andn2_b64 vcc, exec, s[6:7]
	s_cbranch_vccnz .LBB102_833
; %bb.832:
	v_cvt_i16_f16_e32 v3, s11
	global_store_short v[0:1], v3, off
.LBB102_833:
	s_mov_b64 s[6:7], 0
.LBB102_834:
	s_andn2_b64 vcc, exec, s[6:7]
	s_cbranch_vccnz .LBB102_839
; %bb.835:
	v_mov_b32_e32 v3, 0
	v_cmp_gt_i16_sdwa s[12:13], s33, v3 src0_sel:BYTE_0 src1_sel:DWORD
	s_mov_b64 s[6:7], -1
	s_and_b64 vcc, exec, s[12:13]
	s_cbranch_vccz .LBB102_837
; %bb.836:
	v_cvt_i16_f16_e32 v3, s11
	global_store_byte v[0:1], v3, off
	s_mov_b64 s[6:7], 0
.LBB102_837:
	s_andn2_b64 vcc, exec, s[6:7]
	s_cbranch_vccnz .LBB102_839
; %bb.838:
	v_cvt_f32_f16_e32 v3, s11
	v_cvt_i32_f32_e32 v3, v3
	global_store_byte v[0:1], v3, off
.LBB102_839:
	s_branch .LBB102_675
.LBB102_840:
	s_mov_b64 s[6:7], 0
	s_mov_b64 s[8:9], 0
                                        ; implicit-def: $vgpr2
                                        ; implicit-def: $vgpr0_vgpr1
.LBB102_841:
	s_andn2_b64 s[0:1], s[0:1], exec
	s_and_b64 s[4:5], s[4:5], exec
	s_and_b64 s[12:13], s[6:7], exec
	;; [unrolled: 1-line block ×3, first 2 shown]
	s_or_b64 s[0:1], s[0:1], s[4:5]
	s_or_b64 exec, exec, s[2:3]
	s_and_saveexec_b64 s[2:3], s[0:1]
	s_cbranch_execnz .LBB102_413
.LBB102_842:
	s_or_b64 exec, exec, s[2:3]
	s_and_saveexec_b64 s[0:1], s[6:7]
	s_xor_b64 s[0:1], exec, s[0:1]
	s_cbranch_execz .LBB102_414
.LBB102_843:
	v_mov_b32_e32 v3, 0x7fff
	v_and_b32_e32 v3, s11, v3
	v_cmp_ne_u16_e32 vcc, 0, v3
	v_cndmask_b32_e64 v3, 0, 1, vcc
	global_store_byte v[0:1], v3, off
	s_or_b64 exec, exec, s[0:1]
	s_and_saveexec_b64 s[0:1], s[12:13]
	s_cbranch_execz .LBB102_881
.LBB102_844:
	v_cmp_gt_i16_e32 vcc, 5, v2
	s_mov_b64 s[0:1], -1
	s_cbranch_vccnz .LBB102_865
; %bb.845:
	v_cmp_gt_i16_e32 vcc, 8, v2
	s_cbranch_vccnz .LBB102_855
; %bb.846:
	v_cmp_gt_i16_e32 vcc, 9, v2
	s_cbranch_vccnz .LBB102_852
; %bb.847:
	v_cmp_lt_i16_e32 vcc, 9, v2
	s_cbranch_vccz .LBB102_849
; %bb.848:
	v_cvt_f32_f16_e32 v3, s11
	v_mov_b32_e32 v6, 0
	v_mov_b32_e32 v7, v6
	s_mov_b64 s[0:1], 0
	v_cvt_f64_f32_e32 v[4:5], v3
	global_store_dwordx4 v[0:1], v[4:7], off
.LBB102_849:
	s_andn2_b64 vcc, exec, s[0:1]
	s_cbranch_vccnz .LBB102_851
; %bb.850:
	v_cvt_f32_f16_e32 v4, s11
	v_mov_b32_e32 v5, 0
	global_store_dwordx2 v[0:1], v[4:5], off
.LBB102_851:
	s_mov_b64 s[0:1], 0
.LBB102_852:
	s_andn2_b64 vcc, exec, s[0:1]
	s_cbranch_vccnz .LBB102_854
; %bb.853:
	s_and_b32 s0, 0xffff, s11
	v_mov_b32_e32 v3, s0
	global_store_dword v[0:1], v3, off
.LBB102_854:
	s_mov_b64 s[0:1], 0
.LBB102_855:
	s_andn2_b64 vcc, exec, s[0:1]
	s_cbranch_vccnz .LBB102_864
; %bb.856:
	v_cmp_gt_i16_e32 vcc, 6, v2
	s_mov_b64 s[0:1], -1
	s_cbranch_vccnz .LBB102_862
; %bb.857:
	v_cmp_lt_i16_e32 vcc, 6, v2
	s_cbranch_vccz .LBB102_859
; %bb.858:
	v_cvt_f32_f16_e32 v3, s11
	s_mov_b64 s[0:1], 0
	v_cvt_f64_f32_e32 v[4:5], v3
	global_store_dwordx2 v[0:1], v[4:5], off
.LBB102_859:
	s_andn2_b64 vcc, exec, s[0:1]
	s_cbranch_vccnz .LBB102_861
; %bb.860:
	v_cvt_f32_f16_e32 v3, s11
	global_store_dword v[0:1], v3, off
.LBB102_861:
	s_mov_b64 s[0:1], 0
.LBB102_862:
	s_andn2_b64 vcc, exec, s[0:1]
	s_cbranch_vccnz .LBB102_864
; %bb.863:
	v_mov_b32_e32 v3, s11
	global_store_short v[0:1], v3, off
.LBB102_864:
	s_mov_b64 s[0:1], 0
.LBB102_865:
	s_andn2_b64 vcc, exec, s[0:1]
	s_cbranch_vccnz .LBB102_881
; %bb.866:
	v_cmp_gt_i16_e32 vcc, 2, v2
	s_mov_b64 s[0:1], -1
	s_cbranch_vccnz .LBB102_876
; %bb.867:
	v_cmp_gt_i16_e32 vcc, 3, v2
	s_cbranch_vccnz .LBB102_873
; %bb.868:
	v_cmp_lt_i16_e32 vcc, 3, v2
	s_cbranch_vccz .LBB102_870
; %bb.869:
	v_cvt_f32_f16_e32 v3, s11
	s_mov_b64 s[0:1], 0
	v_cvt_i32_f32_e32 v4, v3
	v_ashrrev_i32_e32 v5, 31, v4
	global_store_dwordx2 v[0:1], v[4:5], off
.LBB102_870:
	s_andn2_b64 vcc, exec, s[0:1]
	s_cbranch_vccnz .LBB102_872
; %bb.871:
	v_cvt_f32_f16_e32 v3, s11
	v_cvt_i32_f32_e32 v3, v3
	global_store_dword v[0:1], v3, off
.LBB102_872:
	s_mov_b64 s[0:1], 0
.LBB102_873:
	s_andn2_b64 vcc, exec, s[0:1]
	s_cbranch_vccnz .LBB102_875
; %bb.874:
	v_cvt_i16_f16_e32 v3, s11
	global_store_short v[0:1], v3, off
.LBB102_875:
	s_mov_b64 s[0:1], 0
.LBB102_876:
	s_andn2_b64 vcc, exec, s[0:1]
	s_cbranch_vccnz .LBB102_881
; %bb.877:
	v_cmp_lt_i16_e32 vcc, 0, v2
	s_mov_b64 s[0:1], -1
	s_cbranch_vccz .LBB102_879
; %bb.878:
	v_cvt_i16_f16_e32 v2, s11
	global_store_byte v[0:1], v2, off
	s_mov_b64 s[0:1], 0
.LBB102_879:
	s_andn2_b64 vcc, exec, s[0:1]
	s_cbranch_vccnz .LBB102_881
; %bb.880:
	v_cvt_f32_f16_e32 v2, s11
	v_cvt_i32_f32_e32 v2, v2
	global_store_byte v[0:1], v2, off
	s_endpgm
.LBB102_881:
	s_endpgm
.LBB102_882:
	s_trap 2
	s_or_b64 s[4:5], s[4:5], exec
	s_cbranch_execz .LBB102_800
	s_branch .LBB102_801
.LBB102_883:
	s_mov_b64 s[12:13], -1
	s_mov_b64 s[8:9], 0
                                        ; implicit-def: $sgpr14
.LBB102_884:
	s_andn2_b64 vcc, exec, s[12:13]
	v_mov_b32_e32 v3, s14
                                        ; implicit-def: $sgpr12
	s_cbranch_vccnz .LBB102_886
; %bb.885:
	v_mov_b32_e32 v3, 0x42800000
	v_add_f32_e64 v3, |s10|, v3
	v_and_b32_e32 v3, 0xff, v3
	s_mov_b32 s12, 0
	v_cmp_ne_u32_e64 s[8:9], 0, v3
.LBB102_886:
	s_andn2_b64 vcc, exec, s[8:9]
	v_mov_b32_e32 v4, s12
	s_cbranch_vccnz .LBB102_888
; %bb.887:
	s_lshr_b32 s8, s10, 24
	s_and_b32 s8, s8, 0x80
	v_or_b32_e32 v4, s8, v3
.LBB102_888:
	s_mov_b64 s[8:9], 0
	global_store_byte v[0:1], v4, off
.LBB102_889:
	s_and_b64 vcc, exec, s[8:9]
	s_cbranch_vccz .LBB102_901
; %bb.890:
	v_cvt_f32_f16_e32 v3, s11
	v_readfirstlane_b32 s10, v3
	s_and_b32 s12, s10, 0x7fffffff
	s_cmp_lt_u32 s12, 0x43f00000
	s_cbranch_scc0 .LBB102_893
; %bb.891:
	s_cmp_gt_u32 s12, 0x3c7fffff
	s_cbranch_scc0 .LBB102_894
; %bb.892:
	s_bfe_u32 s8, s10, 0x10014
	s_add_i32 s8, s10, s8
	s_add_i32 s8, s8, 0x407ffff
	s_lshr_b32 s9, s8, 20
	s_and_b32 s8, s8, 0xff00000
	s_cmp_lg_u32 s8, 0x7f00000
	s_cselect_b32 s13, s9, 0x7e
	s_mov_b64 s[8:9], 0
	s_branch .LBB102_895
.LBB102_893:
	s_mov_b64 s[8:9], -1
                                        ; implicit-def: $vgpr4
	s_branch .LBB102_898
.LBB102_894:
	s_mov_b64 s[8:9], -1
                                        ; implicit-def: $sgpr13
.LBB102_895:
	s_andn2_b64 vcc, exec, s[8:9]
	v_mov_b32_e32 v4, s13
	s_cbranch_vccnz .LBB102_897
; %bb.896:
	s_mov_b32 s8, 0x46800000
	v_add_f32_e64 v4, |v3|, s8
.LBB102_897:
	s_mov_b64 s[8:9], 0
.LBB102_898:
	s_andn2_b64 vcc, exec, s[8:9]
	s_cbranch_vccnz .LBB102_900
; %bb.899:
	s_cmp_gt_u32 s12, 0x7f800000
	s_movk_i32 s8, 0x7f
	s_cselect_b32 s8, s8, 0x7e
	v_mov_b32_e32 v4, s8
.LBB102_900:
	s_lshr_b32 s8, s10, 24
	s_and_b32 s8, s8, 0x80
	v_or_b32_e32 v3, s8, v4
	global_store_byte v[0:1], v3, off
.LBB102_901:
	s_mov_b64 s[8:9], 0
.LBB102_902:
	s_andn2_b64 vcc, exec, s[8:9]
	s_cbranch_vccnz .LBB102_914
; %bb.903:
	v_cvt_f32_f16_e32 v3, s11
	v_readfirstlane_b32 s10, v3
	s_and_b32 s12, s10, 0x7fffffff
	s_cmp_lt_u32 s12, 0x47800000
	s_cbranch_scc0 .LBB102_906
; %bb.904:
	s_cmp_gt_u32 s12, 0x387fffff
	s_cbranch_scc0 .LBB102_907
; %bb.905:
	s_bfe_u32 s8, s10, 0x10015
	s_add_i32 s8, s10, s8
	s_add_i32 s8, s8, 0x80fffff
	s_lshr_b32 s13, s8, 21
	s_mov_b64 s[8:9], 0
	s_branch .LBB102_908
.LBB102_906:
	s_mov_b64 s[8:9], -1
                                        ; implicit-def: $vgpr4
	s_branch .LBB102_911
.LBB102_907:
	s_mov_b64 s[8:9], -1
                                        ; implicit-def: $sgpr13
.LBB102_908:
	s_andn2_b64 vcc, exec, s[8:9]
	v_mov_b32_e32 v4, s13
	s_cbranch_vccnz .LBB102_910
; %bb.909:
	s_mov_b32 s8, 0x43000000
	v_add_f32_e64 v4, |v3|, s8
.LBB102_910:
	s_mov_b64 s[8:9], 0
.LBB102_911:
	s_andn2_b64 vcc, exec, s[8:9]
	s_cbranch_vccnz .LBB102_913
; %bb.912:
	s_cmp_gt_u32 s12, 0x7f800000
	s_movk_i32 s8, 0x7f
	s_cselect_b32 s8, s8, 0x7c
	v_mov_b32_e32 v4, s8
.LBB102_913:
	s_lshr_b32 s8, s10, 24
	s_and_b32 s8, s8, 0x80
	v_or_b32_e32 v3, s8, v4
	global_store_byte v[0:1], v3, off
.LBB102_914:
	s_mov_b64 s[8:9], 0
.LBB102_915:
	s_andn2_b64 vcc, exec, s[8:9]
	s_mov_b64 s[8:9], 0
	s_cbranch_vccnz .LBB102_922
; %bb.916:
	v_cmp_lt_i16_e32 vcc, 14, v2
	s_mov_b64 s[12:13], -1
	s_cbranch_vccz .LBB102_920
; %bb.917:
	v_cmp_eq_u16_e32 vcc, 15, v2
	s_mov_b64 s[6:7], -1
	s_cbranch_vccz .LBB102_919
; %bb.918:
	v_cvt_f32_f16_e32 v3, s11
	v_mov_b32_e32 v4, 0x7fc0
	v_cmp_o_f16_e64 vcc, s11, s11
	s_mov_b64 s[6:7], 0
	v_bfe_u32 v5, v3, 16, 1
	v_add_u32_e32 v3, v3, v5
	v_add_u32_e32 v3, 0x7fff, v3
	v_lshrrev_b32_e32 v3, 16, v3
	v_cndmask_b32_e32 v3, v4, v3, vcc
	global_store_short v[0:1], v3, off
.LBB102_919:
	s_mov_b64 s[12:13], 0
.LBB102_920:
	s_and_b64 vcc, exec, s[12:13]
	s_cbranch_vccz .LBB102_922
; %bb.921:
	v_cmp_ne_u16_e64 s[6:7], 11, v2
	s_mov_b64 s[8:9], -1
.LBB102_922:
	s_and_b64 vcc, exec, s[6:7]
	s_cbranch_vccnz .LBB102_924
.LBB102_923:
	s_mov_b64 s[6:7], 0
	s_branch .LBB102_841
.LBB102_924:
	s_mov_b64 s[8:9], 0
	s_or_b64 s[4:5], s[4:5], exec
	s_trap 2
	s_branch .LBB102_923
	.section	.rodata,"a",@progbits
	.p2align	6, 0x0
	.amdhsa_kernel _ZN2at6native32elementwise_kernel_manual_unrollILi128ELi4EZNS0_15gpu_kernel_implINS0_11FillFunctorIN3c104HalfEEEEEvRNS_18TensorIteratorBaseERKT_EUlibE_EEviT1_
		.amdhsa_group_segment_fixed_size 0
		.amdhsa_private_segment_fixed_size 0
		.amdhsa_kernarg_size 24
		.amdhsa_user_sgpr_count 6
		.amdhsa_user_sgpr_private_segment_buffer 1
		.amdhsa_user_sgpr_dispatch_ptr 0
		.amdhsa_user_sgpr_queue_ptr 0
		.amdhsa_user_sgpr_kernarg_segment_ptr 1
		.amdhsa_user_sgpr_dispatch_id 0
		.amdhsa_user_sgpr_flat_scratch_init 0
		.amdhsa_user_sgpr_kernarg_preload_length 0
		.amdhsa_user_sgpr_kernarg_preload_offset 0
		.amdhsa_user_sgpr_private_segment_size 0
		.amdhsa_uses_dynamic_stack 0
		.amdhsa_system_sgpr_private_segment_wavefront_offset 0
		.amdhsa_system_sgpr_workgroup_id_x 1
		.amdhsa_system_sgpr_workgroup_id_y 0
		.amdhsa_system_sgpr_workgroup_id_z 0
		.amdhsa_system_sgpr_workgroup_info 0
		.amdhsa_system_vgpr_workitem_id 0
		.amdhsa_next_free_vgpr 22
		.amdhsa_next_free_sgpr 61
		.amdhsa_accum_offset 24
		.amdhsa_reserve_vcc 1
		.amdhsa_reserve_flat_scratch 0
		.amdhsa_float_round_mode_32 0
		.amdhsa_float_round_mode_16_64 0
		.amdhsa_float_denorm_mode_32 3
		.amdhsa_float_denorm_mode_16_64 3
		.amdhsa_dx10_clamp 1
		.amdhsa_ieee_mode 1
		.amdhsa_fp16_overflow 0
		.amdhsa_tg_split 0
		.amdhsa_exception_fp_ieee_invalid_op 0
		.amdhsa_exception_fp_denorm_src 0
		.amdhsa_exception_fp_ieee_div_zero 0
		.amdhsa_exception_fp_ieee_overflow 0
		.amdhsa_exception_fp_ieee_underflow 0
		.amdhsa_exception_fp_ieee_inexact 0
		.amdhsa_exception_int_div_zero 0
	.end_amdhsa_kernel
	.section	.text._ZN2at6native32elementwise_kernel_manual_unrollILi128ELi4EZNS0_15gpu_kernel_implINS0_11FillFunctorIN3c104HalfEEEEEvRNS_18TensorIteratorBaseERKT_EUlibE_EEviT1_,"axG",@progbits,_ZN2at6native32elementwise_kernel_manual_unrollILi128ELi4EZNS0_15gpu_kernel_implINS0_11FillFunctorIN3c104HalfEEEEEvRNS_18TensorIteratorBaseERKT_EUlibE_EEviT1_,comdat
.Lfunc_end102:
	.size	_ZN2at6native32elementwise_kernel_manual_unrollILi128ELi4EZNS0_15gpu_kernel_implINS0_11FillFunctorIN3c104HalfEEEEEvRNS_18TensorIteratorBaseERKT_EUlibE_EEviT1_, .Lfunc_end102-_ZN2at6native32elementwise_kernel_manual_unrollILi128ELi4EZNS0_15gpu_kernel_implINS0_11FillFunctorIN3c104HalfEEEEEvRNS_18TensorIteratorBaseERKT_EUlibE_EEviT1_
                                        ; -- End function
	.section	.AMDGPU.csdata,"",@progbits
; Kernel info:
; codeLenInByte = 14196
; NumSgprs: 65
; NumVgprs: 22
; NumAgprs: 0
; TotalNumVgprs: 22
; ScratchSize: 0
; MemoryBound: 0
; FloatMode: 240
; IeeeMode: 1
; LDSByteSize: 0 bytes/workgroup (compile time only)
; SGPRBlocks: 8
; VGPRBlocks: 2
; NumSGPRsForWavesPerEU: 65
; NumVGPRsForWavesPerEU: 22
; AccumOffset: 24
; Occupancy: 8
; WaveLimiterHint : 0
; COMPUTE_PGM_RSRC2:SCRATCH_EN: 0
; COMPUTE_PGM_RSRC2:USER_SGPR: 6
; COMPUTE_PGM_RSRC2:TRAP_HANDLER: 0
; COMPUTE_PGM_RSRC2:TGID_X_EN: 1
; COMPUTE_PGM_RSRC2:TGID_Y_EN: 0
; COMPUTE_PGM_RSRC2:TGID_Z_EN: 0
; COMPUTE_PGM_RSRC2:TIDIG_COMP_CNT: 0
; COMPUTE_PGM_RSRC3_GFX90A:ACCUM_OFFSET: 5
; COMPUTE_PGM_RSRC3_GFX90A:TG_SPLIT: 0
	.section	.text._ZN2at6native32elementwise_kernel_manual_unrollILi128ELi4EZNS0_15gpu_kernel_implINS0_11FillFunctorIN3c104HalfEEEEEvRNS_18TensorIteratorBaseERKT_EUlibE0_EEviT1_,"axG",@progbits,_ZN2at6native32elementwise_kernel_manual_unrollILi128ELi4EZNS0_15gpu_kernel_implINS0_11FillFunctorIN3c104HalfEEEEEvRNS_18TensorIteratorBaseERKT_EUlibE0_EEviT1_,comdat
	.protected	_ZN2at6native32elementwise_kernel_manual_unrollILi128ELi4EZNS0_15gpu_kernel_implINS0_11FillFunctorIN3c104HalfEEEEEvRNS_18TensorIteratorBaseERKT_EUlibE0_EEviT1_ ; -- Begin function _ZN2at6native32elementwise_kernel_manual_unrollILi128ELi4EZNS0_15gpu_kernel_implINS0_11FillFunctorIN3c104HalfEEEEEvRNS_18TensorIteratorBaseERKT_EUlibE0_EEviT1_
	.globl	_ZN2at6native32elementwise_kernel_manual_unrollILi128ELi4EZNS0_15gpu_kernel_implINS0_11FillFunctorIN3c104HalfEEEEEvRNS_18TensorIteratorBaseERKT_EUlibE0_EEviT1_
	.p2align	8
	.type	_ZN2at6native32elementwise_kernel_manual_unrollILi128ELi4EZNS0_15gpu_kernel_implINS0_11FillFunctorIN3c104HalfEEEEEvRNS_18TensorIteratorBaseERKT_EUlibE0_EEviT1_,@function
_ZN2at6native32elementwise_kernel_manual_unrollILi128ELi4EZNS0_15gpu_kernel_implINS0_11FillFunctorIN3c104HalfEEEEEvRNS_18TensorIteratorBaseERKT_EUlibE0_EEviT1_: ; @_ZN2at6native32elementwise_kernel_manual_unrollILi128ELi4EZNS0_15gpu_kernel_implINS0_11FillFunctorIN3c104HalfEEEEEvRNS_18TensorIteratorBaseERKT_EUlibE0_EEviT1_
; %bb.0:
	s_load_dword s92, s[4:5], 0x0
	s_load_dword s33, s[4:5], 0x8
	s_or_b32 s28, s4, 8
	v_lshl_or_b32 v13, s6, 9, v0
	v_or_b32_e32 v8, 0x180, v13
	s_mov_b32 s29, s5
	s_waitcnt lgkmcnt(0)
	s_add_i32 s80, s33, -1
	s_cmp_gt_u32 s80, 1
	v_cmp_le_i32_e32 vcc, s92, v8
	s_cselect_b64 s[34:35], -1, 0
	s_mov_b64 s[30:31], 0
	s_mov_b64 s[6:7], 0
	s_and_saveexec_b64 s[0:1], vcc
	s_xor_b64 s[36:37], exec, s[0:1]
	s_cbranch_execz .LBB103_462
; %bb.1:
	s_load_dwordx2 s[56:57], s[28:29], 0xc4
	s_load_dwordx2 s[54:55], s[28:29], 0x108
	s_load_dword s81, s[28:29], 0x110
	s_cmp_lg_u32 s33, 0
	s_cselect_b64 s[64:65], -1, 0
	s_add_u32 s62, s28, 0xc4
	s_load_dword s0, s[4:5], 0x118
	s_load_dwordx4 s[16:19], s[28:29], 0x4
	s_load_dwordx2 s[58:59], s[28:29], 0x14
	s_waitcnt lgkmcnt(0)
	v_cvt_f32_f16_e32 v6, s81
	s_addc_u32 s63, s29, 0
	s_min_u32 s93, s80, 15
	s_cmp_gt_u32 s33, 1
	v_and_b32_e32 v2, 0x400000, v6
	s_cselect_b64 s[60:61], -1, 0
	s_lshr_b32 s91, s0, 16
	v_bfe_u32 v1, v6, 23, 8
	s_movk_i32 s0, 0xff
	v_cmp_ne_u32_e32 vcc, 0, v2
	v_and_b32_e32 v2, 0x3fffff, v6
	v_cmp_eq_u32_e64 s[6:7], s0, v1
	v_or_b32_e32 v1, v1, v2
	v_cmp_ne_u32_e64 s[0:1], 0, v1
	v_readfirstlane_b32 s8, v6
	s_and_b64 s[0:1], vcc, s[0:1]
	s_and_b32 s9, s8, 0x7fffffff
	s_cmp_lt_u32 s9, 0x43800000
	s_cselect_b64 s[50:51], -1, 0
	s_cmp_gt_u32 s9, 0x3bffffff
	v_cndmask_b32_e64 v1, 0, 1, s[0:1]
	s_cselect_b64 s[2:3], -1, 0
	s_bfe_u32 s0, s8, 0x10014
	s_add_i32 s10, s8, s0
	s_add_i32 s0, s10, 0x487ffff
	s_lshr_b32 s90, s0, 20
	s_mov_b32 s0, 0x46000000
	v_add_f32_e64 v18, |v6|, s0
	v_readfirstlane_b32 s0, v18
	s_and_b32 s0, s0, 0xff
	s_cmp_lg_u32 s0, 0
	s_cselect_b64 s[52:53], -1, 0
	s_cmp_gt_u32 s9, 0x477fffff
	s_cselect_b64 s[38:39], -1, 0
	s_cmp_lt_u32 s9, 0x47800000
	s_movk_i32 s0, 0x80
	s_cselect_b64 s[46:47], -1, 0
	s_cmp_gt_u32 s9, 0x37ffffff
	v_and_b32_sdwa v15, v6, s0 dst_sel:DWORD dst_unused:UNUSED_PAD src0_sel:BYTE_3 src1_sel:DWORD
	s_cselect_b64 s[0:1], -1, 0
	s_bfe_u32 s11, s8, 0x10015
	s_add_i32 s8, s8, s11
	s_add_i32 s11, s8, 0x88fffff
	s_lshr_b32 s88, s11, 21
	s_mov_b32 s11, 0x42800000
	v_add_f32_e64 v17, |v6|, s11
	v_readfirstlane_b32 s11, v17
	s_and_b32 s11, s11, 0xff
	s_cmp_lg_u32 s11, 0
	s_cselect_b64 s[48:49], -1, 0
	s_cmp_gt_u32 s9, 0x43efffff
	s_cselect_b64 s[42:43], -1, 0
	s_cmp_lt_u32 s9, 0x3c800000
	s_cselect_b64 s[44:45], -1, 0
	s_add_i32 s10, s10, 0x407ffff
	s_lshr_b32 s11, s10, 20
	s_and_b32 s10, s10, 0xff00000
	s_cmp_lg_u32 s10, 0x7f00000
	s_cselect_b32 s86, s11, 0x7e
	s_cmp_lt_u32 s9, 0x38800000
	s_cselect_b64 s[40:41], -1, 0
	s_add_i32 s8, s8, 0x80fffff
	s_lshr_b32 s83, s8, 21
	v_lshrrev_b32_e32 v0, 23, v6
	s_mov_b32 s10, 0x46800000
	s_cmp_gt_u32 s9, 0x7f800000
	s_movk_i32 s8, 0x7f
	v_add_u32_e32 v20, v0, v1
	v_add_f32_e64 v0, |v6|, s10
	s_cselect_b32 s89, s8, 0x7e
	s_mov_b32 s8, 0x43000000
	v_readfirstlane_b32 s87, v0
	v_add_f32_e64 v0, |v6|, s8
	v_readfirstlane_b32 s84, v0
	v_bfe_u32 v0, v6, 16, 1
	v_add_u32_e32 v0, v6, v0
	v_add_u32_e32 v0, 0x7fff, v0
	v_lshrrev_b32_e32 v0, 16, v0
	v_mov_b32_e32 v1, 0x7fc0
	v_cmp_o_f16_e64 vcc, s81, s81
	v_cvt_i32_f32_e32 v4, v6
	v_cvt_u32_f32_e32 v8, v6
	v_cndmask_b32_e32 v16, v1, v0, vcc
	v_mov_b32_e32 v0, 0x7fff
	v_and_b32_e32 v0, s81, v0
	s_movk_i32 s8, 0x7c
	v_cmp_ne_u16_e32 vcc, 0, v0
	v_mov_b32_e32 v9, 0
	v_cvt_u16_f16_e32 v19, s81
	s_cselect_b32 s85, 0x7f, s8
	s_and_b32 s82, s81, 0xffff
	v_cndmask_b32_e64 v14, 0, 1, vcc
	v_cvt_f64_f32_e32 v[0:1], v6
	v_ashrrev_i32_e32 v5, 31, v4
	v_cvt_i16_f16_e32 v12, s81
	v_cmp_gt_i32_e32 vcc, s92, v13
	s_mov_b64 s[10:11], -1
	s_mov_b64 s[72:73], 0
	s_mov_b64 s[66:67], 0
	s_and_saveexec_b64 s[68:69], vcc
	s_cbranch_execz .LBB103_114
; %bb.2:
	s_andn2_b64 vcc, exec, s[34:35]
	s_cbranch_vccnz .LBB103_7
; %bb.3:
	s_andn2_b64 vcc, exec, s[64:65]
	s_cbranch_vccnz .LBB103_8
; %bb.4:
	s_add_i32 s75, s93, 1
	s_mov_b32 s74, 0
	s_cmp_eq_u32 s80, 2
	v_mov_b32_e32 v2, 0
	s_cbranch_scc1 .LBB103_9
; %bb.5:
	s_and_b32 s74, s75, 28
	s_mov_b32 s76, 0
	v_mov_b32_e32 v2, 0
	s_mov_b64 s[66:67], s[28:29]
	s_mov_b64 s[70:71], s[62:63]
	v_mov_b32_e32 v7, v13
.LBB103_6:                              ; =>This Inner Loop Header: Depth=1
	s_load_dwordx8 s[8:15], s[66:67], 0x4
	s_load_dwordx4 s[20:23], s[66:67], 0x24
	s_load_dwordx4 s[24:27], s[70:71], 0x0
	s_add_u32 s66, s66, 48
	s_addc_u32 s67, s67, 0
	s_waitcnt lgkmcnt(0)
	v_mul_hi_u32 v3, s9, v7
	v_add_u32_e32 v3, v7, v3
	v_lshrrev_b32_e32 v3, s10, v3
	v_mul_lo_u32 v10, v3, s8
	v_mul_hi_u32 v11, s12, v3
	v_sub_u32_e32 v7, v7, v10
	v_add_u32_e32 v10, v3, v11
	v_lshrrev_b32_e32 v10, s13, v10
	v_mul_lo_u32 v11, v10, s11
	v_mul_hi_u32 v21, s15, v10
	v_sub_u32_e32 v3, v3, v11
	v_add_u32_e32 v11, v10, v21
	v_mul_lo_u32 v7, v7, s24
	v_mul_lo_u32 v3, v3, s25
	v_lshrrev_b32_e32 v11, s20, v11
	v_add3_u32 v2, v7, v2, v3
	v_mul_hi_u32 v7, s22, v11
	v_add_u32_e32 v7, v11, v7
	v_mul_lo_u32 v3, v11, s14
	v_lshrrev_b32_e32 v7, s23, v7
	s_add_i32 s76, s76, 4
	v_sub_u32_e32 v3, v10, v3
	v_mul_lo_u32 v10, v7, s21
	s_add_u32 s70, s70, 16
	v_sub_u32_e32 v10, v11, v10
	s_addc_u32 s71, s71, 0
	v_mul_lo_u32 v3, v3, s26
	v_mul_lo_u32 v10, v10, s27
	s_cmp_lg_u32 s74, s76
	v_add3_u32 v2, v3, v2, v10
	s_cbranch_scc1 .LBB103_6
	s_branch .LBB103_10
.LBB103_7:
                                        ; implicit-def: $vgpr2
	s_branch .LBB103_14
.LBB103_8:
	v_mov_b32_e32 v2, 0
	s_branch .LBB103_13
.LBB103_9:
	v_mov_b32_e32 v7, v13
.LBB103_10:
	s_and_b32 s12, s75, 3
	s_cmp_eq_u32 s12, 0
	s_cbranch_scc1 .LBB103_13
; %bb.11:
	s_lshl_b32 s8, s74, 2
	s_add_u32 s8, s8, s28
	s_addc_u32 s9, s29, 0
	s_add_u32 s8, s8, 0xc4
	s_addc_u32 s9, s9, 0
	s_mul_i32 s10, s74, 12
	s_add_u32 s10, s28, s10
	s_addc_u32 s11, s29, 0
.LBB103_12:                             ; =>This Inner Loop Header: Depth=1
	s_load_dwordx2 s[14:15], s[10:11], 0x4
	s_load_dword s13, s[10:11], 0xc
	s_load_dword s20, s[8:9], 0x0
	s_add_u32 s10, s10, 12
	s_addc_u32 s11, s11, 0
	s_waitcnt lgkmcnt(0)
	v_mul_hi_u32 v3, s15, v7
	v_add_u32_e32 v3, v7, v3
	v_lshrrev_b32_e32 v3, s13, v3
	s_add_u32 s8, s8, 4
	v_mul_lo_u32 v10, v3, s14
	s_addc_u32 s9, s9, 0
	s_add_i32 s12, s12, -1
	v_sub_u32_e32 v10, v7, v10
	s_cmp_lg_u32 s12, 0
	v_mov_b32_e32 v7, v3
	v_mad_u64_u32 v[2:3], s[14:15], v10, s20, v[2:3]
	s_cbranch_scc1 .LBB103_12
.LBB103_13:
	s_cbranch_execnz .LBB103_16
.LBB103_14:
	v_mul_hi_u32 v2, s17, v13
	v_add_u32_e32 v2, v13, v2
	v_lshrrev_b32_e32 v3, s18, v2
	v_mul_lo_u32 v2, v3, s16
	v_sub_u32_e32 v2, v13, v2
	s_andn2_b64 vcc, exec, s[60:61]
	v_mul_lo_u32 v2, v2, s56
	s_cbranch_vccnz .LBB103_16
; %bb.15:
	v_mul_hi_u32 v7, s58, v3
	v_add_u32_e32 v7, v3, v7
	v_lshrrev_b32_e32 v7, s59, v7
	v_mul_lo_u32 v7, v7, s19
	v_sub_u32_e32 v3, v3, v7
	v_mad_u64_u32 v[2:3], s[8:9], v3, s57, v[2:3]
.LBB103_16:
	v_mov_b32_e32 v3, s55
	v_add_co_u32_e32 v10, vcc, s54, v2
	v_mov_b32_e32 v2, 11
	v_addc_co_u32_e32 v11, vcc, 0, v3, vcc
	v_cmp_lt_i16_sdwa s[8:9], s91, v2 src0_sel:BYTE_0 src1_sel:DWORD
	s_and_b64 vcc, exec, s[8:9]
	s_cbranch_vccnz .LBB103_23
; %bb.17:
	v_mov_b32_e32 v2, 25
	v_cmp_gt_i16_sdwa s[8:9], s91, v2 src0_sel:BYTE_0 src1_sel:DWORD
	s_and_b64 vcc, exec, s[8:9]
	s_cbranch_vccz .LBB103_26
; %bb.18:
	v_mov_b32_e32 v2, 28
	v_cmp_gt_i16_sdwa s[8:9], s91, v2 src0_sel:BYTE_0 src1_sel:DWORD
	s_and_b64 vcc, exec, s[8:9]
	s_cbranch_vccz .LBB103_27
	;; [unrolled: 5-line block ×4, first 2 shown]
; %bb.21:
	v_mov_b32_e32 v2, 46
	v_cmp_eq_u16_sdwa s[10:11], s91, v2 src0_sel:BYTE_0 src1_sel:DWORD
	s_mov_b64 s[12:13], 0
	s_mov_b64 s[8:9], -1
	s_and_b64 vcc, exec, s[10:11]
	s_mov_b64 s[10:11], 0
	s_cbranch_vccz .LBB103_30
; %bb.22:
	global_store_dword v[10:11], v16, off
	s_mov_b64 s[10:11], -1
	s_mov_b64 s[8:9], 0
	s_branch .LBB103_30
.LBB103_23:
	s_mov_b64 s[8:9], 0
	s_mov_b64 s[10:11], 0
	s_cbranch_execnz .LBB103_74
.LBB103_24:
	s_andn2_b64 vcc, exec, s[10:11]
	s_cbranch_vccnz .LBB103_112
.LBB103_25:
	v_add_u32_e32 v13, 0x80, v13
	s_mov_b64 s[10:11], -1
	s_branch .LBB103_113
.LBB103_26:
	s_mov_b64 s[8:9], 0
	s_mov_b64 s[10:11], 0
	s_cbranch_execnz .LBB103_52
	s_branch .LBB103_73
.LBB103_27:
	s_mov_b64 s[12:13], -1
	s_mov_b64 s[8:9], 0
	s_mov_b64 s[10:11], 0
	s_branch .LBB103_38
.LBB103_28:
	s_mov_b64 s[12:13], -1
	s_mov_b64 s[8:9], 0
	s_mov_b64 s[10:11], 0
	s_branch .LBB103_34
.LBB103_29:
	s_mov_b64 s[12:13], -1
	s_mov_b64 s[8:9], 0
	s_mov_b64 s[10:11], 0
.LBB103_30:
	s_and_b64 vcc, exec, s[12:13]
	s_cbranch_vccz .LBB103_33
; %bb.31:
	v_mov_b32_e32 v2, 44
	v_cmp_eq_u16_sdwa s[12:13], s91, v2 src0_sel:BYTE_0 src1_sel:DWORD
	s_mov_b64 s[8:9], -1
	s_and_b64 vcc, exec, s[12:13]
	s_cbranch_vccz .LBB103_33
; %bb.32:
	v_mov_b32_e32 v2, 0xff
	v_cndmask_b32_e64 v2, v20, v2, s[6:7]
	global_store_byte v[10:11], v2, off
	s_mov_b64 s[10:11], -1
	s_mov_b64 s[8:9], 0
.LBB103_33:
	s_mov_b64 s[12:13], 0
.LBB103_34:
	s_and_b64 vcc, exec, s[12:13]
	s_cbranch_vccz .LBB103_37
; %bb.35:
	v_mov_b32_e32 v2, 29
	v_cmp_eq_u16_sdwa s[12:13], s91, v2 src0_sel:BYTE_0 src1_sel:DWORD
	s_mov_b64 s[8:9], -1
	s_and_b64 vcc, exec, s[12:13]
	s_cbranch_vccz .LBB103_37
; %bb.36:
	global_store_dwordx2 v[10:11], v[8:9], off
	s_mov_b64 s[10:11], -1
	s_mov_b64 s[8:9], 0
.LBB103_37:
	s_mov_b64 s[12:13], 0
.LBB103_38:
	s_and_b64 vcc, exec, s[12:13]
	s_cbranch_vccz .LBB103_51
; %bb.39:
	v_mov_b32_e32 v2, 27
	v_cmp_lt_i16_sdwa s[12:13], s91, v2 src0_sel:BYTE_0 src1_sel:DWORD
	s_mov_b64 s[10:11], -1
	s_and_b64 vcc, exec, s[12:13]
	s_cbranch_vccnz .LBB103_45
; %bb.40:
	v_cmp_gt_i16_sdwa s[12:13], s91, v2 src0_sel:BYTE_0 src1_sel:DWORD
	s_and_b64 vcc, exec, s[12:13]
	s_cbranch_vccz .LBB103_42
; %bb.41:
	s_mov_b64 s[10:11], 0
	global_store_dword v[10:11], v8, off
.LBB103_42:
	s_andn2_b64 vcc, exec, s[10:11]
	s_cbranch_vccnz .LBB103_44
; %bb.43:
	global_store_short v[10:11], v19, off
.LBB103_44:
	s_mov_b64 s[10:11], 0
.LBB103_45:
	s_andn2_b64 vcc, exec, s[10:11]
	s_cbranch_vccnz .LBB103_50
; %bb.46:
	s_andn2_b64 vcc, exec, s[50:51]
	v_mov_b32_e32 v2, 0x80
	s_cbranch_vccnz .LBB103_49
; %bb.47:
	s_or_b64 s[10:11], s[2:3], s[52:53]
	s_andn2_b64 vcc, exec, s[10:11]
	v_mov_b32_e32 v2, 0
	s_cbranch_vccnz .LBB103_49
; %bb.48:
	v_mov_b32_e32 v2, s90
	v_cndmask_b32_e64 v2, v18, v2, s[2:3]
	v_or_b32_e32 v2, v2, v15
.LBB103_49:
	global_store_byte v[10:11], v2, off
.LBB103_50:
	s_mov_b64 s[10:11], -1
.LBB103_51:
	s_branch .LBB103_73
.LBB103_52:
	v_mov_b32_e32 v2, 22
	v_cmp_gt_i16_sdwa s[14:15], s91, v2 src0_sel:BYTE_0 src1_sel:DWORD
	s_mov_b64 s[12:13], -1
	s_and_b64 vcc, exec, s[14:15]
	s_cbranch_vccz .LBB103_65
; %bb.53:
	v_mov_b32_e32 v2, 24
	v_cmp_lt_i16_sdwa s[12:13], s91, v2 src0_sel:BYTE_0 src1_sel:DWORD
	s_mov_b64 s[10:11], -1
	s_and_b64 vcc, exec, s[12:13]
	s_cbranch_vccnz .LBB103_62
; %bb.54:
	v_cmp_gt_i16_sdwa s[12:13], s91, v2 src0_sel:BYTE_0 src1_sel:DWORD
	s_and_b64 vcc, exec, s[12:13]
	s_cbranch_vccz .LBB103_59
; %bb.55:
	s_andn2_b64 vcc, exec, s[46:47]
	v_mov_b32_e32 v2, 0x80
	s_cbranch_vccnz .LBB103_58
; %bb.56:
	s_or_b64 s[10:11], s[0:1], s[48:49]
	s_andn2_b64 vcc, exec, s[10:11]
	v_mov_b32_e32 v2, 0
	s_cbranch_vccnz .LBB103_58
; %bb.57:
	v_mov_b32_e32 v2, s88
	v_cndmask_b32_e64 v2, v17, v2, s[0:1]
	v_or_b32_e32 v2, v2, v15
.LBB103_58:
	s_mov_b64 s[10:11], 0
	global_store_byte v[10:11], v2, off
.LBB103_59:
	s_and_b64 vcc, exec, s[10:11]
	s_cbranch_vccz .LBB103_61
; %bb.60:
	s_and_b64 s[10:11], s[44:45], exec
	s_cselect_b32 s12, s87, s86
	s_and_b64 s[10:11], s[42:43], exec
	s_cselect_b32 s10, s89, s12
	v_or_b32_e32 v2, s10, v15
	global_store_byte v[10:11], v2, off
.LBB103_61:
	s_mov_b64 s[10:11], 0
.LBB103_62:
	s_andn2_b64 vcc, exec, s[10:11]
	s_cbranch_vccnz .LBB103_64
; %bb.63:
	s_and_b64 s[10:11], s[40:41], exec
	s_cselect_b32 s12, s84, s83
	s_and_b64 s[10:11], s[38:39], exec
	s_cselect_b32 s10, s85, s12
	v_or_b32_e32 v2, s10, v15
	global_store_byte v[10:11], v2, off
.LBB103_64:
	s_mov_b64 s[12:13], 0
	s_mov_b64 s[10:11], -1
.LBB103_65:
	s_andn2_b64 vcc, exec, s[12:13]
	s_cbranch_vccnz .LBB103_73
; %bb.66:
	v_mov_b32_e32 v2, 14
	v_cmp_gt_i16_sdwa s[14:15], s91, v2 src0_sel:BYTE_0 src1_sel:DWORD
	s_mov_b64 s[12:13], -1
	s_and_b64 vcc, exec, s[14:15]
	s_cbranch_vccz .LBB103_70
; %bb.67:
	v_mov_b32_e32 v2, 15
	v_cmp_eq_u16_sdwa s[12:13], s91, v2 src0_sel:BYTE_0 src1_sel:DWORD
	s_mov_b64 s[8:9], -1
	s_and_b64 vcc, exec, s[12:13]
	s_cbranch_vccz .LBB103_69
; %bb.68:
	global_store_short v[10:11], v16, off
	s_mov_b64 s[10:11], -1
	s_mov_b64 s[8:9], 0
.LBB103_69:
	s_mov_b64 s[12:13], 0
.LBB103_70:
	s_and_b64 vcc, exec, s[12:13]
	s_cbranch_vccz .LBB103_73
; %bb.71:
	v_mov_b32_e32 v2, 11
	v_cmp_eq_u16_sdwa s[12:13], s91, v2 src0_sel:BYTE_0 src1_sel:DWORD
	s_mov_b64 s[8:9], -1
	s_and_b64 vcc, exec, s[12:13]
	s_cbranch_vccz .LBB103_73
; %bb.72:
	s_mov_b64 s[10:11], -1
	s_mov_b64 s[8:9], 0
	global_store_byte v[10:11], v14, off
.LBB103_73:
	s_branch .LBB103_24
.LBB103_74:
	v_mov_b32_e32 v2, 5
	v_cmp_lt_i16_sdwa s[12:13], s91, v2 src0_sel:BYTE_0 src1_sel:DWORD
	s_mov_b64 s[10:11], -1
	s_and_b64 vcc, exec, s[12:13]
	s_cbranch_vccnz .LBB103_95
; %bb.75:
	v_mov_b32_e32 v2, 8
	v_cmp_lt_i16_sdwa s[12:13], s91, v2 src0_sel:BYTE_0 src1_sel:DWORD
	s_and_b64 vcc, exec, s[12:13]
	s_cbranch_vccnz .LBB103_85
; %bb.76:
	v_mov_b32_e32 v2, 9
	v_cmp_lt_i16_sdwa s[12:13], s91, v2 src0_sel:BYTE_0 src1_sel:DWORD
	s_and_b64 vcc, exec, s[12:13]
	s_cbranch_vccnz .LBB103_82
; %bb.77:
	v_cmp_gt_i16_sdwa s[12:13], s91, v2 src0_sel:BYTE_0 src1_sel:DWORD
	s_and_b64 vcc, exec, s[12:13]
	s_cbranch_vccz .LBB103_79
; %bb.78:
	v_mov_b32_e32 v2, 0
	v_mov_b32_e32 v3, v2
	global_store_dwordx4 v[10:11], v[0:3], off
	s_mov_b64 s[10:11], 0
.LBB103_79:
	s_andn2_b64 vcc, exec, s[10:11]
	s_cbranch_vccnz .LBB103_81
; %bb.80:
	v_mov_b32_e32 v7, 0
	global_store_dwordx2 v[10:11], v[6:7], off
.LBB103_81:
	s_mov_b64 s[10:11], 0
.LBB103_82:
	s_andn2_b64 vcc, exec, s[10:11]
	s_cbranch_vccnz .LBB103_84
; %bb.83:
	v_mov_b32_e32 v2, s82
	global_store_dword v[10:11], v2, off
.LBB103_84:
	s_mov_b64 s[10:11], 0
.LBB103_85:
	s_andn2_b64 vcc, exec, s[10:11]
	s_cbranch_vccnz .LBB103_94
; %bb.86:
	v_mov_b32_e32 v2, 6
	v_cmp_lt_i16_sdwa s[12:13], s91, v2 src0_sel:BYTE_0 src1_sel:DWORD
	s_mov_b64 s[10:11], -1
	s_and_b64 vcc, exec, s[12:13]
	s_cbranch_vccnz .LBB103_92
; %bb.87:
	v_cmp_gt_i16_sdwa s[12:13], s91, v2 src0_sel:BYTE_0 src1_sel:DWORD
	s_and_b64 vcc, exec, s[12:13]
	s_cbranch_vccz .LBB103_89
; %bb.88:
	global_store_dwordx2 v[10:11], v[0:1], off
	s_mov_b64 s[10:11], 0
.LBB103_89:
	s_andn2_b64 vcc, exec, s[10:11]
	s_cbranch_vccnz .LBB103_91
; %bb.90:
	global_store_dword v[10:11], v6, off
.LBB103_91:
	s_mov_b64 s[10:11], 0
.LBB103_92:
	s_andn2_b64 vcc, exec, s[10:11]
	s_cbranch_vccnz .LBB103_94
; %bb.93:
	v_mov_b32_e32 v2, s81
	global_store_short v[10:11], v2, off
.LBB103_94:
	s_mov_b64 s[10:11], 0
.LBB103_95:
	s_andn2_b64 vcc, exec, s[10:11]
	s_cbranch_vccnz .LBB103_111
; %bb.96:
	v_mov_b32_e32 v2, 2
	v_cmp_lt_i16_sdwa s[12:13], s91, v2 src0_sel:BYTE_0 src1_sel:DWORD
	s_mov_b64 s[10:11], -1
	s_and_b64 vcc, exec, s[12:13]
	s_cbranch_vccnz .LBB103_106
; %bb.97:
	v_mov_b32_e32 v2, 3
	v_cmp_lt_i16_sdwa s[12:13], s91, v2 src0_sel:BYTE_0 src1_sel:DWORD
	s_and_b64 vcc, exec, s[12:13]
	s_cbranch_vccnz .LBB103_103
; %bb.98:
	v_cmp_gt_i16_sdwa s[12:13], s91, v2 src0_sel:BYTE_0 src1_sel:DWORD
	s_and_b64 vcc, exec, s[12:13]
	s_cbranch_vccz .LBB103_100
; %bb.99:
	global_store_dwordx2 v[10:11], v[4:5], off
	s_mov_b64 s[10:11], 0
.LBB103_100:
	s_andn2_b64 vcc, exec, s[10:11]
	s_cbranch_vccnz .LBB103_102
; %bb.101:
	global_store_dword v[10:11], v4, off
.LBB103_102:
	s_mov_b64 s[10:11], 0
.LBB103_103:
	s_andn2_b64 vcc, exec, s[10:11]
	s_cbranch_vccnz .LBB103_105
; %bb.104:
	global_store_short v[10:11], v12, off
.LBB103_105:
	s_mov_b64 s[10:11], 0
.LBB103_106:
	s_andn2_b64 vcc, exec, s[10:11]
	s_cbranch_vccnz .LBB103_111
; %bb.107:
	v_mov_b32_e32 v2, 0
	v_cmp_gt_i16_sdwa s[12:13], s91, v2 src0_sel:BYTE_0 src1_sel:DWORD
	s_mov_b64 s[10:11], -1
	s_and_b64 vcc, exec, s[12:13]
	s_cbranch_vccz .LBB103_109
; %bb.108:
	global_store_byte v[10:11], v12, off
	s_mov_b64 s[10:11], 0
.LBB103_109:
	s_andn2_b64 vcc, exec, s[10:11]
	s_cbranch_vccnz .LBB103_111
; %bb.110:
	global_store_byte v[10:11], v4, off
.LBB103_111:
	s_branch .LBB103_25
.LBB103_112:
	s_mov_b64 s[10:11], 0
                                        ; implicit-def: $vgpr13
.LBB103_113:
	s_and_b64 s[66:67], s[8:9], exec
	s_orn2_b64 s[10:11], s[10:11], exec
.LBB103_114:
	s_or_b64 exec, exec, s[68:69]
	s_mov_b64 s[8:9], 0
                                        ; implicit-def: $vgpr21
                                        ; implicit-def: $vgpr10_vgpr11
	s_and_saveexec_b64 s[68:69], s[10:11]
	s_cbranch_execz .LBB103_121
; %bb.115:
	v_cmp_gt_i32_e32 vcc, s92, v13
	s_mov_b64 s[8:9], -1
	s_mov_b64 s[70:71], s[66:67]
	s_and_saveexec_b64 s[72:73], vcc
	s_cbranch_execz .LBB103_232
; %bb.116:
	s_andn2_b64 vcc, exec, s[34:35]
	s_cbranch_vccnz .LBB103_124
; %bb.117:
	s_andn2_b64 vcc, exec, s[64:65]
	s_cbranch_vccnz .LBB103_125
; %bb.118:
	s_add_i32 s77, s93, 1
	s_mov_b32 s76, 0
	s_cmp_eq_u32 s80, 2
	v_mov_b32_e32 v2, 0
	s_cbranch_scc1 .LBB103_126
; %bb.119:
	s_and_b32 s76, s77, 28
	s_mov_b32 s78, 0
	v_mov_b32_e32 v2, 0
	s_mov_b64 s[70:71], s[28:29]
	s_mov_b64 s[74:75], s[62:63]
	v_mov_b32_e32 v7, v13
.LBB103_120:                            ; =>This Inner Loop Header: Depth=1
	s_load_dwordx8 s[8:15], s[70:71], 0x4
	s_load_dwordx4 s[20:23], s[70:71], 0x24
	s_load_dwordx4 s[24:27], s[74:75], 0x0
	s_add_u32 s70, s70, 48
	s_addc_u32 s71, s71, 0
	s_waitcnt lgkmcnt(0)
	v_mul_hi_u32 v3, s9, v7
	v_add_u32_e32 v3, v7, v3
	v_lshrrev_b32_e32 v3, s10, v3
	v_mul_lo_u32 v10, v3, s8
	v_mul_hi_u32 v11, s12, v3
	v_sub_u32_e32 v7, v7, v10
	v_add_u32_e32 v10, v3, v11
	v_lshrrev_b32_e32 v10, s13, v10
	v_mul_lo_u32 v11, v10, s11
	v_mul_hi_u32 v21, s15, v10
	v_sub_u32_e32 v3, v3, v11
	v_add_u32_e32 v11, v10, v21
	v_mul_lo_u32 v7, v7, s24
	v_mul_lo_u32 v3, v3, s25
	v_lshrrev_b32_e32 v11, s20, v11
	v_add3_u32 v2, v7, v2, v3
	v_mul_hi_u32 v7, s22, v11
	v_add_u32_e32 v7, v11, v7
	v_mul_lo_u32 v3, v11, s14
	v_lshrrev_b32_e32 v7, s23, v7
	s_add_i32 s78, s78, 4
	v_sub_u32_e32 v3, v10, v3
	v_mul_lo_u32 v10, v7, s21
	s_add_u32 s74, s74, 16
	v_sub_u32_e32 v10, v11, v10
	s_addc_u32 s75, s75, 0
	v_mul_lo_u32 v3, v3, s26
	v_mul_lo_u32 v10, v10, s27
	s_cmp_eq_u32 s76, s78
	v_add3_u32 v2, v3, v2, v10
	s_cbranch_scc0 .LBB103_120
	s_branch .LBB103_127
.LBB103_121:
	s_or_b64 exec, exec, s[68:69]
	s_mov_b64 s[0:1], 0
	s_and_saveexec_b64 s[2:3], s[66:67]
	s_cbranch_execnz .LBB103_422
.LBB103_122:
	s_or_b64 exec, exec, s[2:3]
	s_and_saveexec_b64 s[2:3], s[72:73]
	s_xor_b64 s[2:3], exec, s[2:3]
	s_cbranch_execz .LBB103_423
.LBB103_123:
	global_store_byte v[10:11], v14, off
	s_or_b64 exec, exec, s[2:3]
	s_and_saveexec_b64 s[2:3], s[8:9]
	s_xor_b64 s[2:3], exec, s[2:3]
	s_cbranch_execz .LBB103_461
	s_branch .LBB103_424
.LBB103_124:
                                        ; implicit-def: $vgpr2
	s_andn2_b64 vcc, exec, s[8:9]
	s_cbranch_vccz .LBB103_131
	s_branch .LBB103_133
.LBB103_125:
	v_mov_b32_e32 v2, 0
	s_branch .LBB103_130
.LBB103_126:
	v_mov_b32_e32 v7, v13
.LBB103_127:
	s_and_b32 s12, s77, 3
	s_cmp_eq_u32 s12, 0
	s_cbranch_scc1 .LBB103_130
; %bb.128:
	s_lshl_b32 s8, s76, 2
	s_add_u32 s8, s8, s28
	s_addc_u32 s9, s29, 0
	s_add_u32 s8, s8, 0xc4
	s_addc_u32 s9, s9, 0
	s_mul_i32 s10, s76, 12
	s_add_u32 s10, s28, s10
	s_addc_u32 s11, s29, 0
.LBB103_129:                            ; =>This Inner Loop Header: Depth=1
	s_load_dwordx2 s[14:15], s[10:11], 0x4
	s_load_dword s13, s[10:11], 0xc
	s_load_dword s20, s[8:9], 0x0
	s_add_u32 s10, s10, 12
	s_addc_u32 s11, s11, 0
	s_waitcnt lgkmcnt(0)
	v_mul_hi_u32 v3, s15, v7
	v_add_u32_e32 v3, v7, v3
	v_lshrrev_b32_e32 v3, s13, v3
	s_add_u32 s8, s8, 4
	v_mul_lo_u32 v10, v3, s14
	s_addc_u32 s9, s9, 0
	s_add_i32 s12, s12, -1
	v_sub_u32_e32 v10, v7, v10
	s_cmp_lg_u32 s12, 0
	v_mov_b32_e32 v7, v3
	v_mad_u64_u32 v[2:3], s[14:15], v10, s20, v[2:3]
	s_cbranch_scc1 .LBB103_129
.LBB103_130:
	s_cbranch_execnz .LBB103_133
.LBB103_131:
	v_mul_hi_u32 v2, s17, v13
	v_add_u32_e32 v2, v13, v2
	v_lshrrev_b32_e32 v3, s18, v2
	v_mul_lo_u32 v2, v3, s16
	v_sub_u32_e32 v2, v13, v2
	s_andn2_b64 vcc, exec, s[60:61]
	v_mul_lo_u32 v2, v2, s56
	s_cbranch_vccnz .LBB103_133
; %bb.132:
	v_mul_hi_u32 v7, s58, v3
	v_add_u32_e32 v7, v3, v7
	v_lshrrev_b32_e32 v7, s59, v7
	v_mul_lo_u32 v7, v7, s19
	v_sub_u32_e32 v3, v3, v7
	v_mad_u64_u32 v[2:3], s[8:9], v3, s57, v[2:3]
.LBB103_133:
	v_mov_b32_e32 v3, s55
	v_add_co_u32_e32 v10, vcc, s54, v2
	v_mov_b32_e32 v2, 11
	v_addc_co_u32_e32 v11, vcc, 0, v3, vcc
	v_cmp_lt_i16_sdwa s[8:9], s91, v2 src0_sel:BYTE_0 src1_sel:DWORD
	s_and_b64 vcc, exec, s[8:9]
	s_cbranch_vccnz .LBB103_140
; %bb.134:
	v_mov_b32_e32 v2, 25
	v_cmp_gt_i16_sdwa s[8:9], s91, v2 src0_sel:BYTE_0 src1_sel:DWORD
	s_and_b64 vcc, exec, s[8:9]
	s_cbranch_vccz .LBB103_143
; %bb.135:
	v_mov_b32_e32 v2, 28
	v_cmp_gt_i16_sdwa s[8:9], s91, v2 src0_sel:BYTE_0 src1_sel:DWORD
	s_and_b64 vcc, exec, s[8:9]
	s_cbranch_vccz .LBB103_144
	;; [unrolled: 5-line block ×4, first 2 shown]
; %bb.138:
	v_mov_b32_e32 v2, 46
	v_cmp_eq_u16_sdwa s[10:11], s91, v2 src0_sel:BYTE_0 src1_sel:DWORD
	s_mov_b64 s[12:13], 0
	s_mov_b64 s[8:9], -1
	s_and_b64 vcc, exec, s[10:11]
	s_mov_b64 s[10:11], 0
	s_cbranch_vccz .LBB103_147
; %bb.139:
	global_store_dword v[10:11], v16, off
	s_mov_b64 s[10:11], -1
	s_mov_b64 s[8:9], 0
	s_branch .LBB103_147
.LBB103_140:
	s_mov_b64 s[10:11], 0
	s_mov_b64 s[8:9], s[66:67]
	s_cbranch_execnz .LBB103_192
.LBB103_141:
	s_andn2_b64 vcc, exec, s[10:11]
	s_cbranch_vccnz .LBB103_230
.LBB103_142:
	v_add_u32_e32 v13, 0x80, v13
	s_mov_b64 s[10:11], -1
	s_branch .LBB103_231
.LBB103_143:
	s_mov_b64 s[12:13], -1
	s_mov_b64 s[10:11], 0
	s_mov_b64 s[8:9], s[66:67]
	s_branch .LBB103_169
.LBB103_144:
	s_mov_b64 s[12:13], -1
	s_mov_b64 s[10:11], 0
	s_mov_b64 s[8:9], s[66:67]
	s_branch .LBB103_155
.LBB103_145:
	s_mov_b64 s[12:13], -1
	s_mov_b64 s[10:11], 0
	s_mov_b64 s[8:9], s[66:67]
	s_branch .LBB103_151
.LBB103_146:
	s_mov_b64 s[12:13], -1
	s_mov_b64 s[10:11], 0
	s_mov_b64 s[8:9], s[66:67]
.LBB103_147:
	s_and_b64 vcc, exec, s[12:13]
	s_cbranch_vccz .LBB103_150
; %bb.148:
	v_mov_b32_e32 v2, 44
	v_cmp_eq_u16_sdwa s[12:13], s91, v2 src0_sel:BYTE_0 src1_sel:DWORD
	s_mov_b64 s[8:9], -1
	s_and_b64 vcc, exec, s[12:13]
	s_cbranch_vccz .LBB103_150
; %bb.149:
	v_mov_b32_e32 v2, 0xff
	v_cndmask_b32_e64 v2, v20, v2, s[6:7]
	s_mov_b64 s[10:11], -1
	s_mov_b64 s[8:9], 0
	global_store_byte v[10:11], v2, off
.LBB103_150:
	s_mov_b64 s[12:13], 0
.LBB103_151:
	s_and_b64 vcc, exec, s[12:13]
	s_cbranch_vccz .LBB103_154
; %bb.152:
	v_mov_b32_e32 v2, 29
	v_cmp_eq_u16_sdwa s[12:13], s91, v2 src0_sel:BYTE_0 src1_sel:DWORD
	s_mov_b64 s[8:9], -1
	s_and_b64 vcc, exec, s[12:13]
	s_cbranch_vccz .LBB103_154
; %bb.153:
	global_store_dwordx2 v[10:11], v[8:9], off
	s_mov_b64 s[10:11], -1
	s_mov_b64 s[8:9], 0
.LBB103_154:
	s_mov_b64 s[12:13], 0
.LBB103_155:
	s_and_b64 vcc, exec, s[12:13]
	s_cbranch_vccz .LBB103_168
; %bb.156:
	v_mov_b32_e32 v2, 27
	v_cmp_lt_i16_sdwa s[12:13], s91, v2 src0_sel:BYTE_0 src1_sel:DWORD
	s_mov_b64 s[10:11], -1
	s_and_b64 vcc, exec, s[12:13]
	s_cbranch_vccnz .LBB103_162
; %bb.157:
	v_cmp_gt_i16_sdwa s[12:13], s91, v2 src0_sel:BYTE_0 src1_sel:DWORD
	s_and_b64 vcc, exec, s[12:13]
	s_cbranch_vccz .LBB103_159
; %bb.158:
	s_mov_b64 s[10:11], 0
	global_store_dword v[10:11], v8, off
.LBB103_159:
	s_andn2_b64 vcc, exec, s[10:11]
	s_cbranch_vccnz .LBB103_161
; %bb.160:
	global_store_short v[10:11], v19, off
.LBB103_161:
	s_mov_b64 s[10:11], 0
.LBB103_162:
	s_andn2_b64 vcc, exec, s[10:11]
	s_cbranch_vccnz .LBB103_167
; %bb.163:
	s_andn2_b64 vcc, exec, s[50:51]
	v_mov_b32_e32 v2, 0x80
	s_cbranch_vccnz .LBB103_166
; %bb.164:
	s_or_b64 s[10:11], s[2:3], s[52:53]
	s_andn2_b64 vcc, exec, s[10:11]
	v_mov_b32_e32 v2, 0
	s_cbranch_vccnz .LBB103_166
; %bb.165:
	v_mov_b32_e32 v2, s90
	v_cndmask_b32_e64 v2, v18, v2, s[2:3]
	v_or_b32_e32 v2, v2, v15
.LBB103_166:
	global_store_byte v[10:11], v2, off
.LBB103_167:
	s_mov_b64 s[10:11], -1
.LBB103_168:
	s_mov_b64 s[12:13], 0
.LBB103_169:
	s_and_b64 vcc, exec, s[12:13]
	s_cbranch_vccz .LBB103_191
; %bb.170:
	v_mov_b32_e32 v2, 22
	v_cmp_gt_i16_sdwa s[14:15], s91, v2 src0_sel:BYTE_0 src1_sel:DWORD
	s_mov_b64 s[12:13], -1
	s_and_b64 vcc, exec, s[14:15]
	s_cbranch_vccz .LBB103_183
; %bb.171:
	v_mov_b32_e32 v2, 24
	v_cmp_lt_i16_sdwa s[12:13], s91, v2 src0_sel:BYTE_0 src1_sel:DWORD
	s_mov_b64 s[10:11], -1
	s_and_b64 vcc, exec, s[12:13]
	s_cbranch_vccnz .LBB103_180
; %bb.172:
	v_cmp_gt_i16_sdwa s[12:13], s91, v2 src0_sel:BYTE_0 src1_sel:DWORD
	s_and_b64 vcc, exec, s[12:13]
	s_cbranch_vccz .LBB103_177
; %bb.173:
	s_andn2_b64 vcc, exec, s[46:47]
	v_mov_b32_e32 v2, 0x80
	s_cbranch_vccnz .LBB103_176
; %bb.174:
	s_or_b64 s[10:11], s[0:1], s[48:49]
	s_andn2_b64 vcc, exec, s[10:11]
	v_mov_b32_e32 v2, 0
	s_cbranch_vccnz .LBB103_176
; %bb.175:
	v_mov_b32_e32 v2, s88
	v_cndmask_b32_e64 v2, v17, v2, s[0:1]
	v_or_b32_e32 v2, v2, v15
.LBB103_176:
	s_mov_b64 s[10:11], 0
	global_store_byte v[10:11], v2, off
.LBB103_177:
	s_and_b64 vcc, exec, s[10:11]
	s_cbranch_vccz .LBB103_179
; %bb.178:
	s_and_b64 s[10:11], s[44:45], exec
	s_cselect_b32 s12, s87, s86
	s_and_b64 s[10:11], s[42:43], exec
	s_cselect_b32 s10, s89, s12
	v_or_b32_e32 v2, s10, v15
	global_store_byte v[10:11], v2, off
.LBB103_179:
	s_mov_b64 s[10:11], 0
.LBB103_180:
	s_andn2_b64 vcc, exec, s[10:11]
	s_cbranch_vccnz .LBB103_182
; %bb.181:
	s_and_b64 s[10:11], s[40:41], exec
	s_cselect_b32 s12, s84, s83
	s_and_b64 s[10:11], s[38:39], exec
	s_cselect_b32 s10, s85, s12
	v_or_b32_e32 v2, s10, v15
	global_store_byte v[10:11], v2, off
.LBB103_182:
	s_mov_b64 s[12:13], 0
	s_mov_b64 s[10:11], -1
.LBB103_183:
	s_andn2_b64 vcc, exec, s[12:13]
	s_cbranch_vccnz .LBB103_191
; %bb.184:
	v_mov_b32_e32 v2, 14
	v_cmp_gt_i16_sdwa s[14:15], s91, v2 src0_sel:BYTE_0 src1_sel:DWORD
	s_mov_b64 s[12:13], -1
	s_and_b64 vcc, exec, s[14:15]
	s_cbranch_vccz .LBB103_188
; %bb.185:
	v_mov_b32_e32 v2, 15
	v_cmp_eq_u16_sdwa s[12:13], s91, v2 src0_sel:BYTE_0 src1_sel:DWORD
	s_mov_b64 s[8:9], -1
	s_and_b64 vcc, exec, s[12:13]
	s_cbranch_vccz .LBB103_187
; %bb.186:
	global_store_short v[10:11], v16, off
	s_mov_b64 s[10:11], -1
	s_mov_b64 s[8:9], 0
.LBB103_187:
	s_mov_b64 s[12:13], 0
.LBB103_188:
	s_and_b64 vcc, exec, s[12:13]
	s_cbranch_vccz .LBB103_191
; %bb.189:
	v_mov_b32_e32 v2, 11
	v_cmp_eq_u16_sdwa s[12:13], s91, v2 src0_sel:BYTE_0 src1_sel:DWORD
	s_mov_b64 s[8:9], -1
	s_and_b64 vcc, exec, s[12:13]
	s_cbranch_vccz .LBB103_191
; %bb.190:
	s_mov_b64 s[10:11], -1
	s_mov_b64 s[8:9], 0
	global_store_byte v[10:11], v14, off
.LBB103_191:
	s_branch .LBB103_141
.LBB103_192:
	v_mov_b32_e32 v2, 5
	v_cmp_lt_i16_sdwa s[12:13], s91, v2 src0_sel:BYTE_0 src1_sel:DWORD
	s_mov_b64 s[10:11], -1
	s_and_b64 vcc, exec, s[12:13]
	s_cbranch_vccnz .LBB103_213
; %bb.193:
	v_mov_b32_e32 v2, 8
	v_cmp_lt_i16_sdwa s[12:13], s91, v2 src0_sel:BYTE_0 src1_sel:DWORD
	s_and_b64 vcc, exec, s[12:13]
	s_cbranch_vccnz .LBB103_203
; %bb.194:
	v_mov_b32_e32 v2, 9
	v_cmp_lt_i16_sdwa s[12:13], s91, v2 src0_sel:BYTE_0 src1_sel:DWORD
	s_and_b64 vcc, exec, s[12:13]
	s_cbranch_vccnz .LBB103_200
; %bb.195:
	v_cmp_gt_i16_sdwa s[12:13], s91, v2 src0_sel:BYTE_0 src1_sel:DWORD
	s_and_b64 vcc, exec, s[12:13]
	s_cbranch_vccz .LBB103_197
; %bb.196:
	v_mov_b32_e32 v2, 0
	v_mov_b32_e32 v3, v2
	s_mov_b64 s[10:11], 0
	global_store_dwordx4 v[10:11], v[0:3], off
.LBB103_197:
	s_andn2_b64 vcc, exec, s[10:11]
	s_cbranch_vccnz .LBB103_199
; %bb.198:
	v_mov_b32_e32 v7, 0
	global_store_dwordx2 v[10:11], v[6:7], off
.LBB103_199:
	s_mov_b64 s[10:11], 0
.LBB103_200:
	s_andn2_b64 vcc, exec, s[10:11]
	s_cbranch_vccnz .LBB103_202
; %bb.201:
	v_mov_b32_e32 v2, s82
	global_store_dword v[10:11], v2, off
.LBB103_202:
	s_mov_b64 s[10:11], 0
.LBB103_203:
	s_andn2_b64 vcc, exec, s[10:11]
	s_cbranch_vccnz .LBB103_212
; %bb.204:
	v_mov_b32_e32 v2, 6
	v_cmp_lt_i16_sdwa s[12:13], s91, v2 src0_sel:BYTE_0 src1_sel:DWORD
	s_mov_b64 s[10:11], -1
	s_and_b64 vcc, exec, s[12:13]
	s_cbranch_vccnz .LBB103_210
; %bb.205:
	v_cmp_gt_i16_sdwa s[12:13], s91, v2 src0_sel:BYTE_0 src1_sel:DWORD
	s_and_b64 vcc, exec, s[12:13]
	s_cbranch_vccz .LBB103_207
; %bb.206:
	s_mov_b64 s[10:11], 0
	global_store_dwordx2 v[10:11], v[0:1], off
.LBB103_207:
	s_andn2_b64 vcc, exec, s[10:11]
	s_cbranch_vccnz .LBB103_209
; %bb.208:
	global_store_dword v[10:11], v6, off
.LBB103_209:
	s_mov_b64 s[10:11], 0
.LBB103_210:
	s_andn2_b64 vcc, exec, s[10:11]
	s_cbranch_vccnz .LBB103_212
; %bb.211:
	v_mov_b32_e32 v2, s81
	global_store_short v[10:11], v2, off
.LBB103_212:
	s_mov_b64 s[10:11], 0
.LBB103_213:
	s_andn2_b64 vcc, exec, s[10:11]
	s_cbranch_vccnz .LBB103_229
; %bb.214:
	v_mov_b32_e32 v2, 2
	v_cmp_lt_i16_sdwa s[12:13], s91, v2 src0_sel:BYTE_0 src1_sel:DWORD
	s_mov_b64 s[10:11], -1
	s_and_b64 vcc, exec, s[12:13]
	s_cbranch_vccnz .LBB103_224
; %bb.215:
	v_mov_b32_e32 v2, 3
	v_cmp_lt_i16_sdwa s[12:13], s91, v2 src0_sel:BYTE_0 src1_sel:DWORD
	s_and_b64 vcc, exec, s[12:13]
	s_cbranch_vccnz .LBB103_221
; %bb.216:
	v_cmp_gt_i16_sdwa s[12:13], s91, v2 src0_sel:BYTE_0 src1_sel:DWORD
	s_and_b64 vcc, exec, s[12:13]
	s_cbranch_vccz .LBB103_218
; %bb.217:
	s_mov_b64 s[10:11], 0
	global_store_dwordx2 v[10:11], v[4:5], off
.LBB103_218:
	s_andn2_b64 vcc, exec, s[10:11]
	s_cbranch_vccnz .LBB103_220
; %bb.219:
	global_store_dword v[10:11], v4, off
.LBB103_220:
	s_mov_b64 s[10:11], 0
.LBB103_221:
	s_andn2_b64 vcc, exec, s[10:11]
	s_cbranch_vccnz .LBB103_223
; %bb.222:
	global_store_short v[10:11], v12, off
.LBB103_223:
	s_mov_b64 s[10:11], 0
.LBB103_224:
	s_andn2_b64 vcc, exec, s[10:11]
	s_cbranch_vccnz .LBB103_229
; %bb.225:
	v_mov_b32_e32 v2, 0
	v_cmp_gt_i16_sdwa s[12:13], s91, v2 src0_sel:BYTE_0 src1_sel:DWORD
	s_mov_b64 s[10:11], -1
	s_and_b64 vcc, exec, s[12:13]
	s_cbranch_vccz .LBB103_227
; %bb.226:
	s_mov_b64 s[10:11], 0
	global_store_byte v[10:11], v12, off
.LBB103_227:
	s_andn2_b64 vcc, exec, s[10:11]
	s_cbranch_vccnz .LBB103_229
; %bb.228:
	global_store_byte v[10:11], v4, off
.LBB103_229:
	s_branch .LBB103_142
.LBB103_230:
	s_mov_b64 s[10:11], 0
                                        ; implicit-def: $vgpr13
.LBB103_231:
	s_andn2_b64 s[12:13], s[66:67], exec
	s_and_b64 s[8:9], s[8:9], exec
	s_or_b64 s[70:71], s[12:13], s[8:9]
	s_orn2_b64 s[8:9], s[10:11], exec
.LBB103_232:
	s_or_b64 exec, exec, s[72:73]
	s_mov_b64 s[10:11], 0
	s_mov_b64 s[12:13], 0
                                        ; implicit-def: $vgpr21
                                        ; implicit-def: $vgpr10_vgpr11
	s_and_saveexec_b64 s[72:73], s[8:9]
	s_cbranch_execz .LBB103_421
; %bb.233:
	v_cmp_gt_i32_e32 vcc, s92, v13
	s_mov_b64 s[10:11], -1
	s_mov_b64 s[76:77], s[70:71]
	s_and_saveexec_b64 s[74:75], vcc
	s_cbranch_execz .LBB103_349
; %bb.234:
	s_andn2_b64 vcc, exec, s[34:35]
	s_cbranch_vccnz .LBB103_239
; %bb.235:
	s_andn2_b64 vcc, exec, s[64:65]
	s_cbranch_vccnz .LBB103_240
; %bb.236:
	s_add_i32 s95, s93, 1
	s_mov_b32 s94, 0
	s_cmp_eq_u32 s80, 2
	v_mov_b32_e32 v2, 0
	s_cbranch_scc1 .LBB103_241
; %bb.237:
	s_and_b32 s94, s95, 28
	s_mov_b32 vcc_lo, 0
	v_mov_b32_e32 v2, 0
	s_mov_b64 s[76:77], s[28:29]
	s_mov_b64 s[78:79], s[62:63]
	v_mov_b32_e32 v7, v13
.LBB103_238:                            ; =>This Inner Loop Header: Depth=1
	s_load_dwordx8 s[8:15], s[76:77], 0x4
	s_load_dwordx4 s[20:23], s[76:77], 0x24
	s_load_dwordx4 s[24:27], s[78:79], 0x0
	s_add_u32 s76, s76, 48
	s_addc_u32 s77, s77, 0
	s_waitcnt lgkmcnt(0)
	v_mul_hi_u32 v3, s9, v7
	v_add_u32_e32 v3, v7, v3
	v_lshrrev_b32_e32 v3, s10, v3
	v_mul_lo_u32 v10, v3, s8
	v_mul_hi_u32 v11, s12, v3
	v_sub_u32_e32 v7, v7, v10
	v_add_u32_e32 v10, v3, v11
	v_lshrrev_b32_e32 v10, s13, v10
	v_mul_lo_u32 v11, v10, s11
	v_mul_hi_u32 v21, s15, v10
	v_sub_u32_e32 v3, v3, v11
	v_add_u32_e32 v11, v10, v21
	v_mul_lo_u32 v7, v7, s24
	v_mul_lo_u32 v3, v3, s25
	v_lshrrev_b32_e32 v11, s20, v11
	v_add3_u32 v2, v7, v2, v3
	v_mul_hi_u32 v7, s22, v11
	v_add_u32_e32 v7, v11, v7
	v_mul_lo_u32 v3, v11, s14
	v_lshrrev_b32_e32 v7, s23, v7
	s_add_i32 vcc_lo, vcc_lo, 4
	v_sub_u32_e32 v3, v10, v3
	v_mul_lo_u32 v10, v7, s21
	s_add_u32 s78, s78, 16
	v_sub_u32_e32 v10, v11, v10
	s_addc_u32 s79, s79, 0
	v_mul_lo_u32 v3, v3, s26
	v_mul_lo_u32 v10, v10, s27
	s_cmp_eq_u32 s94, vcc_lo
	v_add3_u32 v2, v3, v2, v10
	s_cbranch_scc0 .LBB103_238
	s_branch .LBB103_242
.LBB103_239:
	s_mov_b64 s[8:9], -1
                                        ; implicit-def: $vgpr2
	s_branch .LBB103_246
.LBB103_240:
	v_mov_b32_e32 v2, 0
	s_branch .LBB103_245
.LBB103_241:
	v_mov_b32_e32 v7, v13
.LBB103_242:
	s_and_b32 s12, s95, 3
	s_cmp_eq_u32 s12, 0
	s_cbranch_scc1 .LBB103_245
; %bb.243:
	s_lshl_b32 s8, s94, 2
	s_add_u32 s8, s8, s28
	s_addc_u32 s9, s29, 0
	s_add_u32 s8, s8, 0xc4
	s_addc_u32 s9, s9, 0
	s_mul_i32 s10, s94, 12
	s_add_u32 s10, s28, s10
	s_addc_u32 s11, s29, 0
.LBB103_244:                            ; =>This Inner Loop Header: Depth=1
	s_load_dwordx2 s[14:15], s[10:11], 0x4
	s_load_dword s13, s[10:11], 0xc
	s_load_dword s20, s[8:9], 0x0
	s_add_u32 s10, s10, 12
	s_addc_u32 s11, s11, 0
	s_waitcnt lgkmcnt(0)
	v_mul_hi_u32 v3, s15, v7
	v_add_u32_e32 v3, v7, v3
	v_lshrrev_b32_e32 v3, s13, v3
	s_add_u32 s8, s8, 4
	v_mul_lo_u32 v10, v3, s14
	s_addc_u32 s9, s9, 0
	s_add_i32 s12, s12, -1
	v_sub_u32_e32 v10, v7, v10
	s_cmp_lg_u32 s12, 0
	v_mov_b32_e32 v7, v3
	v_mad_u64_u32 v[2:3], s[14:15], v10, s20, v[2:3]
	s_cbranch_scc1 .LBB103_244
.LBB103_245:
	s_mov_b64 s[8:9], 0
.LBB103_246:
	s_andn2_b64 vcc, exec, s[8:9]
	s_cbranch_vccnz .LBB103_249
; %bb.247:
	v_mul_hi_u32 v2, s17, v13
	v_add_u32_e32 v2, v13, v2
	v_lshrrev_b32_e32 v3, s18, v2
	v_mul_lo_u32 v2, v3, s16
	v_sub_u32_e32 v2, v13, v2
	s_andn2_b64 vcc, exec, s[60:61]
	v_mul_lo_u32 v2, v2, s56
	s_cbranch_vccnz .LBB103_249
; %bb.248:
	v_mul_hi_u32 v7, s58, v3
	v_add_u32_e32 v7, v3, v7
	v_lshrrev_b32_e32 v7, s59, v7
	v_mul_lo_u32 v7, v7, s19
	v_sub_u32_e32 v3, v3, v7
	v_mad_u64_u32 v[2:3], s[8:9], v3, s57, v[2:3]
.LBB103_249:
	v_mov_b32_e32 v3, s55
	v_add_co_u32_e32 v10, vcc, s54, v2
	v_mov_b32_e32 v2, 11
	v_addc_co_u32_e32 v11, vcc, 0, v3, vcc
	v_cmp_lt_i16_sdwa s[8:9], s91, v2 src0_sel:BYTE_0 src1_sel:DWORD
	s_and_b64 vcc, exec, s[8:9]
	s_cbranch_vccnz .LBB103_256
; %bb.250:
	v_mov_b32_e32 v2, 25
	v_cmp_gt_i16_sdwa s[8:9], s91, v2 src0_sel:BYTE_0 src1_sel:DWORD
	s_and_b64 vcc, exec, s[8:9]
	s_cbranch_vccz .LBB103_257
; %bb.251:
	v_mov_b32_e32 v2, 28
	v_cmp_gt_i16_sdwa s[8:9], s91, v2 src0_sel:BYTE_0 src1_sel:DWORD
	s_and_b64 vcc, exec, s[8:9]
	s_cbranch_vccz .LBB103_258
	;; [unrolled: 5-line block ×4, first 2 shown]
; %bb.254:
	v_mov_b32_e32 v2, 46
	v_cmp_eq_u16_sdwa s[10:11], s91, v2 src0_sel:BYTE_0 src1_sel:DWORD
	s_mov_b64 s[12:13], 0
	s_mov_b64 s[8:9], -1
	s_and_b64 vcc, exec, s[10:11]
	s_mov_b64 s[10:11], 0
	s_cbranch_vccz .LBB103_261
; %bb.255:
	global_store_dword v[10:11], v16, off
	s_mov_b64 s[10:11], -1
	s_mov_b64 s[8:9], 0
	s_branch .LBB103_261
.LBB103_256:
	s_mov_b64 s[12:13], -1
	s_mov_b64 s[10:11], 0
	s_mov_b64 s[8:9], s[70:71]
	s_branch .LBB103_306
.LBB103_257:
	s_mov_b64 s[12:13], -1
	s_mov_b64 s[10:11], 0
	s_mov_b64 s[8:9], s[70:71]
	s_branch .LBB103_283
.LBB103_258:
	s_mov_b64 s[12:13], -1
	s_mov_b64 s[10:11], 0
	s_mov_b64 s[8:9], s[70:71]
	s_branch .LBB103_269
.LBB103_259:
	s_mov_b64 s[12:13], -1
	s_mov_b64 s[10:11], 0
	s_mov_b64 s[8:9], s[70:71]
	s_branch .LBB103_265
.LBB103_260:
	s_mov_b64 s[12:13], -1
	s_mov_b64 s[10:11], 0
	s_mov_b64 s[8:9], s[70:71]
.LBB103_261:
	s_and_b64 vcc, exec, s[12:13]
	s_cbranch_vccz .LBB103_264
; %bb.262:
	v_mov_b32_e32 v2, 44
	v_cmp_eq_u16_sdwa s[12:13], s91, v2 src0_sel:BYTE_0 src1_sel:DWORD
	s_mov_b64 s[8:9], -1
	s_and_b64 vcc, exec, s[12:13]
	s_cbranch_vccz .LBB103_264
; %bb.263:
	v_mov_b32_e32 v2, 0xff
	v_cndmask_b32_e64 v2, v20, v2, s[6:7]
	s_mov_b64 s[10:11], -1
	s_mov_b64 s[8:9], 0
	global_store_byte v[10:11], v2, off
.LBB103_264:
	s_mov_b64 s[12:13], 0
.LBB103_265:
	s_and_b64 vcc, exec, s[12:13]
	s_cbranch_vccz .LBB103_268
; %bb.266:
	v_mov_b32_e32 v2, 29
	v_cmp_eq_u16_sdwa s[12:13], s91, v2 src0_sel:BYTE_0 src1_sel:DWORD
	s_mov_b64 s[8:9], -1
	s_and_b64 vcc, exec, s[12:13]
	s_cbranch_vccz .LBB103_268
; %bb.267:
	global_store_dwordx2 v[10:11], v[8:9], off
	s_mov_b64 s[10:11], -1
	s_mov_b64 s[8:9], 0
.LBB103_268:
	s_mov_b64 s[12:13], 0
.LBB103_269:
	s_and_b64 vcc, exec, s[12:13]
	s_cbranch_vccz .LBB103_282
; %bb.270:
	v_mov_b32_e32 v2, 27
	v_cmp_lt_i16_sdwa s[12:13], s91, v2 src0_sel:BYTE_0 src1_sel:DWORD
	s_mov_b64 s[10:11], -1
	s_and_b64 vcc, exec, s[12:13]
	s_cbranch_vccnz .LBB103_276
; %bb.271:
	v_cmp_gt_i16_sdwa s[12:13], s91, v2 src0_sel:BYTE_0 src1_sel:DWORD
	s_and_b64 vcc, exec, s[12:13]
	s_cbranch_vccz .LBB103_273
; %bb.272:
	s_mov_b64 s[10:11], 0
	global_store_dword v[10:11], v8, off
.LBB103_273:
	s_andn2_b64 vcc, exec, s[10:11]
	s_cbranch_vccnz .LBB103_275
; %bb.274:
	global_store_short v[10:11], v19, off
.LBB103_275:
	s_mov_b64 s[10:11], 0
.LBB103_276:
	s_andn2_b64 vcc, exec, s[10:11]
	s_cbranch_vccnz .LBB103_281
; %bb.277:
	s_andn2_b64 vcc, exec, s[50:51]
	v_mov_b32_e32 v2, 0x80
	s_cbranch_vccnz .LBB103_280
; %bb.278:
	s_or_b64 s[10:11], s[2:3], s[52:53]
	s_andn2_b64 vcc, exec, s[10:11]
	v_mov_b32_e32 v2, 0
	s_cbranch_vccnz .LBB103_280
; %bb.279:
	v_mov_b32_e32 v2, s90
	v_cndmask_b32_e64 v2, v18, v2, s[2:3]
	v_or_b32_e32 v2, v2, v15
.LBB103_280:
	global_store_byte v[10:11], v2, off
.LBB103_281:
	s_mov_b64 s[10:11], -1
.LBB103_282:
	s_mov_b64 s[12:13], 0
.LBB103_283:
	s_and_b64 vcc, exec, s[12:13]
	s_cbranch_vccz .LBB103_305
; %bb.284:
	v_mov_b32_e32 v2, 22
	v_cmp_gt_i16_sdwa s[14:15], s91, v2 src0_sel:BYTE_0 src1_sel:DWORD
	s_mov_b64 s[12:13], -1
	s_and_b64 vcc, exec, s[14:15]
	s_cbranch_vccz .LBB103_297
; %bb.285:
	v_mov_b32_e32 v2, 24
	v_cmp_lt_i16_sdwa s[12:13], s91, v2 src0_sel:BYTE_0 src1_sel:DWORD
	s_mov_b64 s[10:11], -1
	s_and_b64 vcc, exec, s[12:13]
	s_cbranch_vccnz .LBB103_294
; %bb.286:
	v_cmp_gt_i16_sdwa s[12:13], s91, v2 src0_sel:BYTE_0 src1_sel:DWORD
	s_and_b64 vcc, exec, s[12:13]
	s_cbranch_vccz .LBB103_291
; %bb.287:
	s_andn2_b64 vcc, exec, s[46:47]
	v_mov_b32_e32 v2, 0x80
	s_cbranch_vccnz .LBB103_290
; %bb.288:
	s_or_b64 s[10:11], s[0:1], s[48:49]
	s_andn2_b64 vcc, exec, s[10:11]
	v_mov_b32_e32 v2, 0
	s_cbranch_vccnz .LBB103_290
; %bb.289:
	v_mov_b32_e32 v2, s88
	v_cndmask_b32_e64 v2, v17, v2, s[0:1]
	v_or_b32_e32 v2, v2, v15
.LBB103_290:
	s_mov_b64 s[10:11], 0
	global_store_byte v[10:11], v2, off
.LBB103_291:
	s_and_b64 vcc, exec, s[10:11]
	s_cbranch_vccz .LBB103_293
; %bb.292:
	s_and_b64 s[10:11], s[44:45], exec
	s_cselect_b32 s12, s87, s86
	s_and_b64 s[10:11], s[42:43], exec
	s_cselect_b32 s10, s89, s12
	v_or_b32_e32 v2, s10, v15
	global_store_byte v[10:11], v2, off
.LBB103_293:
	s_mov_b64 s[10:11], 0
.LBB103_294:
	s_andn2_b64 vcc, exec, s[10:11]
	s_cbranch_vccnz .LBB103_296
; %bb.295:
	s_and_b64 s[10:11], s[40:41], exec
	s_cselect_b32 s12, s84, s83
	s_and_b64 s[10:11], s[38:39], exec
	s_cselect_b32 s10, s85, s12
	v_or_b32_e32 v2, s10, v15
	global_store_byte v[10:11], v2, off
.LBB103_296:
	s_mov_b64 s[12:13], 0
	s_mov_b64 s[10:11], -1
.LBB103_297:
	s_andn2_b64 vcc, exec, s[12:13]
	s_cbranch_vccnz .LBB103_305
; %bb.298:
	v_mov_b32_e32 v2, 14
	v_cmp_gt_i16_sdwa s[14:15], s91, v2 src0_sel:BYTE_0 src1_sel:DWORD
	s_mov_b64 s[12:13], -1
	s_and_b64 vcc, exec, s[14:15]
	s_cbranch_vccz .LBB103_302
; %bb.299:
	v_mov_b32_e32 v2, 15
	v_cmp_eq_u16_sdwa s[12:13], s91, v2 src0_sel:BYTE_0 src1_sel:DWORD
	s_mov_b64 s[8:9], -1
	s_and_b64 vcc, exec, s[12:13]
	s_cbranch_vccz .LBB103_301
; %bb.300:
	global_store_short v[10:11], v16, off
	s_mov_b64 s[10:11], -1
	s_mov_b64 s[8:9], 0
.LBB103_301:
	s_mov_b64 s[12:13], 0
.LBB103_302:
	s_and_b64 vcc, exec, s[12:13]
	s_cbranch_vccz .LBB103_305
; %bb.303:
	v_mov_b32_e32 v2, 11
	v_cmp_eq_u16_sdwa s[12:13], s91, v2 src0_sel:BYTE_0 src1_sel:DWORD
	s_mov_b64 s[8:9], -1
	s_and_b64 vcc, exec, s[12:13]
	s_cbranch_vccz .LBB103_305
; %bb.304:
	s_mov_b64 s[10:11], -1
	s_mov_b64 s[8:9], 0
	global_store_byte v[10:11], v14, off
.LBB103_305:
	s_mov_b64 s[12:13], 0
.LBB103_306:
	s_and_b64 vcc, exec, s[12:13]
	s_cbranch_vccz .LBB103_345
; %bb.307:
	v_mov_b32_e32 v2, 5
	v_cmp_lt_i16_sdwa s[12:13], s91, v2 src0_sel:BYTE_0 src1_sel:DWORD
	s_mov_b64 s[10:11], -1
	s_and_b64 vcc, exec, s[12:13]
	s_cbranch_vccnz .LBB103_328
; %bb.308:
	v_mov_b32_e32 v2, 8
	v_cmp_lt_i16_sdwa s[12:13], s91, v2 src0_sel:BYTE_0 src1_sel:DWORD
	s_and_b64 vcc, exec, s[12:13]
	s_cbranch_vccnz .LBB103_318
; %bb.309:
	v_mov_b32_e32 v2, 9
	v_cmp_lt_i16_sdwa s[12:13], s91, v2 src0_sel:BYTE_0 src1_sel:DWORD
	s_and_b64 vcc, exec, s[12:13]
	s_cbranch_vccnz .LBB103_315
; %bb.310:
	v_cmp_gt_i16_sdwa s[12:13], s91, v2 src0_sel:BYTE_0 src1_sel:DWORD
	s_and_b64 vcc, exec, s[12:13]
	s_cbranch_vccz .LBB103_312
; %bb.311:
	v_mov_b32_e32 v2, 0
	v_mov_b32_e32 v3, v2
	s_mov_b64 s[10:11], 0
	global_store_dwordx4 v[10:11], v[0:3], off
.LBB103_312:
	s_andn2_b64 vcc, exec, s[10:11]
	s_cbranch_vccnz .LBB103_314
; %bb.313:
	v_mov_b32_e32 v7, 0
	global_store_dwordx2 v[10:11], v[6:7], off
.LBB103_314:
	s_mov_b64 s[10:11], 0
.LBB103_315:
	s_andn2_b64 vcc, exec, s[10:11]
	s_cbranch_vccnz .LBB103_317
; %bb.316:
	v_mov_b32_e32 v2, s82
	global_store_dword v[10:11], v2, off
.LBB103_317:
	s_mov_b64 s[10:11], 0
.LBB103_318:
	s_andn2_b64 vcc, exec, s[10:11]
	s_cbranch_vccnz .LBB103_327
; %bb.319:
	v_mov_b32_e32 v2, 6
	v_cmp_lt_i16_sdwa s[12:13], s91, v2 src0_sel:BYTE_0 src1_sel:DWORD
	s_mov_b64 s[10:11], -1
	s_and_b64 vcc, exec, s[12:13]
	s_cbranch_vccnz .LBB103_325
; %bb.320:
	v_cmp_gt_i16_sdwa s[12:13], s91, v2 src0_sel:BYTE_0 src1_sel:DWORD
	s_and_b64 vcc, exec, s[12:13]
	s_cbranch_vccz .LBB103_322
; %bb.321:
	s_mov_b64 s[10:11], 0
	global_store_dwordx2 v[10:11], v[0:1], off
.LBB103_322:
	s_andn2_b64 vcc, exec, s[10:11]
	s_cbranch_vccnz .LBB103_324
; %bb.323:
	global_store_dword v[10:11], v6, off
.LBB103_324:
	s_mov_b64 s[10:11], 0
.LBB103_325:
	s_andn2_b64 vcc, exec, s[10:11]
	s_cbranch_vccnz .LBB103_327
; %bb.326:
	v_mov_b32_e32 v2, s81
	global_store_short v[10:11], v2, off
.LBB103_327:
	s_mov_b64 s[10:11], 0
.LBB103_328:
	s_andn2_b64 vcc, exec, s[10:11]
	s_cbranch_vccnz .LBB103_344
; %bb.329:
	v_mov_b32_e32 v2, 2
	v_cmp_lt_i16_sdwa s[12:13], s91, v2 src0_sel:BYTE_0 src1_sel:DWORD
	s_mov_b64 s[10:11], -1
	s_and_b64 vcc, exec, s[12:13]
	s_cbranch_vccnz .LBB103_339
; %bb.330:
	v_mov_b32_e32 v2, 3
	v_cmp_lt_i16_sdwa s[12:13], s91, v2 src0_sel:BYTE_0 src1_sel:DWORD
	s_and_b64 vcc, exec, s[12:13]
	s_cbranch_vccnz .LBB103_336
; %bb.331:
	v_cmp_gt_i16_sdwa s[12:13], s91, v2 src0_sel:BYTE_0 src1_sel:DWORD
	s_and_b64 vcc, exec, s[12:13]
	s_cbranch_vccz .LBB103_333
; %bb.332:
	s_mov_b64 s[10:11], 0
	global_store_dwordx2 v[10:11], v[4:5], off
.LBB103_333:
	s_andn2_b64 vcc, exec, s[10:11]
	s_cbranch_vccnz .LBB103_335
; %bb.334:
	global_store_dword v[10:11], v4, off
.LBB103_335:
	s_mov_b64 s[10:11], 0
.LBB103_336:
	s_andn2_b64 vcc, exec, s[10:11]
	s_cbranch_vccnz .LBB103_338
; %bb.337:
	global_store_short v[10:11], v12, off
.LBB103_338:
	s_mov_b64 s[10:11], 0
.LBB103_339:
	s_andn2_b64 vcc, exec, s[10:11]
	s_cbranch_vccnz .LBB103_344
; %bb.340:
	v_mov_b32_e32 v2, 0
	v_cmp_gt_i16_sdwa s[12:13], s91, v2 src0_sel:BYTE_0 src1_sel:DWORD
	s_mov_b64 s[10:11], -1
	s_and_b64 vcc, exec, s[12:13]
	s_cbranch_vccz .LBB103_342
; %bb.341:
	s_mov_b64 s[10:11], 0
	global_store_byte v[10:11], v12, off
.LBB103_342:
	s_andn2_b64 vcc, exec, s[10:11]
	s_cbranch_vccnz .LBB103_344
; %bb.343:
	global_store_byte v[10:11], v4, off
.LBB103_344:
	s_mov_b64 s[10:11], -1
.LBB103_345:
	s_andn2_b64 vcc, exec, s[10:11]
	s_cbranch_vccnz .LBB103_347
; %bb.346:
	v_add_u32_e32 v13, 0x80, v13
	s_mov_b64 s[10:11], -1
	s_branch .LBB103_348
.LBB103_347:
	s_mov_b64 s[10:11], 0
                                        ; implicit-def: $vgpr13
.LBB103_348:
	s_andn2_b64 s[12:13], s[70:71], exec
	s_and_b64 s[8:9], s[8:9], exec
	s_or_b64 s[76:77], s[12:13], s[8:9]
	s_orn2_b64 s[10:11], s[10:11], exec
.LBB103_349:
	s_or_b64 exec, exec, s[74:75]
	s_mov_b64 s[8:9], 0
	s_mov_b64 s[14:15], 0
                                        ; implicit-def: $vgpr21
                                        ; implicit-def: $vgpr10_vgpr11
	s_and_saveexec_b64 s[74:75], s[10:11]
	s_cbranch_execz .LBB103_420
; %bb.350:
	v_cmp_gt_i32_e32 vcc, s92, v13
	s_mov_b64 s[10:11], 0
	s_mov_b64 s[12:13], s[76:77]
                                        ; implicit-def: $vgpr21
                                        ; implicit-def: $vgpr10_vgpr11
	s_and_saveexec_b64 s[78:79], vcc
	s_cbranch_execz .LBB103_419
; %bb.351:
	s_andn2_b64 vcc, exec, s[34:35]
	s_cbranch_vccnz .LBB103_356
; %bb.352:
	s_andn2_b64 vcc, exec, s[64:65]
	s_cbranch_vccnz .LBB103_357
; %bb.353:
	s_add_i32 s93, s93, 1
	s_mov_b32 s92, 0
	s_cmp_eq_u32 s80, 2
	v_mov_b32_e32 v2, 0
	s_cbranch_scc1 .LBB103_358
; %bb.354:
	s_and_b32 s92, s93, 28
	s_mov_b32 s94, 0
	v_mov_b32_e32 v2, 0
	s_mov_b64 s[64:65], s[28:29]
	v_mov_b32_e32 v7, v13
.LBB103_355:                            ; =>This Inner Loop Header: Depth=1
	s_load_dwordx8 s[8:15], s[64:65], 0x4
	s_load_dwordx4 s[20:23], s[64:65], 0x24
	s_load_dwordx4 s[24:27], s[62:63], 0x0
	s_add_u32 s64, s64, 48
	s_addc_u32 s65, s65, 0
	s_waitcnt lgkmcnt(0)
	v_mul_hi_u32 v3, s9, v7
	v_add_u32_e32 v3, v7, v3
	v_lshrrev_b32_e32 v3, s10, v3
	v_mul_lo_u32 v10, v3, s8
	v_mul_hi_u32 v11, s12, v3
	v_sub_u32_e32 v7, v7, v10
	v_add_u32_e32 v10, v3, v11
	v_lshrrev_b32_e32 v10, s13, v10
	v_mul_lo_u32 v11, v10, s11
	v_mul_hi_u32 v21, s15, v10
	v_sub_u32_e32 v3, v3, v11
	v_add_u32_e32 v11, v10, v21
	v_mul_lo_u32 v7, v7, s24
	v_mul_lo_u32 v3, v3, s25
	v_lshrrev_b32_e32 v11, s20, v11
	v_add3_u32 v2, v7, v2, v3
	v_mul_hi_u32 v7, s22, v11
	v_add_u32_e32 v7, v11, v7
	v_mul_lo_u32 v3, v11, s14
	v_lshrrev_b32_e32 v7, s23, v7
	s_add_i32 s94, s94, 4
	v_sub_u32_e32 v3, v10, v3
	v_mul_lo_u32 v10, v7, s21
	s_add_u32 s62, s62, 16
	v_sub_u32_e32 v10, v11, v10
	s_addc_u32 s63, s63, 0
	v_mul_lo_u32 v3, v3, s26
	v_mul_lo_u32 v10, v10, s27
	s_cmp_eq_u32 s92, s94
	v_add3_u32 v2, v3, v2, v10
	s_cbranch_scc0 .LBB103_355
	s_branch .LBB103_359
.LBB103_356:
	s_mov_b64 s[8:9], -1
                                        ; implicit-def: $vgpr2
	s_branch .LBB103_363
.LBB103_357:
	v_mov_b32_e32 v2, 0
	s_branch .LBB103_362
.LBB103_358:
	v_mov_b32_e32 v7, v13
.LBB103_359:
	s_and_b32 s12, s93, 3
	s_cmp_eq_u32 s12, 0
	s_cbranch_scc1 .LBB103_362
; %bb.360:
	s_lshl_b32 s8, s92, 2
	s_add_u32 s8, s8, s28
	s_addc_u32 s9, s29, 0
	s_add_u32 s8, s8, 0xc4
	s_addc_u32 s9, s9, 0
	s_mul_i32 s10, s92, 12
	s_add_u32 s10, s28, s10
	s_addc_u32 s11, s29, 0
.LBB103_361:                            ; =>This Inner Loop Header: Depth=1
	s_load_dwordx2 s[14:15], s[10:11], 0x4
	s_load_dword s13, s[10:11], 0xc
	s_load_dword s20, s[8:9], 0x0
	s_add_u32 s10, s10, 12
	s_addc_u32 s11, s11, 0
	s_waitcnt lgkmcnt(0)
	v_mul_hi_u32 v3, s15, v7
	v_add_u32_e32 v3, v7, v3
	v_lshrrev_b32_e32 v3, s13, v3
	s_add_u32 s8, s8, 4
	v_mul_lo_u32 v10, v3, s14
	s_addc_u32 s9, s9, 0
	s_add_i32 s12, s12, -1
	v_sub_u32_e32 v10, v7, v10
	s_cmp_lg_u32 s12, 0
	v_mov_b32_e32 v7, v3
	v_mad_u64_u32 v[2:3], s[14:15], v10, s20, v[2:3]
	s_cbranch_scc1 .LBB103_361
.LBB103_362:
	s_mov_b64 s[8:9], 0
.LBB103_363:
	s_andn2_b64 vcc, exec, s[8:9]
	s_cbranch_vccnz .LBB103_366
; %bb.364:
	v_mul_hi_u32 v2, s17, v13
	v_add_u32_e32 v2, v13, v2
	v_lshrrev_b32_e32 v3, s18, v2
	v_mul_lo_u32 v2, v3, s16
	v_sub_u32_e32 v2, v13, v2
	s_andn2_b64 vcc, exec, s[60:61]
	v_mul_lo_u32 v2, v2, s56
	s_cbranch_vccnz .LBB103_366
; %bb.365:
	v_mul_hi_u32 v7, s58, v3
	v_add_u32_e32 v7, v3, v7
	v_lshrrev_b32_e32 v7, s59, v7
	v_mul_lo_u32 v7, v7, s19
	v_sub_u32_e32 v3, v3, v7
	v_mad_u64_u32 v[2:3], s[8:9], v3, s57, v[2:3]
.LBB103_366:
	v_mov_b32_e32 v3, s55
	v_add_co_u32_e32 v10, vcc, s54, v2
	v_mov_b32_e32 v2, 0xff
	v_addc_co_u32_e32 v11, vcc, 0, v3, vcc
	v_and_b32_e32 v21, s91, v2
	v_cmp_gt_i16_e32 vcc, 11, v21
	s_cbranch_vccnz .LBB103_416
; %bb.367:
	v_cmp_lt_i16_e32 vcc, 25, v21
	s_mov_b64 s[10:11], -1
	s_mov_b64 s[8:9], s[76:77]
	s_cbranch_vccz .LBB103_395
; %bb.368:
	v_cmp_lt_i16_e32 vcc, 28, v21
	s_mov_b64 s[8:9], s[76:77]
	s_cbranch_vccz .LBB103_382
; %bb.369:
	v_cmp_lt_i16_e32 vcc, 43, v21
	;; [unrolled: 4-line block ×3, first 2 shown]
	s_mov_b64 s[8:9], s[76:77]
	s_cbranch_vccz .LBB103_374
; %bb.371:
	v_cmp_eq_u16_e32 vcc, 46, v21
	s_mov_b64 s[8:9], -1
	s_cbranch_vccz .LBB103_373
; %bb.372:
	global_store_dword v[10:11], v16, off
	s_mov_b64 s[8:9], 0
.LBB103_373:
	s_mov_b64 s[10:11], 0
.LBB103_374:
	s_and_b64 vcc, exec, s[10:11]
	s_cbranch_vccz .LBB103_377
; %bb.375:
	v_cmp_eq_u16_e32 vcc, 44, v21
	s_mov_b64 s[8:9], -1
	s_cbranch_vccz .LBB103_377
; %bb.376:
	v_mov_b32_e32 v2, 0xff
	v_cndmask_b32_e64 v2, v20, v2, s[6:7]
	global_store_byte v[10:11], v2, off
	s_mov_b64 s[8:9], 0
.LBB103_377:
	s_mov_b64 s[10:11], 0
.LBB103_378:
	s_and_b64 vcc, exec, s[10:11]
	s_cbranch_vccz .LBB103_381
; %bb.379:
	v_cmp_eq_u16_e32 vcc, 29, v21
	s_mov_b64 s[8:9], -1
	s_cbranch_vccz .LBB103_381
; %bb.380:
	global_store_dwordx2 v[10:11], v[8:9], off
	s_mov_b64 s[8:9], 0
.LBB103_381:
	s_mov_b64 s[10:11], 0
.LBB103_382:
	s_and_b64 vcc, exec, s[10:11]
	s_cbranch_vccz .LBB103_394
; %bb.383:
	v_cmp_gt_i16_e32 vcc, 27, v21
	s_mov_b64 s[6:7], -1
	s_cbranch_vccnz .LBB103_389
; %bb.384:
	v_cmp_lt_i16_e32 vcc, 27, v21
	s_cbranch_vccz .LBB103_386
; %bb.385:
	s_mov_b64 s[6:7], 0
	global_store_dword v[10:11], v8, off
.LBB103_386:
	s_andn2_b64 vcc, exec, s[6:7]
	s_cbranch_vccnz .LBB103_388
; %bb.387:
	global_store_short v[10:11], v19, off
.LBB103_388:
	s_mov_b64 s[6:7], 0
.LBB103_389:
	s_andn2_b64 vcc, exec, s[6:7]
	s_cbranch_vccnz .LBB103_394
; %bb.390:
	s_andn2_b64 vcc, exec, s[50:51]
	v_mov_b32_e32 v2, 0x80
	s_cbranch_vccnz .LBB103_393
; %bb.391:
	s_or_b64 s[6:7], s[2:3], s[52:53]
	s_andn2_b64 vcc, exec, s[6:7]
	v_mov_b32_e32 v2, 0
	s_cbranch_vccnz .LBB103_393
; %bb.392:
	v_mov_b32_e32 v2, s90
	v_cndmask_b32_e64 v2, v18, v2, s[2:3]
	v_or_b32_e32 v2, v2, v15
.LBB103_393:
	global_store_byte v[10:11], v2, off
.LBB103_394:
	s_mov_b64 s[10:11], 0
.LBB103_395:
	s_mov_b64 s[2:3], 0
	s_and_b64 vcc, exec, s[10:11]
	s_cbranch_vccz .LBB103_417
; %bb.396:
	v_cmp_lt_i16_e32 vcc, 22, v21
	s_mov_b64 s[6:7], -1
	s_cbranch_vccz .LBB103_409
; %bb.397:
	v_cmp_gt_i16_e32 vcc, 24, v21
	s_cbranch_vccnz .LBB103_406
; %bb.398:
	v_cmp_lt_i16_e32 vcc, 24, v21
	s_cbranch_vccz .LBB103_403
; %bb.399:
	s_andn2_b64 vcc, exec, s[46:47]
	v_mov_b32_e32 v2, 0x80
	s_cbranch_vccnz .LBB103_402
; %bb.400:
	s_or_b64 s[6:7], s[0:1], s[48:49]
	s_andn2_b64 vcc, exec, s[6:7]
	v_mov_b32_e32 v2, 0
	s_cbranch_vccnz .LBB103_402
; %bb.401:
	v_mov_b32_e32 v2, s88
	v_cndmask_b32_e64 v2, v17, v2, s[0:1]
	v_or_b32_e32 v2, v2, v15
.LBB103_402:
	s_mov_b64 s[6:7], 0
	global_store_byte v[10:11], v2, off
.LBB103_403:
	s_and_b64 vcc, exec, s[6:7]
	s_cbranch_vccz .LBB103_405
; %bb.404:
	s_and_b64 s[0:1], s[44:45], exec
	s_cselect_b32 s6, s87, s86
	s_and_b64 s[0:1], s[42:43], exec
	s_cselect_b32 s0, s89, s6
	v_or_b32_e32 v2, s0, v15
	global_store_byte v[10:11], v2, off
.LBB103_405:
	s_mov_b64 s[6:7], 0
.LBB103_406:
	s_andn2_b64 vcc, exec, s[6:7]
	s_cbranch_vccnz .LBB103_408
; %bb.407:
	s_and_b64 s[0:1], s[40:41], exec
	s_cselect_b32 s6, s84, s83
	s_and_b64 s[0:1], s[38:39], exec
	s_cselect_b32 s0, s85, s6
	v_or_b32_e32 v2, s0, v15
	global_store_byte v[10:11], v2, off
.LBB103_408:
	s_mov_b64 s[6:7], 0
.LBB103_409:
	s_andn2_b64 vcc, exec, s[6:7]
	s_mov_b64 s[0:1], 0
	s_cbranch_vccnz .LBB103_418
; %bb.410:
	v_cmp_lt_i16_e32 vcc, 14, v21
	s_mov_b64 s[6:7], -1
	s_cbranch_vccz .LBB103_414
; %bb.411:
	v_cmp_eq_u16_e32 vcc, 15, v21
	s_mov_b64 s[8:9], -1
	s_cbranch_vccz .LBB103_413
; %bb.412:
	global_store_short v[10:11], v16, off
	s_mov_b64 s[8:9], 0
.LBB103_413:
	s_mov_b64 s[6:7], 0
.LBB103_414:
	s_and_b64 vcc, exec, s[6:7]
	s_cbranch_vccz .LBB103_418
; %bb.415:
	v_cmp_ne_u16_e32 vcc, 11, v21
	s_andn2_b64 s[6:7], s[8:9], exec
	s_and_b64 s[8:9], vcc, exec
	s_mov_b64 s[0:1], -1
	s_or_b64 s[8:9], s[6:7], s[8:9]
	s_branch .LBB103_418
.LBB103_416:
	s_mov_b64 s[0:1], 0
	s_mov_b64 s[2:3], -1
	s_mov_b64 s[8:9], s[76:77]
	s_branch .LBB103_418
.LBB103_417:
	s_mov_b64 s[0:1], 0
.LBB103_418:
	s_and_b64 s[14:15], s[2:3], exec
	s_and_b64 s[10:11], s[0:1], exec
	s_andn2_b64 s[0:1], s[76:77], exec
	s_and_b64 s[2:3], s[8:9], exec
	s_or_b64 s[12:13], s[0:1], s[2:3]
.LBB103_419:
	s_or_b64 exec, exec, s[78:79]
	s_andn2_b64 s[0:1], s[76:77], exec
	s_and_b64 s[2:3], s[12:13], exec
	s_and_b64 s[14:15], s[14:15], exec
	s_and_b64 s[8:9], s[10:11], exec
	s_or_b64 s[76:77], s[0:1], s[2:3]
.LBB103_420:
	s_or_b64 exec, exec, s[74:75]
	s_andn2_b64 s[0:1], s[70:71], exec
	s_and_b64 s[2:3], s[76:77], exec
	s_and_b64 s[12:13], s[14:15], exec
	s_and_b64 s[10:11], s[8:9], exec
	s_or_b64 s[70:71], s[0:1], s[2:3]
.LBB103_421:
	s_or_b64 exec, exec, s[72:73]
	s_andn2_b64 s[0:1], s[66:67], exec
	s_and_b64 s[2:3], s[70:71], exec
	s_and_b64 s[8:9], s[12:13], exec
	;; [unrolled: 1-line block ×3, first 2 shown]
	s_or_b64 s[66:67], s[0:1], s[2:3]
	s_or_b64 exec, exec, s[68:69]
	s_mov_b64 s[0:1], 0
	s_and_saveexec_b64 s[2:3], s[66:67]
	s_cbranch_execz .LBB103_122
.LBB103_422:
	s_mov_b64 s[0:1], exec
	s_andn2_b64 s[72:73], s[72:73], exec
	s_trap 2
	s_or_b64 exec, exec, s[2:3]
	s_and_saveexec_b64 s[2:3], s[72:73]
	s_xor_b64 s[2:3], exec, s[2:3]
	s_cbranch_execnz .LBB103_123
.LBB103_423:
	s_or_b64 exec, exec, s[2:3]
	s_and_saveexec_b64 s[2:3], s[8:9]
	s_xor_b64 s[2:3], exec, s[2:3]
	s_cbranch_execz .LBB103_461
.LBB103_424:
	v_cmp_gt_i16_e32 vcc, 5, v21
	s_mov_b64 s[6:7], -1
	s_cbranch_vccnz .LBB103_445
; %bb.425:
	v_cmp_gt_i16_e32 vcc, 8, v21
	s_cbranch_vccnz .LBB103_435
; %bb.426:
	v_cmp_gt_i16_e32 vcc, 9, v21
	s_cbranch_vccnz .LBB103_432
; %bb.427:
	v_cmp_lt_i16_e32 vcc, 9, v21
	s_cbranch_vccz .LBB103_429
; %bb.428:
	v_mov_b32_e32 v2, 0
	v_mov_b32_e32 v3, v2
	s_mov_b64 s[6:7], 0
	global_store_dwordx4 v[10:11], v[0:3], off
.LBB103_429:
	s_andn2_b64 vcc, exec, s[6:7]
	s_cbranch_vccnz .LBB103_431
; %bb.430:
	v_mov_b32_e32 v7, 0
	global_store_dwordx2 v[10:11], v[6:7], off
.LBB103_431:
	s_mov_b64 s[6:7], 0
.LBB103_432:
	s_andn2_b64 vcc, exec, s[6:7]
	s_cbranch_vccnz .LBB103_434
; %bb.433:
	v_mov_b32_e32 v2, s82
	global_store_dword v[10:11], v2, off
.LBB103_434:
	s_mov_b64 s[6:7], 0
.LBB103_435:
	s_andn2_b64 vcc, exec, s[6:7]
	s_cbranch_vccnz .LBB103_444
; %bb.436:
	v_cmp_gt_i16_e32 vcc, 6, v21
	s_mov_b64 s[6:7], -1
	s_cbranch_vccnz .LBB103_442
; %bb.437:
	v_cmp_lt_i16_e32 vcc, 6, v21
	s_cbranch_vccz .LBB103_439
; %bb.438:
	s_mov_b64 s[6:7], 0
	global_store_dwordx2 v[10:11], v[0:1], off
.LBB103_439:
	s_andn2_b64 vcc, exec, s[6:7]
	s_cbranch_vccnz .LBB103_441
; %bb.440:
	global_store_dword v[10:11], v6, off
.LBB103_441:
	s_mov_b64 s[6:7], 0
.LBB103_442:
	s_andn2_b64 vcc, exec, s[6:7]
	s_cbranch_vccnz .LBB103_444
; %bb.443:
	v_mov_b32_e32 v0, s81
	global_store_short v[10:11], v0, off
.LBB103_444:
	s_mov_b64 s[6:7], 0
.LBB103_445:
	s_andn2_b64 vcc, exec, s[6:7]
	s_cbranch_vccnz .LBB103_461
; %bb.446:
	v_cmp_gt_i16_e32 vcc, 2, v21
	s_mov_b64 s[6:7], -1
	s_cbranch_vccnz .LBB103_456
; %bb.447:
	v_cmp_gt_i16_e32 vcc, 3, v21
	s_cbranch_vccnz .LBB103_453
; %bb.448:
	v_cmp_lt_i16_e32 vcc, 3, v21
	s_cbranch_vccz .LBB103_450
; %bb.449:
	s_mov_b64 s[6:7], 0
	global_store_dwordx2 v[10:11], v[4:5], off
.LBB103_450:
	s_andn2_b64 vcc, exec, s[6:7]
	s_cbranch_vccnz .LBB103_452
; %bb.451:
	global_store_dword v[10:11], v4, off
.LBB103_452:
	s_mov_b64 s[6:7], 0
.LBB103_453:
	s_andn2_b64 vcc, exec, s[6:7]
	s_cbranch_vccnz .LBB103_455
; %bb.454:
	global_store_short v[10:11], v12, off
.LBB103_455:
	s_mov_b64 s[6:7], 0
.LBB103_456:
	s_andn2_b64 vcc, exec, s[6:7]
	s_cbranch_vccnz .LBB103_461
; %bb.457:
	v_cmp_lt_i16_e32 vcc, 0, v21
	s_mov_b64 s[6:7], -1
	s_cbranch_vccz .LBB103_459
; %bb.458:
	s_mov_b64 s[6:7], 0
	global_store_byte v[10:11], v12, off
.LBB103_459:
	s_andn2_b64 vcc, exec, s[6:7]
	s_cbranch_vccnz .LBB103_461
; %bb.460:
	global_store_byte v[10:11], v4, off
.LBB103_461:
	s_or_b64 exec, exec, s[2:3]
	s_and_b64 s[6:7], s[0:1], exec
                                        ; implicit-def: $vgpr8
                                        ; implicit-def: $vgpr13
.LBB103_462:
	s_or_saveexec_b64 s[24:25], s[36:37]
	s_mov_b64 s[2:3], 0
                                        ; implicit-def: $vgpr2
                                        ; implicit-def: $vgpr0_vgpr1
                                        ; implicit-def: $sgpr14
	s_xor_b64 exec, exec, s[24:25]
	s_cbranch_execz .LBB103_949
; %bb.463:
	v_cndmask_b32_e64 v0, 0, 1, s[34:35]
	v_cmp_ne_u32_e64 s[0:1], 1, v0
	s_andn2_b64 vcc, exec, s[34:35]
	s_cbranch_vccnz .LBB103_469
; %bb.464:
	s_mov_b32 s30, 0
	s_cmp_eq_u32 s33, 0
	v_mov_b32_e32 v6, 0
	s_cbranch_scc1 .LBB103_473
; %bb.465:
	s_min_u32 s31, s80, 15
	s_add_i32 s31, s31, 1
	s_cmp_eq_u32 s80, 2
	v_mov_b32_e32 v6, 0
	s_cbranch_scc1 .LBB103_470
; %bb.466:
	s_add_u32 s2, s28, 0xc4
	s_addc_u32 s3, s29, 0
	s_and_b32 s30, s31, 28
	s_mov_b32 s34, 0
	v_mov_b32_e32 v6, 0
	s_mov_b64 s[26:27], s[28:29]
	v_mov_b32_e32 v0, v13
.LBB103_467:                            ; =>This Inner Loop Header: Depth=1
	s_load_dwordx8 s[8:15], s[26:27], 0x4
	s_load_dwordx4 s[16:19], s[26:27], 0x24
	s_load_dwordx4 s[20:23], s[2:3], 0x0
	s_add_u32 s26, s26, 48
	s_addc_u32 s27, s27, 0
	s_waitcnt lgkmcnt(0)
	v_mul_hi_u32 v1, s9, v0
	v_add_u32_e32 v1, v0, v1
	v_lshrrev_b32_e32 v1, s10, v1
	v_mul_lo_u32 v2, v1, s8
	v_mul_hi_u32 v3, s12, v1
	v_sub_u32_e32 v0, v0, v2
	v_add_u32_e32 v2, v1, v3
	v_lshrrev_b32_e32 v2, s13, v2
	v_mul_lo_u32 v3, v2, s11
	v_mul_hi_u32 v4, s15, v2
	v_sub_u32_e32 v1, v1, v3
	v_add_u32_e32 v3, v2, v4
	v_mul_lo_u32 v0, v0, s20
	v_mul_lo_u32 v1, v1, s21
	v_lshrrev_b32_e32 v3, s16, v3
	v_add3_u32 v1, v0, v6, v1
	v_mul_lo_u32 v0, v3, s14
	v_mul_hi_u32 v4, s18, v3
	v_sub_u32_e32 v0, v2, v0
	v_add_u32_e32 v2, v3, v4
	v_mul_lo_u32 v4, v0, s22
	v_lshrrev_b32_e32 v0, s19, v2
	s_add_i32 s34, s34, 4
	v_mul_lo_u32 v2, v0, s17
	s_add_u32 s2, s2, 16
	v_sub_u32_e32 v2, v3, v2
	s_addc_u32 s3, s3, 0
	v_mul_lo_u32 v2, v2, s23
	s_cmp_lg_u32 s30, s34
	v_add3_u32 v6, v4, v1, v2
	s_cbranch_scc1 .LBB103_467
; %bb.468:
	s_and_b32 s10, s31, 3
	s_cmp_eq_u32 s10, 0
	s_cbranch_scc0 .LBB103_471
	s_branch .LBB103_473
.LBB103_469:
                                        ; implicit-def: $vgpr6
	s_branch .LBB103_474
.LBB103_470:
	v_mov_b32_e32 v0, v13
	s_and_b32 s10, s31, 3
	s_cmp_eq_u32 s10, 0
	s_cbranch_scc1 .LBB103_473
.LBB103_471:
	s_lshl_b32 s2, s30, 2
	s_add_u32 s2, s2, s28
	s_addc_u32 s3, 0, s29
	s_add_u32 s2, s2, 0xc4
	s_addc_u32 s3, s3, 0
	s_mul_i32 s8, s30, 12
	s_add_u32 s8, s28, s8
	s_addc_u32 s9, 0, s29
.LBB103_472:                            ; =>This Inner Loop Header: Depth=1
	s_load_dwordx2 s[12:13], s[8:9], 0x4
	s_load_dword s11, s[8:9], 0xc
	s_load_dword s14, s[2:3], 0x0
	s_add_u32 s8, s8, 12
	s_addc_u32 s9, s9, 0
	s_waitcnt lgkmcnt(0)
	v_mul_hi_u32 v1, s13, v0
	v_add_u32_e32 v1, v0, v1
	v_lshrrev_b32_e32 v1, s11, v1
	s_add_u32 s2, s2, 4
	v_mul_lo_u32 v2, v1, s12
	s_addc_u32 s3, s3, 0
	s_add_i32 s10, s10, -1
	v_sub_u32_e32 v2, v0, v2
	s_cmp_lg_u32 s10, 0
	v_mov_b32_e32 v0, v1
	v_mad_u64_u32 v[6:7], s[12:13], v2, s14, v[6:7]
	s_cbranch_scc1 .LBB103_472
.LBB103_473:
	s_cbranch_execnz .LBB103_476
.LBB103_474:
	s_load_dwordx4 s[8:11], s[28:29], 0x4
	s_load_dword s2, s[28:29], 0xc4
	s_cmp_lt_u32 s33, 2
	s_waitcnt lgkmcnt(0)
	v_mul_hi_u32 v0, s9, v13
	v_add_u32_e32 v0, v13, v0
	v_lshrrev_b32_e32 v0, s10, v0
	v_mul_lo_u32 v1, v0, s8
	v_sub_u32_e32 v1, v13, v1
	v_mul_lo_u32 v6, v1, s2
	s_cbranch_scc1 .LBB103_476
; %bb.475:
	s_load_dwordx4 s[8:11], s[28:29], 0x10
	s_load_dword s2, s[28:29], 0xc8
	s_waitcnt lgkmcnt(0)
	v_mul_hi_u32 v1, s9, v0
	v_add_u32_e32 v1, v0, v1
	v_lshrrev_b32_e32 v1, s10, v1
	v_mul_lo_u32 v1, v1, s8
	v_sub_u32_e32 v0, v0, v1
	v_mad_u64_u32 v[6:7], s[2:3], v0, s2, v[6:7]
.LBB103_476:
	s_and_b64 vcc, exec, s[0:1]
	v_add_u32_e32 v0, 0x80, v13
	s_cbranch_vccnz .LBB103_482
; %bb.477:
	s_mov_b32 s30, 0
	s_cmp_eq_u32 s33, 0
	v_mov_b32_e32 v4, 0
	s_cbranch_scc1 .LBB103_486
; %bb.478:
	s_min_u32 s31, s80, 15
	s_add_i32 s31, s31, 1
	s_cmp_eq_u32 s80, 2
	v_mov_b32_e32 v4, 0
	s_cbranch_scc1 .LBB103_483
; %bb.479:
	s_add_u32 s2, s28, 0xc4
	s_addc_u32 s3, s29, 0
	s_and_b32 s30, s31, 28
	s_mov_b32 s34, 0
	v_mov_b32_e32 v4, 0
	s_mov_b64 s[26:27], s[28:29]
	v_mov_b32_e32 v1, v0
.LBB103_480:                            ; =>This Inner Loop Header: Depth=1
	s_load_dwordx8 s[8:15], s[26:27], 0x4
	s_load_dwordx4 s[16:19], s[26:27], 0x24
	s_load_dwordx4 s[20:23], s[2:3], 0x0
	s_add_u32 s26, s26, 48
	s_addc_u32 s27, s27, 0
	s_waitcnt lgkmcnt(0)
	v_mul_hi_u32 v2, s9, v1
	v_add_u32_e32 v2, v1, v2
	v_lshrrev_b32_e32 v2, s10, v2
	v_mul_lo_u32 v3, v2, s8
	v_mul_hi_u32 v5, s12, v2
	v_sub_u32_e32 v1, v1, v3
	v_add_u32_e32 v3, v2, v5
	v_lshrrev_b32_e32 v3, s13, v3
	v_mul_lo_u32 v5, v3, s11
	v_mul_hi_u32 v7, s15, v3
	v_sub_u32_e32 v2, v2, v5
	v_add_u32_e32 v5, v3, v7
	v_mul_lo_u32 v1, v1, s20
	v_mul_lo_u32 v2, v2, s21
	v_lshrrev_b32_e32 v5, s16, v5
	v_add3_u32 v2, v1, v4, v2
	v_mul_lo_u32 v1, v5, s14
	v_mul_hi_u32 v4, s18, v5
	v_sub_u32_e32 v1, v3, v1
	v_add_u32_e32 v3, v5, v4
	v_mul_lo_u32 v4, v1, s22
	v_lshrrev_b32_e32 v1, s19, v3
	s_add_i32 s34, s34, 4
	v_mul_lo_u32 v3, v1, s17
	s_add_u32 s2, s2, 16
	v_sub_u32_e32 v3, v5, v3
	s_addc_u32 s3, s3, 0
	v_mul_lo_u32 v3, v3, s23
	s_cmp_lg_u32 s30, s34
	v_add3_u32 v4, v4, v2, v3
	s_cbranch_scc1 .LBB103_480
; %bb.481:
	s_and_b32 s10, s31, 3
	s_cmp_eq_u32 s10, 0
	s_cbranch_scc0 .LBB103_484
	s_branch .LBB103_486
.LBB103_482:
                                        ; implicit-def: $vgpr4
	s_branch .LBB103_487
.LBB103_483:
	v_mov_b32_e32 v1, v0
	s_and_b32 s10, s31, 3
	s_cmp_eq_u32 s10, 0
	s_cbranch_scc1 .LBB103_486
.LBB103_484:
	s_lshl_b32 s2, s30, 2
	s_add_u32 s2, s2, s28
	s_addc_u32 s3, 0, s29
	s_add_u32 s2, s2, 0xc4
	s_addc_u32 s3, s3, 0
	s_mul_i32 s8, s30, 12
	s_add_u32 s8, s28, s8
	s_addc_u32 s9, 0, s29
.LBB103_485:                            ; =>This Inner Loop Header: Depth=1
	s_load_dwordx2 s[12:13], s[8:9], 0x4
	s_load_dword s11, s[8:9], 0xc
	s_load_dword s14, s[2:3], 0x0
	s_add_u32 s8, s8, 12
	s_addc_u32 s9, s9, 0
	s_waitcnt lgkmcnt(0)
	v_mul_hi_u32 v2, s13, v1
	v_add_u32_e32 v2, v1, v2
	v_lshrrev_b32_e32 v2, s11, v2
	s_add_u32 s2, s2, 4
	v_mul_lo_u32 v3, v2, s12
	s_addc_u32 s3, s3, 0
	s_add_i32 s10, s10, -1
	v_sub_u32_e32 v3, v1, v3
	s_cmp_lg_u32 s10, 0
	v_mov_b32_e32 v1, v2
	v_mad_u64_u32 v[4:5], s[12:13], v3, s14, v[4:5]
	s_cbranch_scc1 .LBB103_485
.LBB103_486:
	s_cbranch_execnz .LBB103_489
.LBB103_487:
	s_load_dwordx4 s[8:11], s[28:29], 0x4
	s_load_dword s2, s[28:29], 0xc4
	s_cmp_lt_u32 s33, 2
	s_waitcnt lgkmcnt(0)
	v_mul_hi_u32 v1, s9, v0
	v_add_u32_e32 v1, v0, v1
	v_lshrrev_b32_e32 v1, s10, v1
	v_mul_lo_u32 v2, v1, s8
	v_sub_u32_e32 v0, v0, v2
	v_mul_lo_u32 v4, v0, s2
	s_cbranch_scc1 .LBB103_489
; %bb.488:
	s_load_dwordx4 s[8:11], s[28:29], 0x10
	s_load_dword s2, s[28:29], 0xc8
	s_waitcnt lgkmcnt(0)
	v_mul_hi_u32 v0, s9, v1
	v_add_u32_e32 v0, v1, v0
	v_lshrrev_b32_e32 v0, s10, v0
	v_mul_lo_u32 v0, v0, s8
	v_sub_u32_e32 v0, v1, v0
	v_mad_u64_u32 v[4:5], s[2:3], v0, s2, v[4:5]
.LBB103_489:
	s_and_b64 vcc, exec, s[0:1]
	v_add_u32_e32 v0, 0x100, v13
	s_cbranch_vccnz .LBB103_495
; %bb.490:
	s_mov_b32 s30, 0
	s_cmp_eq_u32 s33, 0
	v_mov_b32_e32 v2, 0
	s_cbranch_scc1 .LBB103_499
; %bb.491:
	s_min_u32 s31, s80, 15
	s_add_i32 s31, s31, 1
	s_cmp_eq_u32 s80, 2
	v_mov_b32_e32 v2, 0
	s_cbranch_scc1 .LBB103_496
; %bb.492:
	s_add_u32 s2, s28, 0xc4
	s_addc_u32 s3, s29, 0
	s_and_b32 s30, s31, 28
	s_mov_b32 s34, 0
	v_mov_b32_e32 v2, 0
	s_mov_b64 s[26:27], s[28:29]
	v_mov_b32_e32 v1, v0
.LBB103_493:                            ; =>This Inner Loop Header: Depth=1
	s_load_dwordx8 s[8:15], s[26:27], 0x4
	s_load_dwordx4 s[16:19], s[26:27], 0x24
	s_load_dwordx4 s[20:23], s[2:3], 0x0
	s_add_u32 s26, s26, 48
	s_addc_u32 s27, s27, 0
	s_waitcnt lgkmcnt(0)
	v_mul_hi_u32 v3, s9, v1
	v_add_u32_e32 v3, v1, v3
	v_lshrrev_b32_e32 v3, s10, v3
	v_mul_lo_u32 v5, v3, s8
	v_mul_hi_u32 v7, s12, v3
	v_sub_u32_e32 v1, v1, v5
	v_add_u32_e32 v5, v3, v7
	v_lshrrev_b32_e32 v5, s13, v5
	v_mul_lo_u32 v7, v5, s11
	v_mul_hi_u32 v9, s15, v5
	v_sub_u32_e32 v3, v3, v7
	v_add_u32_e32 v7, v5, v9
	v_mul_lo_u32 v1, v1, s20
	v_mul_lo_u32 v3, v3, s21
	v_lshrrev_b32_e32 v7, s16, v7
	v_add3_u32 v2, v1, v2, v3
	v_mul_lo_u32 v1, v7, s14
	v_mul_hi_u32 v3, s18, v7
	v_sub_u32_e32 v1, v5, v1
	v_add_u32_e32 v3, v7, v3
	v_mul_lo_u32 v5, v1, s22
	v_lshrrev_b32_e32 v1, s19, v3
	s_add_i32 s34, s34, 4
	v_mul_lo_u32 v3, v1, s17
	s_add_u32 s2, s2, 16
	v_sub_u32_e32 v3, v7, v3
	s_addc_u32 s3, s3, 0
	v_mul_lo_u32 v3, v3, s23
	s_cmp_lg_u32 s30, s34
	v_add3_u32 v2, v5, v2, v3
	s_cbranch_scc1 .LBB103_493
; %bb.494:
	s_and_b32 s10, s31, 3
	s_cmp_eq_u32 s10, 0
	s_cbranch_scc0 .LBB103_497
	s_branch .LBB103_499
.LBB103_495:
                                        ; implicit-def: $vgpr2
	s_branch .LBB103_500
.LBB103_496:
	v_mov_b32_e32 v1, v0
	s_and_b32 s10, s31, 3
	s_cmp_eq_u32 s10, 0
	s_cbranch_scc1 .LBB103_499
.LBB103_497:
	s_lshl_b32 s2, s30, 2
	s_add_u32 s2, s2, s28
	s_addc_u32 s3, 0, s29
	s_add_u32 s2, s2, 0xc4
	s_addc_u32 s3, s3, 0
	s_mul_i32 s8, s30, 12
	s_add_u32 s8, s28, s8
	s_addc_u32 s9, 0, s29
.LBB103_498:                            ; =>This Inner Loop Header: Depth=1
	s_load_dwordx2 s[12:13], s[8:9], 0x4
	s_load_dword s11, s[8:9], 0xc
	s_load_dword s14, s[2:3], 0x0
	s_add_u32 s8, s8, 12
	s_addc_u32 s9, s9, 0
	s_waitcnt lgkmcnt(0)
	v_mul_hi_u32 v3, s13, v1
	v_add_u32_e32 v3, v1, v3
	v_lshrrev_b32_e32 v3, s11, v3
	s_add_u32 s2, s2, 4
	v_mul_lo_u32 v5, v3, s12
	s_addc_u32 s3, s3, 0
	s_add_i32 s10, s10, -1
	v_sub_u32_e32 v5, v1, v5
	s_cmp_lg_u32 s10, 0
	v_mov_b32_e32 v1, v3
	v_mad_u64_u32 v[2:3], s[12:13], v5, s14, v[2:3]
	s_cbranch_scc1 .LBB103_498
.LBB103_499:
	s_cbranch_execnz .LBB103_502
.LBB103_500:
	s_load_dwordx4 s[8:11], s[28:29], 0x4
	s_load_dword s2, s[28:29], 0xc4
	s_cmp_lt_u32 s33, 2
	s_waitcnt lgkmcnt(0)
	v_mul_hi_u32 v1, s9, v0
	v_add_u32_e32 v1, v0, v1
	v_lshrrev_b32_e32 v1, s10, v1
	v_mul_lo_u32 v2, v1, s8
	v_sub_u32_e32 v0, v0, v2
	v_mul_lo_u32 v2, v0, s2
	s_cbranch_scc1 .LBB103_502
; %bb.501:
	s_load_dwordx4 s[8:11], s[28:29], 0x10
	s_load_dword s2, s[28:29], 0xc8
	s_waitcnt lgkmcnt(0)
	v_mul_hi_u32 v0, s9, v1
	v_add_u32_e32 v0, v1, v0
	v_lshrrev_b32_e32 v0, s10, v0
	v_mul_lo_u32 v0, v0, s8
	v_sub_u32_e32 v0, v1, v0
	v_mad_u64_u32 v[2:3], s[2:3], v0, s2, v[2:3]
.LBB103_502:
	s_and_b64 vcc, exec, s[0:1]
	s_cbranch_vccnz .LBB103_508
; %bb.503:
	s_mov_b32 s26, 0
	s_cmp_eq_u32 s33, 0
	v_mov_b32_e32 v0, 0
	s_cbranch_scc1 .LBB103_512
; %bb.504:
	s_min_u32 s27, s80, 15
	s_add_i32 s27, s27, 1
	s_cmp_eq_u32 s80, 2
	v_mov_b32_e32 v0, 0
	s_cbranch_scc1 .LBB103_509
; %bb.505:
	s_add_u32 s20, s28, 0xc4
	s_addc_u32 s21, s29, 0
	s_and_b32 s26, s27, 28
	s_mov_b32 s30, 0
	v_mov_b32_e32 v0, 0
	s_mov_b64 s[22:23], s[28:29]
	v_mov_b32_e32 v3, v8
.LBB103_506:                            ; =>This Inner Loop Header: Depth=1
	s_load_dwordx8 s[8:15], s[22:23], 0x4
	s_load_dwordx4 s[0:3], s[22:23], 0x24
	s_load_dwordx4 s[16:19], s[20:21], 0x0
	s_add_u32 s22, s22, 48
	s_addc_u32 s23, s23, 0
	s_waitcnt lgkmcnt(0)
	v_mul_hi_u32 v1, s9, v3
	v_add_u32_e32 v1, v3, v1
	v_lshrrev_b32_e32 v1, s10, v1
	v_mul_lo_u32 v5, v1, s8
	v_mul_hi_u32 v7, s12, v1
	v_sub_u32_e32 v3, v3, v5
	v_add_u32_e32 v5, v1, v7
	v_lshrrev_b32_e32 v5, s13, v5
	v_mul_lo_u32 v7, v5, s11
	v_mul_hi_u32 v9, s15, v5
	v_sub_u32_e32 v1, v1, v7
	v_add_u32_e32 v7, v5, v9
	v_mul_lo_u32 v3, v3, s16
	v_mul_lo_u32 v1, v1, s17
	v_lshrrev_b32_e32 v7, s0, v7
	v_add3_u32 v0, v3, v0, v1
	v_mul_hi_u32 v3, s2, v7
	v_add_u32_e32 v3, v7, v3
	v_mul_lo_u32 v1, v7, s14
	v_lshrrev_b32_e32 v3, s3, v3
	s_add_i32 s30, s30, 4
	v_sub_u32_e32 v1, v5, v1
	v_mul_lo_u32 v5, v3, s1
	s_add_u32 s20, s20, 16
	v_sub_u32_e32 v5, v7, v5
	s_addc_u32 s21, s21, 0
	v_mul_lo_u32 v1, v1, s18
	v_mul_lo_u32 v5, v5, s19
	s_cmp_lg_u32 s26, s30
	v_add3_u32 v0, v1, v0, v5
	s_cbranch_scc1 .LBB103_506
; %bb.507:
	s_and_b32 s8, s27, 3
	s_cmp_eq_u32 s8, 0
	s_cbranch_scc0 .LBB103_510
	s_branch .LBB103_512
.LBB103_508:
                                        ; implicit-def: $vgpr0
	s_branch .LBB103_513
.LBB103_509:
	v_mov_b32_e32 v3, v8
	s_and_b32 s8, s27, 3
	s_cmp_eq_u32 s8, 0
	s_cbranch_scc1 .LBB103_512
.LBB103_510:
	s_lshl_b32 s0, s26, 2
	s_add_u32 s0, s0, s28
	s_addc_u32 s1, 0, s29
	s_add_u32 s0, s0, 0xc4
	s_addc_u32 s1, s1, 0
	s_mul_i32 s2, s26, 12
	s_add_u32 s2, s28, s2
	s_addc_u32 s3, 0, s29
.LBB103_511:                            ; =>This Inner Loop Header: Depth=1
	s_load_dwordx2 s[10:11], s[2:3], 0x4
	s_load_dword s9, s[2:3], 0xc
	s_load_dword s12, s[0:1], 0x0
	s_add_u32 s2, s2, 12
	s_addc_u32 s3, s3, 0
	s_waitcnt lgkmcnt(0)
	v_mul_hi_u32 v1, s11, v3
	v_add_u32_e32 v1, v3, v1
	v_lshrrev_b32_e32 v1, s9, v1
	s_add_u32 s0, s0, 4
	v_mul_lo_u32 v5, v1, s10
	s_addc_u32 s1, s1, 0
	s_add_i32 s8, s8, -1
	v_sub_u32_e32 v5, v3, v5
	s_cmp_lg_u32 s8, 0
	v_mov_b32_e32 v3, v1
	v_mad_u64_u32 v[0:1], s[10:11], v5, s12, v[0:1]
	s_cbranch_scc1 .LBB103_511
.LBB103_512:
	s_cbranch_execnz .LBB103_515
.LBB103_513:
	s_load_dwordx4 s[0:3], s[28:29], 0x4
	s_waitcnt lgkmcnt(0)
	s_load_dword s3, s[28:29], 0xc4
	s_cmp_lt_u32 s33, 2
	v_mul_hi_u32 v0, s1, v8
	v_add_u32_e32 v0, v8, v0
	v_lshrrev_b32_e32 v1, s2, v0
	v_mul_lo_u32 v0, v1, s0
	v_sub_u32_e32 v0, v8, v0
	s_waitcnt lgkmcnt(0)
	v_mul_lo_u32 v0, v0, s3
	s_cbranch_scc1 .LBB103_515
; %bb.514:
	s_load_dwordx4 s[0:3], s[28:29], 0x10
	s_waitcnt lgkmcnt(0)
	s_load_dword s3, s[28:29], 0xc8
	v_mul_hi_u32 v3, s1, v1
	v_add_u32_e32 v3, v1, v3
	v_lshrrev_b32_e32 v3, s2, v3
	v_mul_lo_u32 v3, v3, s0
	v_sub_u32_e32 v1, v1, v3
	s_waitcnt lgkmcnt(0)
	v_mad_u64_u32 v[0:1], s[0:1], v1, s3, v[0:1]
.LBB103_515:
	s_load_dwordx2 s[2:3], s[28:29], 0x108
	s_load_dword s14, s[28:29], 0x110
	s_load_dword s0, s[4:5], 0x118
	s_waitcnt lgkmcnt(0)
	v_mov_b32_e32 v1, s3
	v_add_co_u32_e32 v6, vcc, s2, v6
	v_addc_co_u32_e32 v7, vcc, 0, v1, vcc
	s_lshr_b32 s15, s0, 16
	v_mov_b32_e32 v1, 11
	v_cmp_lt_i16_sdwa s[0:1], s15, v1 src0_sel:BYTE_0 src1_sel:DWORD
	s_and_b64 vcc, exec, s[0:1]
	s_cbranch_vccnz .LBB103_522
; %bb.516:
	v_mov_b32_e32 v1, 25
	v_cmp_gt_i16_sdwa s[0:1], s15, v1 src0_sel:BYTE_0 src1_sel:DWORD
	s_mov_b64 s[10:11], -1
	s_mov_b64 s[4:5], 0
	s_and_b64 vcc, exec, s[0:1]
	s_mov_b64 s[8:9], 0
	s_mov_b64 s[0:1], 0
	s_cbranch_vccz .LBB103_555
; %bb.517:
	v_mov_b32_e32 v1, 28
	v_cmp_gt_i16_sdwa s[0:1], s15, v1 src0_sel:BYTE_0 src1_sel:DWORD
	s_and_b64 vcc, exec, s[0:1]
	s_cbranch_vccz .LBB103_524
; %bb.518:
	v_mov_b32_e32 v1, 43
	v_cmp_gt_i16_sdwa s[0:1], s15, v1 src0_sel:BYTE_0 src1_sel:DWORD
	s_and_b64 vcc, exec, s[0:1]
	;; [unrolled: 5-line block ×3, first 2 shown]
	s_cbranch_vccz .LBB103_526
; %bb.520:
	v_mov_b32_e32 v1, 46
	v_cmp_eq_u16_sdwa s[8:9], s15, v1 src0_sel:BYTE_0 src1_sel:DWORD
	s_mov_b64 s[0:1], -1
	s_mov_b64 s[10:11], 0
	s_and_b64 vcc, exec, s[8:9]
	s_mov_b64 s[8:9], 0
	s_cbranch_vccz .LBB103_527
; %bb.521:
	v_cvt_f32_f16_e32 v1, s14
	v_mov_b32_e32 v3, 0x7fc0
	v_cmp_o_f16_e64 vcc, s14, s14
	s_mov_b64 s[0:1], 0
	v_bfe_u32 v5, v1, 16, 1
	v_add_u32_e32 v1, v1, v5
	v_add_u32_e32 v1, 0x7fff, v1
	v_lshrrev_b32_e32 v1, 16, v1
	v_cndmask_b32_e32 v1, v3, v1, vcc
	global_store_dword v[6:7], v1, off
	s_mov_b64 s[8:9], -1
	s_branch .LBB103_527
.LBB103_522:
	s_mov_b64 s[8:9], 0
	s_mov_b64 s[0:1], s[6:7]
	s_cbranch_execnz .LBB103_605
.LBB103_523:
	s_andn2_b64 vcc, exec, s[8:9]
	s_cbranch_vccz .LBB103_643
	s_branch .LBB103_947
.LBB103_524:
	s_mov_b64 s[0:1], 0
	s_branch .LBB103_536
.LBB103_525:
	s_mov_b64 s[0:1], 0
	s_and_b64 vcc, exec, s[10:11]
	s_cbranch_vccnz .LBB103_533
	s_branch .LBB103_535
.LBB103_526:
	s_mov_b64 s[0:1], 0
.LBB103_527:
	s_and_b64 vcc, exec, s[10:11]
	s_cbranch_vccz .LBB103_532
; %bb.528:
	v_mov_b32_e32 v1, 44
	v_cmp_eq_u16_sdwa s[10:11], s15, v1 src0_sel:BYTE_0 src1_sel:DWORD
	s_mov_b64 s[0:1], -1
	s_and_b64 vcc, exec, s[10:11]
	s_cbranch_vccz .LBB103_532
; %bb.529:
	v_cvt_f32_f16_e32 v1, s14
	v_mov_b32_e32 v3, 0xff
	v_readfirstlane_b32 s0, v1
	s_bfe_u32 s1, s0, 0x80017
	s_cmpk_eq_i32 s1, 0xff
	s_cbranch_scc1 .LBB103_531
; %bb.530:
	s_bitcmp1_b32 s0, 22
	s_cselect_b64 s[8:9], -1, 0
	s_and_b32 s0, s0, 0x3fffff
	s_or_b32 s0, s1, s0
	s_cmp_lg_u32 s0, 0
	s_cselect_b64 s[0:1], -1, 0
	s_and_b64 s[0:1], s[8:9], s[0:1]
	v_lshrrev_b32_e32 v1, 23, v1
	v_cndmask_b32_e64 v3, 0, 1, s[0:1]
	v_add_u32_e32 v3, v1, v3
.LBB103_531:
	s_mov_b64 s[0:1], 0
	s_mov_b64 s[8:9], -1
	global_store_byte v[6:7], v3, off
.LBB103_532:
	s_branch .LBB103_535
.LBB103_533:
	v_mov_b32_e32 v1, 29
	v_cmp_eq_u16_sdwa s[10:11], s15, v1 src0_sel:BYTE_0 src1_sel:DWORD
	s_mov_b64 s[0:1], -1
	s_and_b64 vcc, exec, s[10:11]
	s_cbranch_vccz .LBB103_535
; %bb.534:
	v_cvt_f32_f16_e32 v1, s14
	v_mov_b32_e32 v9, 0
	s_mov_b64 s[0:1], 0
	s_mov_b64 s[8:9], -1
	v_cvt_u32_f32_e32 v8, v1
	s_mov_b64 s[10:11], 0
	global_store_dwordx2 v[6:7], v[8:9], off
	s_branch .LBB103_536
.LBB103_535:
	s_mov_b64 s[10:11], 0
.LBB103_536:
	s_and_b64 vcc, exec, s[10:11]
	s_cbranch_vccz .LBB103_554
; %bb.537:
	v_mov_b32_e32 v1, 27
	v_cmp_lt_i16_sdwa s[10:11], s15, v1 src0_sel:BYTE_0 src1_sel:DWORD
	s_mov_b64 s[8:9], -1
	s_and_b64 vcc, exec, s[10:11]
	s_cbranch_vccnz .LBB103_543
; %bb.538:
	v_cmp_gt_i16_sdwa s[10:11], s15, v1 src0_sel:BYTE_0 src1_sel:DWORD
	s_and_b64 vcc, exec, s[10:11]
	s_cbranch_vccz .LBB103_540
; %bb.539:
	v_cvt_f32_f16_e32 v1, s14
	s_mov_b64 s[8:9], 0
	v_cvt_u32_f32_e32 v1, v1
	global_store_dword v[6:7], v1, off
.LBB103_540:
	s_andn2_b64 vcc, exec, s[8:9]
	s_cbranch_vccnz .LBB103_542
; %bb.541:
	v_cvt_u16_f16_e32 v1, s14
	global_store_short v[6:7], v1, off
.LBB103_542:
	s_mov_b64 s[8:9], 0
.LBB103_543:
	s_andn2_b64 vcc, exec, s[8:9]
	s_cbranch_vccnz .LBB103_553
; %bb.544:
	v_cvt_f32_f16_e32 v1, s14
	v_mov_b32_e32 v3, 0x80
	v_readfirstlane_b32 s12, v1
	s_and_b32 s8, s12, 0x7fffffff
	s_cmp_gt_u32 s8, 0x437fffff
	s_cbranch_scc1 .LBB103_552
; %bb.545:
	s_cmp_gt_u32 s8, 0x3bffffff
	s_cbranch_scc0 .LBB103_547
; %bb.546:
	s_bfe_u32 s8, s12, 0x10014
	s_add_i32 s8, s12, s8
	s_add_i32 s8, s8, 0x487ffff
	s_lshr_b32 s13, s8, 20
	s_mov_b64 s[10:11], 0
	s_mov_b64 s[8:9], -1
	s_branch .LBB103_548
.LBB103_547:
	s_mov_b64 s[10:11], -1
	s_mov_b64 s[8:9], 0
                                        ; implicit-def: $sgpr13
.LBB103_548:
	s_andn2_b64 vcc, exec, s[10:11]
	v_mov_b32_e32 v1, s13
                                        ; implicit-def: $sgpr10
	s_cbranch_vccnz .LBB103_550
; %bb.549:
	v_mov_b32_e32 v1, 0x46000000
	v_add_f32_e64 v1, |s12|, v1
	v_and_b32_e32 v1, 0xff, v1
	s_mov_b32 s10, 0
	v_cmp_ne_u32_e64 s[8:9], 0, v1
.LBB103_550:
	s_andn2_b64 vcc, exec, s[8:9]
	v_mov_b32_e32 v3, s10
	s_cbranch_vccnz .LBB103_552
; %bb.551:
	s_lshr_b32 s8, s12, 24
	s_and_b32 s8, s8, 0x80
	v_or_b32_e32 v3, s8, v1
.LBB103_552:
	global_store_byte v[6:7], v3, off
.LBB103_553:
	s_mov_b64 s[8:9], -1
.LBB103_554:
	s_mov_b64 s[10:11], 0
.LBB103_555:
	s_and_b64 vcc, exec, s[10:11]
	s_cbranch_vccz .LBB103_601
; %bb.556:
	v_mov_b32_e32 v1, 22
	v_cmp_gt_i16_sdwa s[10:11], s15, v1 src0_sel:BYTE_0 src1_sel:DWORD
	s_mov_b64 s[4:5], -1
	s_and_b64 vcc, exec, s[10:11]
	s_cbranch_vccz .LBB103_594
; %bb.557:
	v_mov_b32_e32 v1, 24
	v_cmp_lt_i16_sdwa s[8:9], s15, v1 src0_sel:BYTE_0 src1_sel:DWORD
	s_and_b64 vcc, exec, s[8:9]
	s_cbranch_vccnz .LBB103_581
; %bb.558:
	v_cmp_gt_i16_sdwa s[8:9], s15, v1 src0_sel:BYTE_0 src1_sel:DWORD
	s_and_b64 vcc, exec, s[8:9]
	s_cbranch_vccz .LBB103_568
; %bb.559:
	v_cvt_f32_f16_e32 v1, s14
	v_mov_b32_e32 v3, 0x80
	v_readfirstlane_b32 s10, v1
	s_and_b32 s4, s10, 0x7fffffff
	s_cmp_gt_u32 s4, 0x477fffff
	s_cbranch_scc1 .LBB103_567
; %bb.560:
	s_cmp_gt_u32 s4, 0x37ffffff
	s_cbranch_scc0 .LBB103_562
; %bb.561:
	s_bfe_u32 s4, s10, 0x10015
	s_add_i32 s4, s10, s4
	s_add_i32 s4, s4, 0x88fffff
	s_lshr_b32 s11, s4, 21
	s_mov_b64 s[8:9], 0
	s_mov_b64 s[4:5], -1
	s_branch .LBB103_563
.LBB103_562:
	s_mov_b64 s[8:9], -1
	s_mov_b64 s[4:5], 0
                                        ; implicit-def: $sgpr11
.LBB103_563:
	s_andn2_b64 vcc, exec, s[8:9]
	v_mov_b32_e32 v1, s11
                                        ; implicit-def: $sgpr8
	s_cbranch_vccnz .LBB103_565
; %bb.564:
	v_mov_b32_e32 v1, 0x42800000
	v_add_f32_e64 v1, |s10|, v1
	v_and_b32_e32 v1, 0xff, v1
	s_mov_b32 s8, 0
	v_cmp_ne_u32_e64 s[4:5], 0, v1
.LBB103_565:
	s_andn2_b64 vcc, exec, s[4:5]
	v_mov_b32_e32 v3, s8
	s_cbranch_vccnz .LBB103_567
; %bb.566:
	s_lshr_b32 s4, s10, 24
	s_and_b32 s4, s4, 0x80
	v_or_b32_e32 v3, s4, v1
.LBB103_567:
	s_mov_b64 s[4:5], 0
	global_store_byte v[6:7], v3, off
.LBB103_568:
	s_and_b64 vcc, exec, s[4:5]
	s_cbranch_vccz .LBB103_580
; %bb.569:
	v_cvt_f32_f16_e32 v1, s14
	v_readfirstlane_b32 s8, v1
	s_and_b32 s9, s8, 0x7fffffff
	s_cmp_lt_u32 s9, 0x43f00000
	s_cbranch_scc0 .LBB103_572
; %bb.570:
	s_cmp_gt_u32 s9, 0x3c7fffff
	s_cbranch_scc0 .LBB103_573
; %bb.571:
	s_bfe_u32 s4, s8, 0x10014
	s_add_i32 s4, s8, s4
	s_add_i32 s4, s4, 0x407ffff
	s_lshr_b32 s5, s4, 20
	s_and_b32 s4, s4, 0xff00000
	s_cmp_lg_u32 s4, 0x7f00000
	s_cselect_b32 s10, s5, 0x7e
	s_mov_b64 s[4:5], 0
	s_branch .LBB103_574
.LBB103_572:
	s_mov_b64 s[4:5], -1
                                        ; implicit-def: $vgpr3
	s_branch .LBB103_577
.LBB103_573:
	s_mov_b64 s[4:5], -1
                                        ; implicit-def: $sgpr10
.LBB103_574:
	s_andn2_b64 vcc, exec, s[4:5]
	v_mov_b32_e32 v3, s10
	s_cbranch_vccnz .LBB103_576
; %bb.575:
	s_mov_b32 s4, 0x46800000
	v_add_f32_e64 v3, |v1|, s4
.LBB103_576:
	s_mov_b64 s[4:5], 0
.LBB103_577:
	s_andn2_b64 vcc, exec, s[4:5]
	s_cbranch_vccnz .LBB103_579
; %bb.578:
	s_cmp_gt_u32 s9, 0x7f800000
	s_movk_i32 s4, 0x7f
	s_cselect_b32 s4, s4, 0x7e
	v_mov_b32_e32 v3, s4
.LBB103_579:
	s_lshr_b32 s4, s8, 24
	s_and_b32 s4, s4, 0x80
	v_or_b32_e32 v1, s4, v3
	global_store_byte v[6:7], v1, off
.LBB103_580:
	s_mov_b64 s[4:5], 0
.LBB103_581:
	s_andn2_b64 vcc, exec, s[4:5]
	s_cbranch_vccnz .LBB103_593
; %bb.582:
	v_cvt_f32_f16_e32 v1, s14
	v_readfirstlane_b32 s8, v1
	s_and_b32 s9, s8, 0x7fffffff
	s_cmp_lt_u32 s9, 0x47800000
	s_cbranch_scc0 .LBB103_585
; %bb.583:
	s_cmp_gt_u32 s9, 0x387fffff
	s_cbranch_scc0 .LBB103_586
; %bb.584:
	s_bfe_u32 s4, s8, 0x10015
	s_add_i32 s4, s8, s4
	s_add_i32 s4, s4, 0x80fffff
	s_lshr_b32 s10, s4, 21
	s_mov_b64 s[4:5], 0
	s_branch .LBB103_587
.LBB103_585:
	s_mov_b64 s[4:5], -1
                                        ; implicit-def: $vgpr3
	s_branch .LBB103_590
.LBB103_586:
	s_mov_b64 s[4:5], -1
                                        ; implicit-def: $sgpr10
.LBB103_587:
	s_andn2_b64 vcc, exec, s[4:5]
	v_mov_b32_e32 v3, s10
	s_cbranch_vccnz .LBB103_589
; %bb.588:
	s_mov_b32 s4, 0x43000000
	v_add_f32_e64 v3, |v1|, s4
.LBB103_589:
	s_mov_b64 s[4:5], 0
.LBB103_590:
	s_andn2_b64 vcc, exec, s[4:5]
	s_cbranch_vccnz .LBB103_592
; %bb.591:
	s_cmp_gt_u32 s9, 0x7f800000
	s_movk_i32 s4, 0x7f
	s_cselect_b32 s4, s4, 0x7c
	v_mov_b32_e32 v3, s4
.LBB103_592:
	s_lshr_b32 s4, s8, 24
	s_and_b32 s4, s4, 0x80
	v_or_b32_e32 v1, s4, v3
	global_store_byte v[6:7], v1, off
.LBB103_593:
	s_mov_b64 s[4:5], 0
	s_mov_b64 s[8:9], -1
.LBB103_594:
	s_andn2_b64 vcc, exec, s[4:5]
	s_mov_b64 s[4:5], 0
	s_cbranch_vccnz .LBB103_601
; %bb.595:
	v_mov_b32_e32 v1, 14
	v_cmp_gt_i16_sdwa s[4:5], s15, v1 src0_sel:BYTE_0 src1_sel:DWORD
	s_mov_b64 s[10:11], -1
	s_and_b64 vcc, exec, s[4:5]
	s_cbranch_vccz .LBB103_599
; %bb.596:
	v_mov_b32_e32 v1, 15
	v_cmp_eq_u16_sdwa s[4:5], s15, v1 src0_sel:BYTE_0 src1_sel:DWORD
	s_mov_b64 s[0:1], -1
	s_and_b64 vcc, exec, s[4:5]
	s_cbranch_vccz .LBB103_598
; %bb.597:
	v_cvt_f32_f16_e32 v1, s14
	v_mov_b32_e32 v3, 0x7fc0
	v_cmp_o_f16_e64 vcc, s14, s14
	s_mov_b64 s[0:1], 0
	v_bfe_u32 v5, v1, 16, 1
	v_add_u32_e32 v1, v1, v5
	v_add_u32_e32 v1, 0x7fff, v1
	v_lshrrev_b32_e32 v1, 16, v1
	v_cndmask_b32_e32 v1, v3, v1, vcc
	global_store_short v[6:7], v1, off
	s_mov_b64 s[8:9], -1
.LBB103_598:
	s_mov_b64 s[10:11], 0
.LBB103_599:
	s_mov_b64 s[4:5], 0
	s_and_b64 vcc, exec, s[10:11]
	s_cbranch_vccz .LBB103_601
; %bb.600:
	v_mov_b32_e32 v1, 11
	v_cmp_ne_u16_sdwa s[0:1], s15, v1 src0_sel:BYTE_0 src1_sel:DWORD
	s_mov_b64 s[4:5], -1
.LBB103_601:
	s_and_b64 vcc, exec, s[0:1]
	s_mov_b64 s[0:1], s[6:7]
	s_cbranch_vccnz .LBB103_654
; %bb.602:
	s_andn2_b64 vcc, exec, s[4:5]
	s_cbranch_vccnz .LBB103_604
.LBB103_603:
	v_mov_b32_e32 v1, 0x7fff
	v_and_b32_e32 v1, s14, v1
	v_cmp_ne_u16_e32 vcc, 0, v1
	v_cndmask_b32_e64 v1, 0, 1, vcc
	global_store_byte v[6:7], v1, off
	s_mov_b64 s[8:9], -1
.LBB103_604:
	s_branch .LBB103_523
.LBB103_605:
	v_mov_b32_e32 v1, 5
	v_cmp_lt_i16_sdwa s[8:9], s15, v1 src0_sel:BYTE_0 src1_sel:DWORD
	s_mov_b64 s[4:5], -1
	s_and_b64 vcc, exec, s[8:9]
	s_cbranch_vccnz .LBB103_626
; %bb.606:
	v_mov_b32_e32 v1, 8
	v_cmp_lt_i16_sdwa s[8:9], s15, v1 src0_sel:BYTE_0 src1_sel:DWORD
	s_and_b64 vcc, exec, s[8:9]
	s_cbranch_vccnz .LBB103_616
; %bb.607:
	v_mov_b32_e32 v1, 9
	v_cmp_lt_i16_sdwa s[8:9], s15, v1 src0_sel:BYTE_0 src1_sel:DWORD
	s_and_b64 vcc, exec, s[8:9]
	s_cbranch_vccnz .LBB103_613
; %bb.608:
	v_cmp_gt_i16_sdwa s[8:9], s15, v1 src0_sel:BYTE_0 src1_sel:DWORD
	s_and_b64 vcc, exec, s[8:9]
	s_cbranch_vccz .LBB103_610
; %bb.609:
	v_cvt_f32_f16_e32 v1, s14
	v_mov_b32_e32 v10, 0
	v_mov_b32_e32 v11, v10
	s_mov_b64 s[4:5], 0
	v_cvt_f64_f32_e32 v[8:9], v1
	global_store_dwordx4 v[6:7], v[8:11], off
.LBB103_610:
	s_andn2_b64 vcc, exec, s[4:5]
	s_cbranch_vccnz .LBB103_612
; %bb.611:
	v_cvt_f32_f16_e32 v8, s14
	v_mov_b32_e32 v9, 0
	global_store_dwordx2 v[6:7], v[8:9], off
.LBB103_612:
	s_mov_b64 s[4:5], 0
.LBB103_613:
	s_andn2_b64 vcc, exec, s[4:5]
	s_cbranch_vccnz .LBB103_615
; %bb.614:
	s_and_b32 s4, 0xffff, s14
	v_mov_b32_e32 v1, s4
	global_store_dword v[6:7], v1, off
.LBB103_615:
	s_mov_b64 s[4:5], 0
.LBB103_616:
	s_andn2_b64 vcc, exec, s[4:5]
	s_cbranch_vccnz .LBB103_625
; %bb.617:
	v_mov_b32_e32 v1, 6
	v_cmp_lt_i16_sdwa s[8:9], s15, v1 src0_sel:BYTE_0 src1_sel:DWORD
	s_mov_b64 s[4:5], -1
	s_and_b64 vcc, exec, s[8:9]
	s_cbranch_vccnz .LBB103_623
; %bb.618:
	v_cmp_gt_i16_sdwa s[8:9], s15, v1 src0_sel:BYTE_0 src1_sel:DWORD
	s_and_b64 vcc, exec, s[8:9]
	s_cbranch_vccz .LBB103_620
; %bb.619:
	v_cvt_f32_f16_e32 v1, s14
	s_mov_b64 s[4:5], 0
	v_cvt_f64_f32_e32 v[8:9], v1
	global_store_dwordx2 v[6:7], v[8:9], off
.LBB103_620:
	s_andn2_b64 vcc, exec, s[4:5]
	s_cbranch_vccnz .LBB103_622
; %bb.621:
	v_cvt_f32_f16_e32 v1, s14
	global_store_dword v[6:7], v1, off
.LBB103_622:
	s_mov_b64 s[4:5], 0
.LBB103_623:
	s_andn2_b64 vcc, exec, s[4:5]
	s_cbranch_vccnz .LBB103_625
; %bb.624:
	v_mov_b32_e32 v1, s14
	global_store_short v[6:7], v1, off
.LBB103_625:
	s_mov_b64 s[4:5], 0
.LBB103_626:
	s_andn2_b64 vcc, exec, s[4:5]
	s_cbranch_vccnz .LBB103_642
; %bb.627:
	v_mov_b32_e32 v1, 2
	v_cmp_lt_i16_sdwa s[8:9], s15, v1 src0_sel:BYTE_0 src1_sel:DWORD
	s_mov_b64 s[4:5], -1
	s_and_b64 vcc, exec, s[8:9]
	s_cbranch_vccnz .LBB103_637
; %bb.628:
	v_mov_b32_e32 v1, 3
	v_cmp_lt_i16_sdwa s[8:9], s15, v1 src0_sel:BYTE_0 src1_sel:DWORD
	s_and_b64 vcc, exec, s[8:9]
	s_cbranch_vccnz .LBB103_634
; %bb.629:
	v_cmp_gt_i16_sdwa s[8:9], s15, v1 src0_sel:BYTE_0 src1_sel:DWORD
	s_and_b64 vcc, exec, s[8:9]
	s_cbranch_vccz .LBB103_631
; %bb.630:
	v_cvt_f32_f16_e32 v1, s14
	s_mov_b64 s[4:5], 0
	v_cvt_i32_f32_e32 v8, v1
	v_ashrrev_i32_e32 v9, 31, v8
	global_store_dwordx2 v[6:7], v[8:9], off
.LBB103_631:
	s_andn2_b64 vcc, exec, s[4:5]
	s_cbranch_vccnz .LBB103_633
; %bb.632:
	v_cvt_f32_f16_e32 v1, s14
	v_cvt_i32_f32_e32 v1, v1
	global_store_dword v[6:7], v1, off
.LBB103_633:
	s_mov_b64 s[4:5], 0
.LBB103_634:
	s_andn2_b64 vcc, exec, s[4:5]
	s_cbranch_vccnz .LBB103_636
; %bb.635:
	v_cvt_i16_f16_e32 v1, s14
	global_store_short v[6:7], v1, off
.LBB103_636:
	s_mov_b64 s[4:5], 0
.LBB103_637:
	s_andn2_b64 vcc, exec, s[4:5]
	s_cbranch_vccnz .LBB103_642
; %bb.638:
	v_mov_b32_e32 v1, 0
	v_cmp_gt_i16_sdwa s[8:9], s15, v1 src0_sel:BYTE_0 src1_sel:DWORD
	s_mov_b64 s[4:5], -1
	s_and_b64 vcc, exec, s[8:9]
	s_cbranch_vccz .LBB103_640
; %bb.639:
	v_cvt_i16_f16_e32 v1, s14
	global_store_byte v[6:7], v1, off
	s_mov_b64 s[4:5], 0
.LBB103_640:
	s_andn2_b64 vcc, exec, s[4:5]
	s_cbranch_vccnz .LBB103_642
; %bb.641:
	v_cvt_f32_f16_e32 v1, s14
	v_cvt_i32_f32_e32 v1, v1
	global_store_byte v[6:7], v1, off
.LBB103_642:
.LBB103_643:
	v_mov_b32_e32 v1, s3
	v_add_co_u32_e32 v4, vcc, s2, v4
	v_addc_co_u32_e32 v5, vcc, 0, v1, vcc
	v_mov_b32_e32 v1, 11
	v_cmp_lt_i16_sdwa s[4:5], s15, v1 src0_sel:BYTE_0 src1_sel:DWORD
	s_and_b64 vcc, exec, s[4:5]
	s_cbranch_vccnz .LBB103_650
; %bb.644:
	v_mov_b32_e32 v1, 25
	v_cmp_gt_i16_sdwa s[4:5], s15, v1 src0_sel:BYTE_0 src1_sel:DWORD
	s_mov_b64 s[12:13], -1
	s_mov_b64 s[8:9], 0
	s_and_b64 vcc, exec, s[4:5]
	s_mov_b64 s[10:11], 0
	s_mov_b64 s[4:5], 0
	s_cbranch_vccz .LBB103_685
; %bb.645:
	v_mov_b32_e32 v1, 28
	v_cmp_gt_i16_sdwa s[4:5], s15, v1 src0_sel:BYTE_0 src1_sel:DWORD
	s_and_b64 vcc, exec, s[4:5]
	s_cbranch_vccz .LBB103_652
; %bb.646:
	v_mov_b32_e32 v1, 43
	v_cmp_gt_i16_sdwa s[4:5], s15, v1 src0_sel:BYTE_0 src1_sel:DWORD
	s_and_b64 vcc, exec, s[4:5]
	;; [unrolled: 5-line block ×3, first 2 shown]
	s_cbranch_vccz .LBB103_655
; %bb.648:
	v_mov_b32_e32 v1, 46
	v_cmp_eq_u16_sdwa s[10:11], s15, v1 src0_sel:BYTE_0 src1_sel:DWORD
	s_mov_b64 s[4:5], -1
	s_mov_b64 s[12:13], 0
	s_and_b64 vcc, exec, s[10:11]
	s_mov_b64 s[10:11], 0
	s_cbranch_vccz .LBB103_656
; %bb.649:
	v_cvt_f32_f16_e32 v1, s14
	v_mov_b32_e32 v3, 0x7fc0
	v_cmp_o_f16_e64 vcc, s14, s14
	s_mov_b64 s[4:5], 0
	v_bfe_u32 v6, v1, 16, 1
	v_add_u32_e32 v1, v1, v6
	v_add_u32_e32 v1, 0x7fff, v1
	v_lshrrev_b32_e32 v1, 16, v1
	v_cndmask_b32_e32 v1, v3, v1, vcc
	global_store_dword v[4:5], v1, off
	s_mov_b64 s[10:11], -1
	s_branch .LBB103_656
.LBB103_650:
	s_mov_b64 s[10:11], 0
	s_cbranch_execnz .LBB103_735
.LBB103_651:
	s_andn2_b64 vcc, exec, s[10:11]
	s_cbranch_vccz .LBB103_773
	s_branch .LBB103_947
.LBB103_652:
	s_mov_b64 s[4:5], 0
	s_branch .LBB103_666
.LBB103_653:
	s_mov_b64 s[4:5], 0
	s_branch .LBB103_662
.LBB103_654:
	s_or_b64 s[0:1], s[6:7], exec
	s_trap 2
	s_cbranch_execz .LBB103_603
	s_branch .LBB103_604
.LBB103_655:
	s_mov_b64 s[4:5], 0
.LBB103_656:
	s_and_b64 vcc, exec, s[12:13]
	s_cbranch_vccz .LBB103_661
; %bb.657:
	v_mov_b32_e32 v1, 44
	v_cmp_eq_u16_sdwa s[12:13], s15, v1 src0_sel:BYTE_0 src1_sel:DWORD
	s_mov_b64 s[4:5], -1
	s_and_b64 vcc, exec, s[12:13]
	s_cbranch_vccz .LBB103_661
; %bb.658:
	v_cvt_f32_f16_e32 v1, s14
	v_mov_b32_e32 v3, 0xff
	v_readfirstlane_b32 s4, v1
	s_bfe_u32 s5, s4, 0x80017
	s_cmpk_eq_i32 s5, 0xff
	s_cbranch_scc1 .LBB103_660
; %bb.659:
	s_bitcmp1_b32 s4, 22
	s_cselect_b64 s[10:11], -1, 0
	s_and_b32 s4, s4, 0x3fffff
	s_or_b32 s4, s5, s4
	s_cmp_lg_u32 s4, 0
	s_cselect_b64 s[4:5], -1, 0
	s_and_b64 s[4:5], s[10:11], s[4:5]
	v_lshrrev_b32_e32 v1, 23, v1
	v_cndmask_b32_e64 v3, 0, 1, s[4:5]
	v_add_u32_e32 v3, v1, v3
.LBB103_660:
	s_mov_b64 s[4:5], 0
	s_mov_b64 s[10:11], -1
	global_store_byte v[4:5], v3, off
.LBB103_661:
	s_mov_b64 s[12:13], 0
.LBB103_662:
	s_and_b64 vcc, exec, s[12:13]
	s_cbranch_vccz .LBB103_665
; %bb.663:
	v_mov_b32_e32 v1, 29
	v_cmp_eq_u16_sdwa s[12:13], s15, v1 src0_sel:BYTE_0 src1_sel:DWORD
	s_mov_b64 s[4:5], -1
	s_and_b64 vcc, exec, s[12:13]
	s_cbranch_vccz .LBB103_665
; %bb.664:
	v_cvt_f32_f16_e32 v1, s14
	v_mov_b32_e32 v7, 0
	s_mov_b64 s[4:5], 0
	s_mov_b64 s[10:11], -1
	v_cvt_u32_f32_e32 v6, v1
	s_mov_b64 s[12:13], 0
	global_store_dwordx2 v[4:5], v[6:7], off
	s_branch .LBB103_666
.LBB103_665:
	s_mov_b64 s[12:13], 0
.LBB103_666:
	s_and_b64 vcc, exec, s[12:13]
	s_cbranch_vccz .LBB103_684
; %bb.667:
	v_mov_b32_e32 v1, 27
	v_cmp_lt_i16_sdwa s[12:13], s15, v1 src0_sel:BYTE_0 src1_sel:DWORD
	s_mov_b64 s[10:11], -1
	s_and_b64 vcc, exec, s[12:13]
	s_cbranch_vccnz .LBB103_673
; %bb.668:
	v_cmp_gt_i16_sdwa s[12:13], s15, v1 src0_sel:BYTE_0 src1_sel:DWORD
	s_and_b64 vcc, exec, s[12:13]
	s_cbranch_vccz .LBB103_670
; %bb.669:
	v_cvt_f32_f16_e32 v1, s14
	s_mov_b64 s[10:11], 0
	v_cvt_u32_f32_e32 v1, v1
	global_store_dword v[4:5], v1, off
.LBB103_670:
	s_andn2_b64 vcc, exec, s[10:11]
	s_cbranch_vccnz .LBB103_672
; %bb.671:
	v_cvt_u16_f16_e32 v1, s14
	global_store_short v[4:5], v1, off
.LBB103_672:
	s_mov_b64 s[10:11], 0
.LBB103_673:
	s_andn2_b64 vcc, exec, s[10:11]
	s_cbranch_vccnz .LBB103_683
; %bb.674:
	v_cvt_f32_f16_e32 v1, s14
	v_mov_b32_e32 v3, 0x80
	v_readfirstlane_b32 s16, v1
	s_and_b32 s10, s16, 0x7fffffff
	s_cmp_gt_u32 s10, 0x437fffff
	s_cbranch_scc1 .LBB103_682
; %bb.675:
	s_cmp_gt_u32 s10, 0x3bffffff
	s_cbranch_scc0 .LBB103_677
; %bb.676:
	s_bfe_u32 s10, s16, 0x10014
	s_add_i32 s10, s16, s10
	s_add_i32 s10, s10, 0x487ffff
	s_lshr_b32 s17, s10, 20
	s_mov_b64 s[12:13], 0
	s_mov_b64 s[10:11], -1
	s_branch .LBB103_678
.LBB103_677:
	s_mov_b64 s[12:13], -1
	s_mov_b64 s[10:11], 0
                                        ; implicit-def: $sgpr17
.LBB103_678:
	s_andn2_b64 vcc, exec, s[12:13]
	v_mov_b32_e32 v1, s17
                                        ; implicit-def: $sgpr12
	s_cbranch_vccnz .LBB103_680
; %bb.679:
	v_mov_b32_e32 v1, 0x46000000
	v_add_f32_e64 v1, |s16|, v1
	v_and_b32_e32 v1, 0xff, v1
	s_mov_b32 s12, 0
	v_cmp_ne_u32_e64 s[10:11], 0, v1
.LBB103_680:
	s_andn2_b64 vcc, exec, s[10:11]
	v_mov_b32_e32 v3, s12
	s_cbranch_vccnz .LBB103_682
; %bb.681:
	s_lshr_b32 s10, s16, 24
	s_and_b32 s10, s10, 0x80
	v_or_b32_e32 v3, s10, v1
.LBB103_682:
	global_store_byte v[4:5], v3, off
.LBB103_683:
	s_mov_b64 s[10:11], -1
.LBB103_684:
	s_mov_b64 s[12:13], 0
.LBB103_685:
	s_and_b64 vcc, exec, s[12:13]
	s_cbranch_vccz .LBB103_731
; %bb.686:
	v_mov_b32_e32 v1, 22
	v_cmp_gt_i16_sdwa s[12:13], s15, v1 src0_sel:BYTE_0 src1_sel:DWORD
	s_mov_b64 s[8:9], -1
	s_and_b64 vcc, exec, s[12:13]
	s_cbranch_vccz .LBB103_724
; %bb.687:
	v_mov_b32_e32 v1, 24
	v_cmp_lt_i16_sdwa s[10:11], s15, v1 src0_sel:BYTE_0 src1_sel:DWORD
	s_and_b64 vcc, exec, s[10:11]
	s_cbranch_vccnz .LBB103_711
; %bb.688:
	v_cmp_gt_i16_sdwa s[10:11], s15, v1 src0_sel:BYTE_0 src1_sel:DWORD
	s_and_b64 vcc, exec, s[10:11]
	s_cbranch_vccz .LBB103_698
; %bb.689:
	v_cvt_f32_f16_e32 v1, s14
	v_mov_b32_e32 v3, 0x80
	v_readfirstlane_b32 s12, v1
	s_and_b32 s8, s12, 0x7fffffff
	s_cmp_gt_u32 s8, 0x477fffff
	s_cbranch_scc1 .LBB103_697
; %bb.690:
	s_cmp_gt_u32 s8, 0x37ffffff
	s_cbranch_scc0 .LBB103_692
; %bb.691:
	s_bfe_u32 s8, s12, 0x10015
	s_add_i32 s8, s12, s8
	s_add_i32 s8, s8, 0x88fffff
	s_lshr_b32 s13, s8, 21
	s_mov_b64 s[10:11], 0
	s_mov_b64 s[8:9], -1
	s_branch .LBB103_693
.LBB103_692:
	s_mov_b64 s[10:11], -1
	s_mov_b64 s[8:9], 0
                                        ; implicit-def: $sgpr13
.LBB103_693:
	s_andn2_b64 vcc, exec, s[10:11]
	v_mov_b32_e32 v1, s13
                                        ; implicit-def: $sgpr10
	s_cbranch_vccnz .LBB103_695
; %bb.694:
	v_mov_b32_e32 v1, 0x42800000
	v_add_f32_e64 v1, |s12|, v1
	v_and_b32_e32 v1, 0xff, v1
	s_mov_b32 s10, 0
	v_cmp_ne_u32_e64 s[8:9], 0, v1
.LBB103_695:
	s_andn2_b64 vcc, exec, s[8:9]
	v_mov_b32_e32 v3, s10
	s_cbranch_vccnz .LBB103_697
; %bb.696:
	s_lshr_b32 s8, s12, 24
	s_and_b32 s8, s8, 0x80
	v_or_b32_e32 v3, s8, v1
.LBB103_697:
	s_mov_b64 s[8:9], 0
	global_store_byte v[4:5], v3, off
.LBB103_698:
	s_and_b64 vcc, exec, s[8:9]
	s_cbranch_vccz .LBB103_710
; %bb.699:
	v_cvt_f32_f16_e32 v1, s14
	v_readfirstlane_b32 s10, v1
	s_and_b32 s11, s10, 0x7fffffff
	s_cmp_lt_u32 s11, 0x43f00000
	s_cbranch_scc0 .LBB103_702
; %bb.700:
	s_cmp_gt_u32 s11, 0x3c7fffff
	s_cbranch_scc0 .LBB103_703
; %bb.701:
	s_bfe_u32 s8, s10, 0x10014
	s_add_i32 s8, s10, s8
	s_add_i32 s8, s8, 0x407ffff
	s_lshr_b32 s9, s8, 20
	s_and_b32 s8, s8, 0xff00000
	s_cmp_lg_u32 s8, 0x7f00000
	s_cselect_b32 s12, s9, 0x7e
	s_mov_b64 s[8:9], 0
	s_branch .LBB103_704
.LBB103_702:
	s_mov_b64 s[8:9], -1
                                        ; implicit-def: $vgpr3
	s_branch .LBB103_707
.LBB103_703:
	s_mov_b64 s[8:9], -1
                                        ; implicit-def: $sgpr12
.LBB103_704:
	s_andn2_b64 vcc, exec, s[8:9]
	v_mov_b32_e32 v3, s12
	s_cbranch_vccnz .LBB103_706
; %bb.705:
	s_mov_b32 s8, 0x46800000
	v_add_f32_e64 v3, |v1|, s8
.LBB103_706:
	s_mov_b64 s[8:9], 0
.LBB103_707:
	s_andn2_b64 vcc, exec, s[8:9]
	s_cbranch_vccnz .LBB103_709
; %bb.708:
	s_cmp_gt_u32 s11, 0x7f800000
	s_movk_i32 s8, 0x7f
	s_cselect_b32 s8, s8, 0x7e
	v_mov_b32_e32 v3, s8
.LBB103_709:
	s_lshr_b32 s8, s10, 24
	s_and_b32 s8, s8, 0x80
	v_or_b32_e32 v1, s8, v3
	global_store_byte v[4:5], v1, off
.LBB103_710:
	s_mov_b64 s[8:9], 0
.LBB103_711:
	s_andn2_b64 vcc, exec, s[8:9]
	s_cbranch_vccnz .LBB103_723
; %bb.712:
	v_cvt_f32_f16_e32 v1, s14
	v_readfirstlane_b32 s10, v1
	s_and_b32 s11, s10, 0x7fffffff
	s_cmp_lt_u32 s11, 0x47800000
	s_cbranch_scc0 .LBB103_715
; %bb.713:
	s_cmp_gt_u32 s11, 0x387fffff
	s_cbranch_scc0 .LBB103_716
; %bb.714:
	s_bfe_u32 s8, s10, 0x10015
	s_add_i32 s8, s10, s8
	s_add_i32 s8, s8, 0x80fffff
	s_lshr_b32 s12, s8, 21
	s_mov_b64 s[8:9], 0
	s_branch .LBB103_717
.LBB103_715:
	s_mov_b64 s[8:9], -1
                                        ; implicit-def: $vgpr3
	s_branch .LBB103_720
.LBB103_716:
	s_mov_b64 s[8:9], -1
                                        ; implicit-def: $sgpr12
.LBB103_717:
	s_andn2_b64 vcc, exec, s[8:9]
	v_mov_b32_e32 v3, s12
	s_cbranch_vccnz .LBB103_719
; %bb.718:
	s_mov_b32 s8, 0x43000000
	v_add_f32_e64 v3, |v1|, s8
.LBB103_719:
	s_mov_b64 s[8:9], 0
.LBB103_720:
	s_andn2_b64 vcc, exec, s[8:9]
	s_cbranch_vccnz .LBB103_722
; %bb.721:
	s_cmp_gt_u32 s11, 0x7f800000
	s_movk_i32 s8, 0x7f
	s_cselect_b32 s8, s8, 0x7c
	v_mov_b32_e32 v3, s8
.LBB103_722:
	s_lshr_b32 s8, s10, 24
	s_and_b32 s8, s8, 0x80
	v_or_b32_e32 v1, s8, v3
	global_store_byte v[4:5], v1, off
.LBB103_723:
	s_mov_b64 s[8:9], 0
	s_mov_b64 s[10:11], -1
.LBB103_724:
	s_andn2_b64 vcc, exec, s[8:9]
	s_mov_b64 s[8:9], 0
	s_cbranch_vccnz .LBB103_731
; %bb.725:
	v_mov_b32_e32 v1, 14
	v_cmp_gt_i16_sdwa s[8:9], s15, v1 src0_sel:BYTE_0 src1_sel:DWORD
	s_mov_b64 s[12:13], -1
	s_and_b64 vcc, exec, s[8:9]
	s_cbranch_vccz .LBB103_729
; %bb.726:
	v_mov_b32_e32 v1, 15
	v_cmp_eq_u16_sdwa s[8:9], s15, v1 src0_sel:BYTE_0 src1_sel:DWORD
	s_mov_b64 s[4:5], -1
	s_and_b64 vcc, exec, s[8:9]
	s_cbranch_vccz .LBB103_728
; %bb.727:
	v_cvt_f32_f16_e32 v1, s14
	v_mov_b32_e32 v3, 0x7fc0
	v_cmp_o_f16_e64 vcc, s14, s14
	s_mov_b64 s[4:5], 0
	v_bfe_u32 v6, v1, 16, 1
	v_add_u32_e32 v1, v1, v6
	v_add_u32_e32 v1, 0x7fff, v1
	v_lshrrev_b32_e32 v1, 16, v1
	v_cndmask_b32_e32 v1, v3, v1, vcc
	global_store_short v[4:5], v1, off
	s_mov_b64 s[10:11], -1
.LBB103_728:
	s_mov_b64 s[12:13], 0
.LBB103_729:
	s_mov_b64 s[8:9], 0
	s_and_b64 vcc, exec, s[12:13]
	s_cbranch_vccz .LBB103_731
; %bb.730:
	v_mov_b32_e32 v1, 11
	v_cmp_ne_u16_sdwa s[4:5], s15, v1 src0_sel:BYTE_0 src1_sel:DWORD
	s_mov_b64 s[8:9], -1
.LBB103_731:
	s_and_b64 vcc, exec, s[4:5]
	s_cbranch_vccnz .LBB103_814
; %bb.732:
	s_andn2_b64 vcc, exec, s[8:9]
	s_cbranch_vccnz .LBB103_734
.LBB103_733:
	v_mov_b32_e32 v1, 0x7fff
	v_and_b32_e32 v1, s14, v1
	v_cmp_ne_u16_e32 vcc, 0, v1
	v_cndmask_b32_e64 v1, 0, 1, vcc
	s_mov_b64 s[10:11], -1
	global_store_byte v[4:5], v1, off
.LBB103_734:
	s_branch .LBB103_651
.LBB103_735:
	v_mov_b32_e32 v1, 5
	v_cmp_lt_i16_sdwa s[8:9], s15, v1 src0_sel:BYTE_0 src1_sel:DWORD
	s_mov_b64 s[4:5], -1
	s_and_b64 vcc, exec, s[8:9]
	s_cbranch_vccnz .LBB103_756
; %bb.736:
	v_mov_b32_e32 v1, 8
	v_cmp_lt_i16_sdwa s[8:9], s15, v1 src0_sel:BYTE_0 src1_sel:DWORD
	s_and_b64 vcc, exec, s[8:9]
	s_cbranch_vccnz .LBB103_746
; %bb.737:
	v_mov_b32_e32 v1, 9
	v_cmp_lt_i16_sdwa s[8:9], s15, v1 src0_sel:BYTE_0 src1_sel:DWORD
	s_and_b64 vcc, exec, s[8:9]
	s_cbranch_vccnz .LBB103_743
; %bb.738:
	v_cmp_gt_i16_sdwa s[8:9], s15, v1 src0_sel:BYTE_0 src1_sel:DWORD
	s_and_b64 vcc, exec, s[8:9]
	s_cbranch_vccz .LBB103_740
; %bb.739:
	v_cvt_f32_f16_e32 v1, s14
	v_mov_b32_e32 v8, 0
	v_mov_b32_e32 v9, v8
	s_mov_b64 s[4:5], 0
	v_cvt_f64_f32_e32 v[6:7], v1
	global_store_dwordx4 v[4:5], v[6:9], off
.LBB103_740:
	s_andn2_b64 vcc, exec, s[4:5]
	s_cbranch_vccnz .LBB103_742
; %bb.741:
	v_cvt_f32_f16_e32 v6, s14
	v_mov_b32_e32 v7, 0
	global_store_dwordx2 v[4:5], v[6:7], off
.LBB103_742:
	s_mov_b64 s[4:5], 0
.LBB103_743:
	s_andn2_b64 vcc, exec, s[4:5]
	s_cbranch_vccnz .LBB103_745
; %bb.744:
	s_and_b32 s4, 0xffff, s14
	v_mov_b32_e32 v1, s4
	global_store_dword v[4:5], v1, off
.LBB103_745:
	s_mov_b64 s[4:5], 0
.LBB103_746:
	s_andn2_b64 vcc, exec, s[4:5]
	s_cbranch_vccnz .LBB103_755
; %bb.747:
	v_mov_b32_e32 v1, 6
	v_cmp_lt_i16_sdwa s[8:9], s15, v1 src0_sel:BYTE_0 src1_sel:DWORD
	s_mov_b64 s[4:5], -1
	s_and_b64 vcc, exec, s[8:9]
	s_cbranch_vccnz .LBB103_753
; %bb.748:
	v_cmp_gt_i16_sdwa s[8:9], s15, v1 src0_sel:BYTE_0 src1_sel:DWORD
	s_and_b64 vcc, exec, s[8:9]
	s_cbranch_vccz .LBB103_750
; %bb.749:
	v_cvt_f32_f16_e32 v1, s14
	s_mov_b64 s[4:5], 0
	v_cvt_f64_f32_e32 v[6:7], v1
	global_store_dwordx2 v[4:5], v[6:7], off
.LBB103_750:
	s_andn2_b64 vcc, exec, s[4:5]
	s_cbranch_vccnz .LBB103_752
; %bb.751:
	v_cvt_f32_f16_e32 v1, s14
	global_store_dword v[4:5], v1, off
.LBB103_752:
	s_mov_b64 s[4:5], 0
.LBB103_753:
	s_andn2_b64 vcc, exec, s[4:5]
	s_cbranch_vccnz .LBB103_755
; %bb.754:
	v_mov_b32_e32 v1, s14
	global_store_short v[4:5], v1, off
.LBB103_755:
	s_mov_b64 s[4:5], 0
.LBB103_756:
	s_andn2_b64 vcc, exec, s[4:5]
	s_cbranch_vccnz .LBB103_772
; %bb.757:
	v_mov_b32_e32 v1, 2
	v_cmp_lt_i16_sdwa s[8:9], s15, v1 src0_sel:BYTE_0 src1_sel:DWORD
	s_mov_b64 s[4:5], -1
	s_and_b64 vcc, exec, s[8:9]
	s_cbranch_vccnz .LBB103_767
; %bb.758:
	v_mov_b32_e32 v1, 3
	v_cmp_lt_i16_sdwa s[8:9], s15, v1 src0_sel:BYTE_0 src1_sel:DWORD
	s_and_b64 vcc, exec, s[8:9]
	s_cbranch_vccnz .LBB103_764
; %bb.759:
	v_cmp_gt_i16_sdwa s[8:9], s15, v1 src0_sel:BYTE_0 src1_sel:DWORD
	s_and_b64 vcc, exec, s[8:9]
	s_cbranch_vccz .LBB103_761
; %bb.760:
	v_cvt_f32_f16_e32 v1, s14
	s_mov_b64 s[4:5], 0
	v_cvt_i32_f32_e32 v6, v1
	v_ashrrev_i32_e32 v7, 31, v6
	global_store_dwordx2 v[4:5], v[6:7], off
.LBB103_761:
	s_andn2_b64 vcc, exec, s[4:5]
	s_cbranch_vccnz .LBB103_763
; %bb.762:
	v_cvt_f32_f16_e32 v1, s14
	v_cvt_i32_f32_e32 v1, v1
	global_store_dword v[4:5], v1, off
.LBB103_763:
	s_mov_b64 s[4:5], 0
.LBB103_764:
	s_andn2_b64 vcc, exec, s[4:5]
	s_cbranch_vccnz .LBB103_766
; %bb.765:
	v_cvt_i16_f16_e32 v1, s14
	global_store_short v[4:5], v1, off
.LBB103_766:
	s_mov_b64 s[4:5], 0
.LBB103_767:
	s_andn2_b64 vcc, exec, s[4:5]
	s_cbranch_vccnz .LBB103_772
; %bb.768:
	v_mov_b32_e32 v1, 0
	v_cmp_gt_i16_sdwa s[8:9], s15, v1 src0_sel:BYTE_0 src1_sel:DWORD
	s_mov_b64 s[4:5], -1
	s_and_b64 vcc, exec, s[8:9]
	s_cbranch_vccz .LBB103_770
; %bb.769:
	v_cvt_i16_f16_e32 v1, s14
	global_store_byte v[4:5], v1, off
	s_mov_b64 s[4:5], 0
.LBB103_770:
	s_andn2_b64 vcc, exec, s[4:5]
	s_cbranch_vccnz .LBB103_772
; %bb.771:
	v_cvt_f32_f16_e32 v1, s14
	v_cvt_i32_f32_e32 v1, v1
	global_store_byte v[4:5], v1, off
.LBB103_772:
.LBB103_773:
	v_mov_b32_e32 v1, s3
	v_add_co_u32_e32 v2, vcc, s2, v2
	v_addc_co_u32_e32 v3, vcc, 0, v1, vcc
	v_mov_b32_e32 v1, 11
	v_cmp_lt_i16_sdwa s[4:5], s15, v1 src0_sel:BYTE_0 src1_sel:DWORD
	s_and_b64 vcc, exec, s[4:5]
	s_cbranch_vccnz .LBB103_780
; %bb.774:
	v_mov_b32_e32 v1, 25
	v_cmp_gt_i16_sdwa s[4:5], s15, v1 src0_sel:BYTE_0 src1_sel:DWORD
	s_mov_b64 s[12:13], -1
	s_mov_b64 s[8:9], 0
	s_and_b64 vcc, exec, s[4:5]
	s_mov_b64 s[10:11], 0
	s_mov_b64 s[4:5], 0
	s_cbranch_vccz .LBB103_845
; %bb.775:
	v_mov_b32_e32 v1, 28
	v_cmp_gt_i16_sdwa s[4:5], s15, v1 src0_sel:BYTE_0 src1_sel:DWORD
	s_and_b64 vcc, exec, s[4:5]
	s_cbranch_vccz .LBB103_812
; %bb.776:
	v_mov_b32_e32 v1, 43
	v_cmp_gt_i16_sdwa s[4:5], s15, v1 src0_sel:BYTE_0 src1_sel:DWORD
	s_and_b64 vcc, exec, s[4:5]
	;; [unrolled: 5-line block ×3, first 2 shown]
	s_cbranch_vccz .LBB103_815
; %bb.778:
	v_mov_b32_e32 v1, 46
	v_cmp_eq_u16_sdwa s[10:11], s15, v1 src0_sel:BYTE_0 src1_sel:DWORD
	s_mov_b64 s[4:5], -1
	s_mov_b64 s[12:13], 0
	s_and_b64 vcc, exec, s[10:11]
	s_mov_b64 s[10:11], 0
	s_cbranch_vccz .LBB103_816
; %bb.779:
	v_cvt_f32_f16_e32 v1, s14
	v_mov_b32_e32 v4, 0x7fc0
	v_cmp_o_f16_e64 vcc, s14, s14
	s_mov_b64 s[4:5], 0
	v_bfe_u32 v5, v1, 16, 1
	v_add_u32_e32 v1, v1, v5
	v_add_u32_e32 v1, 0x7fff, v1
	v_lshrrev_b32_e32 v1, 16, v1
	v_cndmask_b32_e32 v1, v4, v1, vcc
	global_store_dword v[2:3], v1, off
	s_mov_b64 s[10:11], -1
	s_branch .LBB103_816
.LBB103_780:
	s_mov_b64 s[10:11], 0
	s_cbranch_execnz .LBB103_909
.LBB103_781:
	s_andn2_b64 vcc, exec, s[10:11]
	s_cbranch_vccnz .LBB103_947
.LBB103_782:
	v_mov_b32_e32 v1, s3
	v_add_co_u32_e32 v0, vcc, s2, v0
	v_mov_b32_e32 v2, 0xff
	v_addc_co_u32_e32 v1, vcc, 0, v1, vcc
	v_and_b32_e32 v2, s15, v2
	v_cmp_gt_i16_e32 vcc, 11, v2
	s_cbranch_vccnz .LBB103_811
; %bb.783:
	v_cmp_lt_i16_e32 vcc, 25, v2
	s_mov_b64 s[8:9], -1
	s_mov_b64 s[4:5], 0
	s_mov_b64 s[2:3], 0
	s_cbranch_vccz .LBB103_859
; %bb.784:
	v_cmp_lt_i16_e32 vcc, 28, v2
	s_cbranch_vccz .LBB103_800
; %bb.785:
	v_cmp_lt_i16_e32 vcc, 43, v2
	;; [unrolled: 3-line block ×3, first 2 shown]
	s_cbranch_vccz .LBB103_790
; %bb.787:
	v_cmp_eq_u16_e32 vcc, 46, v2
	s_mov_b64 s[2:3], -1
	s_cbranch_vccz .LBB103_789
; %bb.788:
	v_cvt_f32_f16_e32 v3, s14
	v_mov_b32_e32 v4, 0x7fc0
	v_cmp_o_f16_e64 vcc, s14, s14
	s_mov_b64 s[2:3], 0
	v_bfe_u32 v5, v3, 16, 1
	v_add_u32_e32 v3, v3, v5
	v_add_u32_e32 v3, 0x7fff, v3
	v_lshrrev_b32_e32 v3, 16, v3
	v_cndmask_b32_e32 v3, v4, v3, vcc
	global_store_dword v[0:1], v3, off
.LBB103_789:
	s_mov_b64 s[8:9], 0
.LBB103_790:
	s_and_b64 vcc, exec, s[8:9]
	s_cbranch_vccz .LBB103_795
; %bb.791:
	v_cmp_eq_u16_e32 vcc, 44, v2
	s_mov_b64 s[2:3], -1
	s_cbranch_vccz .LBB103_795
; %bb.792:
	v_cvt_f32_f16_e32 v3, s14
	v_mov_b32_e32 v4, 0xff
	v_readfirstlane_b32 s2, v3
	s_bfe_u32 s3, s2, 0x80017
	s_cmpk_eq_i32 s3, 0xff
	s_cbranch_scc1 .LBB103_794
; %bb.793:
	s_bitcmp1_b32 s2, 22
	s_cselect_b64 s[8:9], -1, 0
	s_and_b32 s2, s2, 0x3fffff
	s_or_b32 s2, s3, s2
	s_cmp_lg_u32 s2, 0
	s_cselect_b64 s[2:3], -1, 0
	s_and_b64 s[2:3], s[8:9], s[2:3]
	v_lshrrev_b32_e32 v3, 23, v3
	v_cndmask_b32_e64 v4, 0, 1, s[2:3]
	v_add_u32_e32 v4, v3, v4
.LBB103_794:
	s_mov_b64 s[2:3], 0
	global_store_byte v[0:1], v4, off
.LBB103_795:
	s_mov_b64 s[8:9], 0
.LBB103_796:
	s_and_b64 vcc, exec, s[8:9]
	s_cbranch_vccz .LBB103_799
; %bb.797:
	v_cmp_eq_u16_e32 vcc, 29, v2
	s_mov_b64 s[2:3], -1
	s_cbranch_vccz .LBB103_799
; %bb.798:
	v_cvt_f32_f16_e32 v3, s14
	v_mov_b32_e32 v5, 0
	s_mov_b64 s[2:3], 0
	v_cvt_u32_f32_e32 v4, v3
	global_store_dwordx2 v[0:1], v[4:5], off
.LBB103_799:
	s_mov_b64 s[8:9], 0
.LBB103_800:
	s_and_b64 vcc, exec, s[8:9]
	s_cbranch_vccz .LBB103_858
; %bb.801:
	v_cmp_gt_i16_e32 vcc, 27, v2
	s_mov_b64 s[8:9], -1
	s_cbranch_vccnz .LBB103_807
; %bb.802:
	v_cmp_lt_i16_e32 vcc, 27, v2
	s_cbranch_vccz .LBB103_804
; %bb.803:
	v_cvt_f32_f16_e32 v3, s14
	s_mov_b64 s[8:9], 0
	v_cvt_u32_f32_e32 v3, v3
	global_store_dword v[0:1], v3, off
.LBB103_804:
	s_andn2_b64 vcc, exec, s[8:9]
	s_cbranch_vccnz .LBB103_806
; %bb.805:
	v_cvt_u16_f16_e32 v3, s14
	global_store_short v[0:1], v3, off
.LBB103_806:
	s_mov_b64 s[8:9], 0
.LBB103_807:
	s_andn2_b64 vcc, exec, s[8:9]
	s_cbranch_vccnz .LBB103_858
; %bb.808:
	v_cvt_f32_f16_e32 v3, s14
	v_mov_b32_e32 v4, 0x80
	v_readfirstlane_b32 s12, v3
	s_and_b32 s8, s12, 0x7fffffff
	s_cmp_gt_u32 s8, 0x437fffff
	s_cbranch_scc1 .LBB103_857
; %bb.809:
	s_cmp_gt_u32 s8, 0x3bffffff
	s_cbranch_scc0 .LBB103_852
; %bb.810:
	s_bfe_u32 s8, s12, 0x10014
	s_add_i32 s8, s12, s8
	s_add_i32 s8, s8, 0x487ffff
	s_lshr_b32 s13, s8, 20
	s_mov_b64 s[10:11], 0
	s_mov_b64 s[8:9], -1
	s_branch .LBB103_853
.LBB103_811:
	s_mov_b64 s[4:5], 0
	s_mov_b64 s[2:3], -1
	s_branch .LBB103_948
.LBB103_812:
	s_mov_b64 s[4:5], 0
	s_branch .LBB103_826
.LBB103_813:
	s_mov_b64 s[4:5], 0
	s_branch .LBB103_822
.LBB103_814:
	s_trap 2
	s_or_b64 s[0:1], s[0:1], exec
	s_cbranch_execz .LBB103_733
	s_branch .LBB103_734
.LBB103_815:
	s_mov_b64 s[4:5], 0
.LBB103_816:
	s_and_b64 vcc, exec, s[12:13]
	s_cbranch_vccz .LBB103_821
; %bb.817:
	v_mov_b32_e32 v1, 44
	v_cmp_eq_u16_sdwa s[12:13], s15, v1 src0_sel:BYTE_0 src1_sel:DWORD
	s_mov_b64 s[4:5], -1
	s_and_b64 vcc, exec, s[12:13]
	s_cbranch_vccz .LBB103_821
; %bb.818:
	v_cvt_f32_f16_e32 v1, s14
	v_mov_b32_e32 v4, 0xff
	v_readfirstlane_b32 s4, v1
	s_bfe_u32 s5, s4, 0x80017
	s_cmpk_eq_i32 s5, 0xff
	s_cbranch_scc1 .LBB103_820
; %bb.819:
	s_bitcmp1_b32 s4, 22
	s_cselect_b64 s[10:11], -1, 0
	s_and_b32 s4, s4, 0x3fffff
	s_or_b32 s4, s5, s4
	s_cmp_lg_u32 s4, 0
	s_cselect_b64 s[4:5], -1, 0
	s_and_b64 s[4:5], s[10:11], s[4:5]
	v_lshrrev_b32_e32 v1, 23, v1
	v_cndmask_b32_e64 v4, 0, 1, s[4:5]
	v_add_u32_e32 v4, v1, v4
.LBB103_820:
	s_mov_b64 s[4:5], 0
	s_mov_b64 s[10:11], -1
	global_store_byte v[2:3], v4, off
.LBB103_821:
	s_mov_b64 s[12:13], 0
.LBB103_822:
	s_and_b64 vcc, exec, s[12:13]
	s_cbranch_vccz .LBB103_825
; %bb.823:
	v_mov_b32_e32 v1, 29
	v_cmp_eq_u16_sdwa s[12:13], s15, v1 src0_sel:BYTE_0 src1_sel:DWORD
	s_mov_b64 s[4:5], -1
	s_and_b64 vcc, exec, s[12:13]
	s_cbranch_vccz .LBB103_825
; %bb.824:
	v_cvt_f32_f16_e32 v1, s14
	v_mov_b32_e32 v5, 0
	s_mov_b64 s[4:5], 0
	s_mov_b64 s[10:11], -1
	v_cvt_u32_f32_e32 v4, v1
	s_mov_b64 s[12:13], 0
	global_store_dwordx2 v[2:3], v[4:5], off
	s_branch .LBB103_826
.LBB103_825:
	s_mov_b64 s[12:13], 0
.LBB103_826:
	s_and_b64 vcc, exec, s[12:13]
	s_cbranch_vccz .LBB103_844
; %bb.827:
	v_mov_b32_e32 v1, 27
	v_cmp_lt_i16_sdwa s[12:13], s15, v1 src0_sel:BYTE_0 src1_sel:DWORD
	s_mov_b64 s[10:11], -1
	s_and_b64 vcc, exec, s[12:13]
	s_cbranch_vccnz .LBB103_833
; %bb.828:
	v_cmp_gt_i16_sdwa s[12:13], s15, v1 src0_sel:BYTE_0 src1_sel:DWORD
	s_and_b64 vcc, exec, s[12:13]
	s_cbranch_vccz .LBB103_830
; %bb.829:
	v_cvt_f32_f16_e32 v1, s14
	s_mov_b64 s[10:11], 0
	v_cvt_u32_f32_e32 v1, v1
	global_store_dword v[2:3], v1, off
.LBB103_830:
	s_andn2_b64 vcc, exec, s[10:11]
	s_cbranch_vccnz .LBB103_832
; %bb.831:
	v_cvt_u16_f16_e32 v1, s14
	global_store_short v[2:3], v1, off
.LBB103_832:
	s_mov_b64 s[10:11], 0
.LBB103_833:
	s_andn2_b64 vcc, exec, s[10:11]
	s_cbranch_vccnz .LBB103_843
; %bb.834:
	v_cvt_f32_f16_e32 v1, s14
	v_mov_b32_e32 v4, 0x80
	v_readfirstlane_b32 s16, v1
	s_and_b32 s10, s16, 0x7fffffff
	s_cmp_gt_u32 s10, 0x437fffff
	s_cbranch_scc1 .LBB103_842
; %bb.835:
	s_cmp_gt_u32 s10, 0x3bffffff
	s_cbranch_scc0 .LBB103_837
; %bb.836:
	s_bfe_u32 s10, s16, 0x10014
	s_add_i32 s10, s16, s10
	s_add_i32 s10, s10, 0x487ffff
	s_lshr_b32 s17, s10, 20
	s_mov_b64 s[12:13], 0
	s_mov_b64 s[10:11], -1
	s_branch .LBB103_838
.LBB103_837:
	s_mov_b64 s[12:13], -1
	s_mov_b64 s[10:11], 0
                                        ; implicit-def: $sgpr17
.LBB103_838:
	s_andn2_b64 vcc, exec, s[12:13]
	v_mov_b32_e32 v1, s17
                                        ; implicit-def: $sgpr12
	s_cbranch_vccnz .LBB103_840
; %bb.839:
	v_mov_b32_e32 v1, 0x46000000
	v_add_f32_e64 v1, |s16|, v1
	v_and_b32_e32 v1, 0xff, v1
	s_mov_b32 s12, 0
	v_cmp_ne_u32_e64 s[10:11], 0, v1
.LBB103_840:
	s_andn2_b64 vcc, exec, s[10:11]
	v_mov_b32_e32 v4, s12
	s_cbranch_vccnz .LBB103_842
; %bb.841:
	s_lshr_b32 s10, s16, 24
	s_and_b32 s10, s10, 0x80
	v_or_b32_e32 v4, s10, v1
.LBB103_842:
	global_store_byte v[2:3], v4, off
.LBB103_843:
	s_mov_b64 s[10:11], -1
.LBB103_844:
	s_mov_b64 s[12:13], 0
.LBB103_845:
	s_and_b64 vcc, exec, s[12:13]
	s_cbranch_vccz .LBB103_905
; %bb.846:
	v_mov_b32_e32 v1, 22
	v_cmp_gt_i16_sdwa s[12:13], s15, v1 src0_sel:BYTE_0 src1_sel:DWORD
	s_mov_b64 s[8:9], -1
	s_and_b64 vcc, exec, s[12:13]
	s_cbranch_vccz .LBB103_898
; %bb.847:
	v_mov_b32_e32 v1, 24
	v_cmp_lt_i16_sdwa s[10:11], s15, v1 src0_sel:BYTE_0 src1_sel:DWORD
	s_and_b64 vcc, exec, s[10:11]
	s_cbranch_vccnz .LBB103_885
; %bb.848:
	v_cmp_gt_i16_sdwa s[10:11], s15, v1 src0_sel:BYTE_0 src1_sel:DWORD
	s_and_b64 vcc, exec, s[10:11]
	s_cbranch_vccz .LBB103_872
; %bb.849:
	v_cvt_f32_f16_e32 v1, s14
	v_mov_b32_e32 v4, 0x80
	v_readfirstlane_b32 s12, v1
	s_and_b32 s8, s12, 0x7fffffff
	s_cmp_gt_u32 s8, 0x477fffff
	s_cbranch_scc1 .LBB103_871
; %bb.850:
	s_cmp_gt_u32 s8, 0x37ffffff
	s_cbranch_scc0 .LBB103_866
; %bb.851:
	s_bfe_u32 s8, s12, 0x10015
	s_add_i32 s8, s12, s8
	s_add_i32 s8, s8, 0x88fffff
	s_lshr_b32 s13, s8, 21
	s_mov_b64 s[10:11], 0
	s_mov_b64 s[8:9], -1
	s_branch .LBB103_867
.LBB103_852:
	s_mov_b64 s[10:11], -1
	s_mov_b64 s[8:9], 0
                                        ; implicit-def: $sgpr13
.LBB103_853:
	s_andn2_b64 vcc, exec, s[10:11]
	v_mov_b32_e32 v3, s13
                                        ; implicit-def: $sgpr10
	s_cbranch_vccnz .LBB103_855
; %bb.854:
	v_mov_b32_e32 v3, 0x46000000
	v_add_f32_e64 v3, |s12|, v3
	v_and_b32_e32 v3, 0xff, v3
	s_mov_b32 s10, 0
	v_cmp_ne_u32_e64 s[8:9], 0, v3
.LBB103_855:
	s_andn2_b64 vcc, exec, s[8:9]
	v_mov_b32_e32 v4, s10
	s_cbranch_vccnz .LBB103_857
; %bb.856:
	s_lshr_b32 s8, s12, 24
	s_and_b32 s8, s8, 0x80
	v_or_b32_e32 v4, s8, v3
.LBB103_857:
	global_store_byte v[0:1], v4, off
.LBB103_858:
	s_mov_b64 s[8:9], 0
.LBB103_859:
	s_and_b64 vcc, exec, s[8:9]
	s_cbranch_vccz .LBB103_1032
; %bb.860:
	v_cmp_lt_i16_e32 vcc, 22, v2
	s_mov_b64 s[4:5], -1
	s_cbranch_vccz .LBB103_1025
; %bb.861:
	v_cmp_gt_i16_e32 vcc, 24, v2
	s_cbranch_vccnz .LBB103_1012
; %bb.862:
	v_cmp_lt_i16_e32 vcc, 24, v2
	s_cbranch_vccz .LBB103_999
; %bb.863:
	v_cvt_f32_f16_e32 v3, s14
	v_mov_b32_e32 v4, 0x80
	v_readfirstlane_b32 s10, v3
	s_and_b32 s4, s10, 0x7fffffff
	s_cmp_gt_u32 s4, 0x477fffff
	s_cbranch_scc1 .LBB103_998
; %bb.864:
	s_cmp_gt_u32 s4, 0x37ffffff
	s_cbranch_scc0 .LBB103_993
; %bb.865:
	s_bfe_u32 s4, s10, 0x10015
	s_add_i32 s4, s10, s4
	s_add_i32 s4, s4, 0x88fffff
	s_lshr_b32 s11, s4, 21
	s_mov_b64 s[8:9], 0
	s_mov_b64 s[4:5], -1
	s_branch .LBB103_994
.LBB103_866:
	s_mov_b64 s[10:11], -1
	s_mov_b64 s[8:9], 0
                                        ; implicit-def: $sgpr13
.LBB103_867:
	s_andn2_b64 vcc, exec, s[10:11]
	v_mov_b32_e32 v1, s13
                                        ; implicit-def: $sgpr10
	s_cbranch_vccnz .LBB103_869
; %bb.868:
	v_mov_b32_e32 v1, 0x42800000
	v_add_f32_e64 v1, |s12|, v1
	v_and_b32_e32 v1, 0xff, v1
	s_mov_b32 s10, 0
	v_cmp_ne_u32_e64 s[8:9], 0, v1
.LBB103_869:
	s_andn2_b64 vcc, exec, s[8:9]
	v_mov_b32_e32 v4, s10
	s_cbranch_vccnz .LBB103_871
; %bb.870:
	s_lshr_b32 s8, s12, 24
	s_and_b32 s8, s8, 0x80
	v_or_b32_e32 v4, s8, v1
.LBB103_871:
	s_mov_b64 s[8:9], 0
	global_store_byte v[2:3], v4, off
.LBB103_872:
	s_and_b64 vcc, exec, s[8:9]
	s_cbranch_vccz .LBB103_884
; %bb.873:
	v_cvt_f32_f16_e32 v1, s14
	v_readfirstlane_b32 s10, v1
	s_and_b32 s11, s10, 0x7fffffff
	s_cmp_lt_u32 s11, 0x43f00000
	s_cbranch_scc0 .LBB103_876
; %bb.874:
	s_cmp_gt_u32 s11, 0x3c7fffff
	s_cbranch_scc0 .LBB103_877
; %bb.875:
	s_bfe_u32 s8, s10, 0x10014
	s_add_i32 s8, s10, s8
	s_add_i32 s8, s8, 0x407ffff
	s_lshr_b32 s9, s8, 20
	s_and_b32 s8, s8, 0xff00000
	s_cmp_lg_u32 s8, 0x7f00000
	s_cselect_b32 s12, s9, 0x7e
	s_mov_b64 s[8:9], 0
	s_branch .LBB103_878
.LBB103_876:
	s_mov_b64 s[8:9], -1
                                        ; implicit-def: $vgpr4
	s_branch .LBB103_881
.LBB103_877:
	s_mov_b64 s[8:9], -1
                                        ; implicit-def: $sgpr12
.LBB103_878:
	s_andn2_b64 vcc, exec, s[8:9]
	v_mov_b32_e32 v4, s12
	s_cbranch_vccnz .LBB103_880
; %bb.879:
	s_mov_b32 s8, 0x46800000
	v_add_f32_e64 v4, |v1|, s8
.LBB103_880:
	s_mov_b64 s[8:9], 0
.LBB103_881:
	s_andn2_b64 vcc, exec, s[8:9]
	s_cbranch_vccnz .LBB103_883
; %bb.882:
	s_cmp_gt_u32 s11, 0x7f800000
	s_movk_i32 s8, 0x7f
	s_cselect_b32 s8, s8, 0x7e
	v_mov_b32_e32 v4, s8
.LBB103_883:
	s_lshr_b32 s8, s10, 24
	s_and_b32 s8, s8, 0x80
	v_or_b32_e32 v1, s8, v4
	global_store_byte v[2:3], v1, off
.LBB103_884:
	s_mov_b64 s[8:9], 0
.LBB103_885:
	s_andn2_b64 vcc, exec, s[8:9]
	s_cbranch_vccnz .LBB103_897
; %bb.886:
	v_cvt_f32_f16_e32 v1, s14
	v_readfirstlane_b32 s10, v1
	s_and_b32 s11, s10, 0x7fffffff
	s_cmp_lt_u32 s11, 0x47800000
	s_cbranch_scc0 .LBB103_889
; %bb.887:
	s_cmp_gt_u32 s11, 0x387fffff
	s_cbranch_scc0 .LBB103_890
; %bb.888:
	s_bfe_u32 s8, s10, 0x10015
	s_add_i32 s8, s10, s8
	s_add_i32 s8, s8, 0x80fffff
	s_lshr_b32 s12, s8, 21
	s_mov_b64 s[8:9], 0
	s_branch .LBB103_891
.LBB103_889:
	s_mov_b64 s[8:9], -1
                                        ; implicit-def: $vgpr4
	s_branch .LBB103_894
.LBB103_890:
	s_mov_b64 s[8:9], -1
                                        ; implicit-def: $sgpr12
.LBB103_891:
	s_andn2_b64 vcc, exec, s[8:9]
	v_mov_b32_e32 v4, s12
	s_cbranch_vccnz .LBB103_893
; %bb.892:
	s_mov_b32 s8, 0x43000000
	v_add_f32_e64 v4, |v1|, s8
.LBB103_893:
	s_mov_b64 s[8:9], 0
.LBB103_894:
	s_andn2_b64 vcc, exec, s[8:9]
	s_cbranch_vccnz .LBB103_896
; %bb.895:
	s_cmp_gt_u32 s11, 0x7f800000
	s_movk_i32 s8, 0x7f
	s_cselect_b32 s8, s8, 0x7c
	v_mov_b32_e32 v4, s8
.LBB103_896:
	s_lshr_b32 s8, s10, 24
	s_and_b32 s8, s8, 0x80
	v_or_b32_e32 v1, s8, v4
	global_store_byte v[2:3], v1, off
.LBB103_897:
	s_mov_b64 s[8:9], 0
	s_mov_b64 s[10:11], -1
.LBB103_898:
	s_andn2_b64 vcc, exec, s[8:9]
	s_mov_b64 s[8:9], 0
	s_cbranch_vccnz .LBB103_905
; %bb.899:
	v_mov_b32_e32 v1, 14
	v_cmp_gt_i16_sdwa s[8:9], s15, v1 src0_sel:BYTE_0 src1_sel:DWORD
	s_mov_b64 s[12:13], -1
	s_and_b64 vcc, exec, s[8:9]
	s_cbranch_vccz .LBB103_903
; %bb.900:
	v_mov_b32_e32 v1, 15
	v_cmp_eq_u16_sdwa s[8:9], s15, v1 src0_sel:BYTE_0 src1_sel:DWORD
	s_mov_b64 s[4:5], -1
	s_and_b64 vcc, exec, s[8:9]
	s_cbranch_vccz .LBB103_902
; %bb.901:
	v_cvt_f32_f16_e32 v1, s14
	v_mov_b32_e32 v4, 0x7fc0
	v_cmp_o_f16_e64 vcc, s14, s14
	s_mov_b64 s[4:5], 0
	v_bfe_u32 v5, v1, 16, 1
	v_add_u32_e32 v1, v1, v5
	v_add_u32_e32 v1, 0x7fff, v1
	v_lshrrev_b32_e32 v1, 16, v1
	v_cndmask_b32_e32 v1, v4, v1, vcc
	global_store_short v[2:3], v1, off
	s_mov_b64 s[10:11], -1
.LBB103_902:
	s_mov_b64 s[12:13], 0
.LBB103_903:
	s_mov_b64 s[8:9], 0
	s_and_b64 vcc, exec, s[12:13]
	s_cbranch_vccz .LBB103_905
; %bb.904:
	v_mov_b32_e32 v1, 11
	v_cmp_ne_u16_sdwa s[4:5], s15, v1 src0_sel:BYTE_0 src1_sel:DWORD
	s_mov_b64 s[8:9], -1
.LBB103_905:
	s_and_b64 vcc, exec, s[4:5]
	s_cbranch_vccnz .LBB103_992
; %bb.906:
	s_andn2_b64 vcc, exec, s[8:9]
	s_cbranch_vccnz .LBB103_908
.LBB103_907:
	v_mov_b32_e32 v1, 0x7fff
	v_and_b32_e32 v1, s14, v1
	v_cmp_ne_u16_e32 vcc, 0, v1
	v_cndmask_b32_e64 v1, 0, 1, vcc
	s_mov_b64 s[10:11], -1
	global_store_byte v[2:3], v1, off
.LBB103_908:
	s_branch .LBB103_781
.LBB103_909:
	v_mov_b32_e32 v1, 5
	v_cmp_lt_i16_sdwa s[8:9], s15, v1 src0_sel:BYTE_0 src1_sel:DWORD
	s_mov_b64 s[4:5], -1
	s_and_b64 vcc, exec, s[8:9]
	s_cbranch_vccnz .LBB103_930
; %bb.910:
	v_mov_b32_e32 v1, 8
	v_cmp_lt_i16_sdwa s[8:9], s15, v1 src0_sel:BYTE_0 src1_sel:DWORD
	s_and_b64 vcc, exec, s[8:9]
	s_cbranch_vccnz .LBB103_920
; %bb.911:
	v_mov_b32_e32 v1, 9
	v_cmp_lt_i16_sdwa s[8:9], s15, v1 src0_sel:BYTE_0 src1_sel:DWORD
	s_and_b64 vcc, exec, s[8:9]
	s_cbranch_vccnz .LBB103_917
; %bb.912:
	v_cmp_gt_i16_sdwa s[8:9], s15, v1 src0_sel:BYTE_0 src1_sel:DWORD
	s_and_b64 vcc, exec, s[8:9]
	s_cbranch_vccz .LBB103_914
; %bb.913:
	v_cvt_f32_f16_e32 v1, s14
	v_mov_b32_e32 v6, 0
	v_mov_b32_e32 v7, v6
	s_mov_b64 s[4:5], 0
	v_cvt_f64_f32_e32 v[4:5], v1
	global_store_dwordx4 v[2:3], v[4:7], off
.LBB103_914:
	s_andn2_b64 vcc, exec, s[4:5]
	s_cbranch_vccnz .LBB103_916
; %bb.915:
	v_cvt_f32_f16_e32 v4, s14
	v_mov_b32_e32 v5, 0
	global_store_dwordx2 v[2:3], v[4:5], off
.LBB103_916:
	s_mov_b64 s[4:5], 0
.LBB103_917:
	s_andn2_b64 vcc, exec, s[4:5]
	s_cbranch_vccnz .LBB103_919
; %bb.918:
	s_and_b32 s4, 0xffff, s14
	v_mov_b32_e32 v1, s4
	global_store_dword v[2:3], v1, off
.LBB103_919:
	s_mov_b64 s[4:5], 0
.LBB103_920:
	s_andn2_b64 vcc, exec, s[4:5]
	s_cbranch_vccnz .LBB103_929
; %bb.921:
	v_mov_b32_e32 v1, 6
	v_cmp_lt_i16_sdwa s[8:9], s15, v1 src0_sel:BYTE_0 src1_sel:DWORD
	s_mov_b64 s[4:5], -1
	s_and_b64 vcc, exec, s[8:9]
	s_cbranch_vccnz .LBB103_927
; %bb.922:
	v_cmp_gt_i16_sdwa s[8:9], s15, v1 src0_sel:BYTE_0 src1_sel:DWORD
	s_and_b64 vcc, exec, s[8:9]
	s_cbranch_vccz .LBB103_924
; %bb.923:
	v_cvt_f32_f16_e32 v1, s14
	s_mov_b64 s[4:5], 0
	v_cvt_f64_f32_e32 v[4:5], v1
	global_store_dwordx2 v[2:3], v[4:5], off
.LBB103_924:
	s_andn2_b64 vcc, exec, s[4:5]
	s_cbranch_vccnz .LBB103_926
; %bb.925:
	v_cvt_f32_f16_e32 v1, s14
	global_store_dword v[2:3], v1, off
.LBB103_926:
	s_mov_b64 s[4:5], 0
.LBB103_927:
	s_andn2_b64 vcc, exec, s[4:5]
	s_cbranch_vccnz .LBB103_929
; %bb.928:
	v_mov_b32_e32 v1, s14
	global_store_short v[2:3], v1, off
.LBB103_929:
	s_mov_b64 s[4:5], 0
.LBB103_930:
	s_andn2_b64 vcc, exec, s[4:5]
	s_cbranch_vccnz .LBB103_946
; %bb.931:
	v_mov_b32_e32 v1, 2
	v_cmp_lt_i16_sdwa s[8:9], s15, v1 src0_sel:BYTE_0 src1_sel:DWORD
	s_mov_b64 s[4:5], -1
	s_and_b64 vcc, exec, s[8:9]
	s_cbranch_vccnz .LBB103_941
; %bb.932:
	v_mov_b32_e32 v1, 3
	v_cmp_lt_i16_sdwa s[8:9], s15, v1 src0_sel:BYTE_0 src1_sel:DWORD
	s_and_b64 vcc, exec, s[8:9]
	s_cbranch_vccnz .LBB103_938
; %bb.933:
	v_cmp_gt_i16_sdwa s[8:9], s15, v1 src0_sel:BYTE_0 src1_sel:DWORD
	s_and_b64 vcc, exec, s[8:9]
	s_cbranch_vccz .LBB103_935
; %bb.934:
	v_cvt_f32_f16_e32 v1, s14
	s_mov_b64 s[4:5], 0
	v_cvt_i32_f32_e32 v4, v1
	v_ashrrev_i32_e32 v5, 31, v4
	global_store_dwordx2 v[2:3], v[4:5], off
.LBB103_935:
	s_andn2_b64 vcc, exec, s[4:5]
	s_cbranch_vccnz .LBB103_937
; %bb.936:
	v_cvt_f32_f16_e32 v1, s14
	v_cvt_i32_f32_e32 v1, v1
	global_store_dword v[2:3], v1, off
.LBB103_937:
	s_mov_b64 s[4:5], 0
.LBB103_938:
	s_andn2_b64 vcc, exec, s[4:5]
	s_cbranch_vccnz .LBB103_940
; %bb.939:
	v_cvt_i16_f16_e32 v1, s14
	global_store_short v[2:3], v1, off
.LBB103_940:
	s_mov_b64 s[4:5], 0
.LBB103_941:
	s_andn2_b64 vcc, exec, s[4:5]
	s_cbranch_vccnz .LBB103_946
; %bb.942:
	v_mov_b32_e32 v1, 0
	v_cmp_gt_i16_sdwa s[8:9], s15, v1 src0_sel:BYTE_0 src1_sel:DWORD
	s_mov_b64 s[4:5], -1
	s_and_b64 vcc, exec, s[8:9]
	s_cbranch_vccz .LBB103_944
; %bb.943:
	v_cvt_i16_f16_e32 v1, s14
	global_store_byte v[2:3], v1, off
	s_mov_b64 s[4:5], 0
.LBB103_944:
	s_andn2_b64 vcc, exec, s[4:5]
	s_cbranch_vccnz .LBB103_946
; %bb.945:
	v_cvt_f32_f16_e32 v1, s14
	v_cvt_i32_f32_e32 v1, v1
	global_store_byte v[2:3], v1, off
.LBB103_946:
	s_branch .LBB103_782
.LBB103_947:
	s_mov_b64 s[2:3], 0
	s_mov_b64 s[4:5], 0
                                        ; implicit-def: $vgpr2
                                        ; implicit-def: $vgpr0_vgpr1
.LBB103_948:
	s_and_b64 s[30:31], s[4:5], exec
	s_andn2_b64 s[4:5], s[6:7], exec
	s_and_b64 s[0:1], s[0:1], exec
	s_and_b64 s[2:3], s[2:3], exec
	s_or_b64 s[6:7], s[4:5], s[0:1]
.LBB103_949:
	s_or_b64 exec, exec, s[24:25]
	s_and_saveexec_b64 s[0:1], s[6:7]
	s_cbranch_execz .LBB103_952
; %bb.950:
	; divergent unreachable
	s_or_b64 exec, exec, s[0:1]
	s_and_saveexec_b64 s[0:1], s[30:31]
	s_xor_b64 s[0:1], exec, s[0:1]
	s_cbranch_execnz .LBB103_953
.LBB103_951:
	s_or_b64 exec, exec, s[0:1]
	s_and_saveexec_b64 s[0:1], s[2:3]
	s_cbranch_execnz .LBB103_954
	s_branch .LBB103_991
.LBB103_952:
	s_or_b64 exec, exec, s[0:1]
	s_and_saveexec_b64 s[0:1], s[30:31]
	s_xor_b64 s[0:1], exec, s[0:1]
	s_cbranch_execz .LBB103_951
.LBB103_953:
	v_mov_b32_e32 v3, 0x7fff
	v_and_b32_e32 v3, s14, v3
	v_cmp_ne_u16_e32 vcc, 0, v3
	v_cndmask_b32_e64 v3, 0, 1, vcc
	global_store_byte v[0:1], v3, off
	s_or_b64 exec, exec, s[0:1]
	s_and_saveexec_b64 s[0:1], s[2:3]
	s_cbranch_execz .LBB103_991
.LBB103_954:
	v_cmp_gt_i16_e32 vcc, 5, v2
	s_mov_b64 s[0:1], -1
	s_cbranch_vccnz .LBB103_975
; %bb.955:
	v_cmp_gt_i16_e32 vcc, 8, v2
	s_cbranch_vccnz .LBB103_965
; %bb.956:
	v_cmp_gt_i16_e32 vcc, 9, v2
	s_cbranch_vccnz .LBB103_962
; %bb.957:
	v_cmp_lt_i16_e32 vcc, 9, v2
	s_cbranch_vccz .LBB103_959
; %bb.958:
	v_cvt_f32_f16_e32 v3, s14
	v_mov_b32_e32 v6, 0
	v_mov_b32_e32 v7, v6
	s_mov_b64 s[0:1], 0
	v_cvt_f64_f32_e32 v[4:5], v3
	global_store_dwordx4 v[0:1], v[4:7], off
.LBB103_959:
	s_andn2_b64 vcc, exec, s[0:1]
	s_cbranch_vccnz .LBB103_961
; %bb.960:
	v_cvt_f32_f16_e32 v4, s14
	v_mov_b32_e32 v5, 0
	global_store_dwordx2 v[0:1], v[4:5], off
.LBB103_961:
	s_mov_b64 s[0:1], 0
.LBB103_962:
	s_andn2_b64 vcc, exec, s[0:1]
	s_cbranch_vccnz .LBB103_964
; %bb.963:
	s_and_b32 s0, 0xffff, s14
	v_mov_b32_e32 v3, s0
	global_store_dword v[0:1], v3, off
.LBB103_964:
	s_mov_b64 s[0:1], 0
.LBB103_965:
	s_andn2_b64 vcc, exec, s[0:1]
	s_cbranch_vccnz .LBB103_974
; %bb.966:
	v_cmp_gt_i16_e32 vcc, 6, v2
	s_mov_b64 s[0:1], -1
	s_cbranch_vccnz .LBB103_972
; %bb.967:
	v_cmp_lt_i16_e32 vcc, 6, v2
	s_cbranch_vccz .LBB103_969
; %bb.968:
	v_cvt_f32_f16_e32 v3, s14
	s_mov_b64 s[0:1], 0
	v_cvt_f64_f32_e32 v[4:5], v3
	global_store_dwordx2 v[0:1], v[4:5], off
.LBB103_969:
	s_andn2_b64 vcc, exec, s[0:1]
	s_cbranch_vccnz .LBB103_971
; %bb.970:
	v_cvt_f32_f16_e32 v3, s14
	global_store_dword v[0:1], v3, off
.LBB103_971:
	s_mov_b64 s[0:1], 0
.LBB103_972:
	s_andn2_b64 vcc, exec, s[0:1]
	s_cbranch_vccnz .LBB103_974
; %bb.973:
	v_mov_b32_e32 v3, s14
	global_store_short v[0:1], v3, off
.LBB103_974:
	s_mov_b64 s[0:1], 0
.LBB103_975:
	s_andn2_b64 vcc, exec, s[0:1]
	s_cbranch_vccnz .LBB103_991
; %bb.976:
	v_cmp_gt_i16_e32 vcc, 2, v2
	s_mov_b64 s[0:1], -1
	s_cbranch_vccnz .LBB103_986
; %bb.977:
	v_cmp_gt_i16_e32 vcc, 3, v2
	s_cbranch_vccnz .LBB103_983
; %bb.978:
	v_cmp_lt_i16_e32 vcc, 3, v2
	s_cbranch_vccz .LBB103_980
; %bb.979:
	v_cvt_f32_f16_e32 v3, s14
	s_mov_b64 s[0:1], 0
	v_cvt_i32_f32_e32 v4, v3
	v_ashrrev_i32_e32 v5, 31, v4
	global_store_dwordx2 v[0:1], v[4:5], off
.LBB103_980:
	s_andn2_b64 vcc, exec, s[0:1]
	s_cbranch_vccnz .LBB103_982
; %bb.981:
	v_cvt_f32_f16_e32 v3, s14
	v_cvt_i32_f32_e32 v3, v3
	global_store_dword v[0:1], v3, off
.LBB103_982:
	s_mov_b64 s[0:1], 0
.LBB103_983:
	s_andn2_b64 vcc, exec, s[0:1]
	s_cbranch_vccnz .LBB103_985
; %bb.984:
	v_cvt_i16_f16_e32 v3, s14
	global_store_short v[0:1], v3, off
.LBB103_985:
	s_mov_b64 s[0:1], 0
.LBB103_986:
	s_andn2_b64 vcc, exec, s[0:1]
	s_cbranch_vccnz .LBB103_991
; %bb.987:
	v_cmp_lt_i16_e32 vcc, 0, v2
	s_mov_b64 s[0:1], -1
	s_cbranch_vccz .LBB103_989
; %bb.988:
	v_cvt_i16_f16_e32 v2, s14
	global_store_byte v[0:1], v2, off
	s_mov_b64 s[0:1], 0
.LBB103_989:
	s_andn2_b64 vcc, exec, s[0:1]
	s_cbranch_vccnz .LBB103_991
; %bb.990:
	v_cvt_f32_f16_e32 v2, s14
	v_cvt_i32_f32_e32 v2, v2
	global_store_byte v[0:1], v2, off
	s_endpgm
.LBB103_991:
	s_endpgm
.LBB103_992:
	s_trap 2
	s_or_b64 s[0:1], s[0:1], exec
	s_cbranch_execz .LBB103_907
	s_branch .LBB103_908
.LBB103_993:
	s_mov_b64 s[8:9], -1
	s_mov_b64 s[4:5], 0
                                        ; implicit-def: $sgpr11
.LBB103_994:
	s_andn2_b64 vcc, exec, s[8:9]
	v_mov_b32_e32 v3, s11
                                        ; implicit-def: $sgpr8
	s_cbranch_vccnz .LBB103_996
; %bb.995:
	v_mov_b32_e32 v3, 0x42800000
	v_add_f32_e64 v3, |s10|, v3
	v_and_b32_e32 v3, 0xff, v3
	s_mov_b32 s8, 0
	v_cmp_ne_u32_e64 s[4:5], 0, v3
.LBB103_996:
	s_andn2_b64 vcc, exec, s[4:5]
	v_mov_b32_e32 v4, s8
	s_cbranch_vccnz .LBB103_998
; %bb.997:
	s_lshr_b32 s4, s10, 24
	s_and_b32 s4, s4, 0x80
	v_or_b32_e32 v4, s4, v3
.LBB103_998:
	s_mov_b64 s[4:5], 0
	global_store_byte v[0:1], v4, off
.LBB103_999:
	s_and_b64 vcc, exec, s[4:5]
	s_cbranch_vccz .LBB103_1011
; %bb.1000:
	v_cvt_f32_f16_e32 v3, s14
	v_readfirstlane_b32 s8, v3
	s_and_b32 s9, s8, 0x7fffffff
	s_cmp_lt_u32 s9, 0x43f00000
	s_cbranch_scc0 .LBB103_1003
; %bb.1001:
	s_cmp_gt_u32 s9, 0x3c7fffff
	s_cbranch_scc0 .LBB103_1004
; %bb.1002:
	s_bfe_u32 s4, s8, 0x10014
	s_add_i32 s4, s8, s4
	s_add_i32 s4, s4, 0x407ffff
	s_lshr_b32 s5, s4, 20
	s_and_b32 s4, s4, 0xff00000
	s_cmp_lg_u32 s4, 0x7f00000
	s_cselect_b32 s10, s5, 0x7e
	s_mov_b64 s[4:5], 0
	s_branch .LBB103_1005
.LBB103_1003:
	s_mov_b64 s[4:5], -1
                                        ; implicit-def: $vgpr4
	s_branch .LBB103_1008
.LBB103_1004:
	s_mov_b64 s[4:5], -1
                                        ; implicit-def: $sgpr10
.LBB103_1005:
	s_andn2_b64 vcc, exec, s[4:5]
	v_mov_b32_e32 v4, s10
	s_cbranch_vccnz .LBB103_1007
; %bb.1006:
	s_mov_b32 s4, 0x46800000
	v_add_f32_e64 v4, |v3|, s4
.LBB103_1007:
	s_mov_b64 s[4:5], 0
.LBB103_1008:
	s_andn2_b64 vcc, exec, s[4:5]
	s_cbranch_vccnz .LBB103_1010
; %bb.1009:
	s_cmp_gt_u32 s9, 0x7f800000
	s_movk_i32 s4, 0x7f
	s_cselect_b32 s4, s4, 0x7e
	v_mov_b32_e32 v4, s4
.LBB103_1010:
	s_lshr_b32 s4, s8, 24
	s_and_b32 s4, s4, 0x80
	v_or_b32_e32 v3, s4, v4
	global_store_byte v[0:1], v3, off
.LBB103_1011:
	s_mov_b64 s[4:5], 0
.LBB103_1012:
	s_andn2_b64 vcc, exec, s[4:5]
	s_cbranch_vccnz .LBB103_1024
; %bb.1013:
	v_cvt_f32_f16_e32 v3, s14
	v_readfirstlane_b32 s8, v3
	s_and_b32 s9, s8, 0x7fffffff
	s_cmp_lt_u32 s9, 0x47800000
	s_cbranch_scc0 .LBB103_1016
; %bb.1014:
	s_cmp_gt_u32 s9, 0x387fffff
	s_cbranch_scc0 .LBB103_1017
; %bb.1015:
	s_bfe_u32 s4, s8, 0x10015
	s_add_i32 s4, s8, s4
	s_add_i32 s4, s4, 0x80fffff
	s_lshr_b32 s10, s4, 21
	s_mov_b64 s[4:5], 0
	s_branch .LBB103_1018
.LBB103_1016:
	s_mov_b64 s[4:5], -1
                                        ; implicit-def: $vgpr4
	s_branch .LBB103_1021
.LBB103_1017:
	s_mov_b64 s[4:5], -1
                                        ; implicit-def: $sgpr10
.LBB103_1018:
	s_andn2_b64 vcc, exec, s[4:5]
	v_mov_b32_e32 v4, s10
	s_cbranch_vccnz .LBB103_1020
; %bb.1019:
	s_mov_b32 s4, 0x43000000
	v_add_f32_e64 v4, |v3|, s4
.LBB103_1020:
	s_mov_b64 s[4:5], 0
.LBB103_1021:
	s_andn2_b64 vcc, exec, s[4:5]
	s_cbranch_vccnz .LBB103_1023
; %bb.1022:
	s_cmp_gt_u32 s9, 0x7f800000
	s_movk_i32 s4, 0x7f
	s_cselect_b32 s4, s4, 0x7c
	v_mov_b32_e32 v4, s4
.LBB103_1023:
	s_lshr_b32 s4, s8, 24
	s_and_b32 s4, s4, 0x80
	v_or_b32_e32 v3, s4, v4
	global_store_byte v[0:1], v3, off
.LBB103_1024:
	s_mov_b64 s[4:5], 0
.LBB103_1025:
	s_andn2_b64 vcc, exec, s[4:5]
	s_mov_b64 s[4:5], 0
	s_cbranch_vccnz .LBB103_1032
; %bb.1026:
	v_cmp_lt_i16_e32 vcc, 14, v2
	s_mov_b64 s[8:9], -1
	s_cbranch_vccz .LBB103_1030
; %bb.1027:
	v_cmp_eq_u16_e32 vcc, 15, v2
	s_mov_b64 s[2:3], -1
	s_cbranch_vccz .LBB103_1029
; %bb.1028:
	v_cvt_f32_f16_e32 v3, s14
	v_mov_b32_e32 v4, 0x7fc0
	v_cmp_o_f16_e64 vcc, s14, s14
	s_mov_b64 s[2:3], 0
	v_bfe_u32 v5, v3, 16, 1
	v_add_u32_e32 v3, v3, v5
	v_add_u32_e32 v3, 0x7fff, v3
	v_lshrrev_b32_e32 v3, 16, v3
	v_cndmask_b32_e32 v3, v4, v3, vcc
	global_store_short v[0:1], v3, off
.LBB103_1029:
	s_mov_b64 s[8:9], 0
.LBB103_1030:
	s_and_b64 vcc, exec, s[8:9]
	s_cbranch_vccz .LBB103_1032
; %bb.1031:
	v_cmp_ne_u16_e64 s[2:3], 11, v2
	s_mov_b64 s[4:5], -1
.LBB103_1032:
	s_and_b64 vcc, exec, s[2:3]
	s_cbranch_vccnz .LBB103_1034
.LBB103_1033:
	s_mov_b64 s[2:3], 0
	s_branch .LBB103_948
.LBB103_1034:
	s_mov_b64 s[4:5], 0
	s_or_b64 s[0:1], s[0:1], exec
	s_trap 2
	s_branch .LBB103_1033
	.section	.rodata,"a",@progbits
	.p2align	6, 0x0
	.amdhsa_kernel _ZN2at6native32elementwise_kernel_manual_unrollILi128ELi4EZNS0_15gpu_kernel_implINS0_11FillFunctorIN3c104HalfEEEEEvRNS_18TensorIteratorBaseERKT_EUlibE0_EEviT1_
		.amdhsa_group_segment_fixed_size 0
		.amdhsa_private_segment_fixed_size 0
		.amdhsa_kernarg_size 288
		.amdhsa_user_sgpr_count 6
		.amdhsa_user_sgpr_private_segment_buffer 1
		.amdhsa_user_sgpr_dispatch_ptr 0
		.amdhsa_user_sgpr_queue_ptr 0
		.amdhsa_user_sgpr_kernarg_segment_ptr 1
		.amdhsa_user_sgpr_dispatch_id 0
		.amdhsa_user_sgpr_flat_scratch_init 0
		.amdhsa_user_sgpr_kernarg_preload_length 0
		.amdhsa_user_sgpr_kernarg_preload_offset 0
		.amdhsa_user_sgpr_private_segment_size 0
		.amdhsa_uses_dynamic_stack 0
		.amdhsa_system_sgpr_private_segment_wavefront_offset 0
		.amdhsa_system_sgpr_workgroup_id_x 1
		.amdhsa_system_sgpr_workgroup_id_y 0
		.amdhsa_system_sgpr_workgroup_id_z 0
		.amdhsa_system_sgpr_workgroup_info 0
		.amdhsa_system_vgpr_workitem_id 0
		.amdhsa_next_free_vgpr 22
		.amdhsa_next_free_sgpr 96
		.amdhsa_accum_offset 24
		.amdhsa_reserve_vcc 1
		.amdhsa_reserve_flat_scratch 0
		.amdhsa_float_round_mode_32 0
		.amdhsa_float_round_mode_16_64 0
		.amdhsa_float_denorm_mode_32 3
		.amdhsa_float_denorm_mode_16_64 3
		.amdhsa_dx10_clamp 1
		.amdhsa_ieee_mode 1
		.amdhsa_fp16_overflow 0
		.amdhsa_tg_split 0
		.amdhsa_exception_fp_ieee_invalid_op 0
		.amdhsa_exception_fp_denorm_src 0
		.amdhsa_exception_fp_ieee_div_zero 0
		.amdhsa_exception_fp_ieee_overflow 0
		.amdhsa_exception_fp_ieee_underflow 0
		.amdhsa_exception_fp_ieee_inexact 0
		.amdhsa_exception_int_div_zero 0
	.end_amdhsa_kernel
	.section	.text._ZN2at6native32elementwise_kernel_manual_unrollILi128ELi4EZNS0_15gpu_kernel_implINS0_11FillFunctorIN3c104HalfEEEEEvRNS_18TensorIteratorBaseERKT_EUlibE0_EEviT1_,"axG",@progbits,_ZN2at6native32elementwise_kernel_manual_unrollILi128ELi4EZNS0_15gpu_kernel_implINS0_11FillFunctorIN3c104HalfEEEEEvRNS_18TensorIteratorBaseERKT_EUlibE0_EEviT1_,comdat
.Lfunc_end103:
	.size	_ZN2at6native32elementwise_kernel_manual_unrollILi128ELi4EZNS0_15gpu_kernel_implINS0_11FillFunctorIN3c104HalfEEEEEvRNS_18TensorIteratorBaseERKT_EUlibE0_EEviT1_, .Lfunc_end103-_ZN2at6native32elementwise_kernel_manual_unrollILi128ELi4EZNS0_15gpu_kernel_implINS0_11FillFunctorIN3c104HalfEEEEEvRNS_18TensorIteratorBaseERKT_EUlibE0_EEviT1_
                                        ; -- End function
	.section	.AMDGPU.csdata,"",@progbits
; Kernel info:
; codeLenInByte = 18816
; NumSgprs: 100
; NumVgprs: 22
; NumAgprs: 0
; TotalNumVgprs: 22
; ScratchSize: 0
; MemoryBound: 0
; FloatMode: 240
; IeeeMode: 1
; LDSByteSize: 0 bytes/workgroup (compile time only)
; SGPRBlocks: 12
; VGPRBlocks: 2
; NumSGPRsForWavesPerEU: 100
; NumVGPRsForWavesPerEU: 22
; AccumOffset: 24
; Occupancy: 8
; WaveLimiterHint : 1
; COMPUTE_PGM_RSRC2:SCRATCH_EN: 0
; COMPUTE_PGM_RSRC2:USER_SGPR: 6
; COMPUTE_PGM_RSRC2:TRAP_HANDLER: 0
; COMPUTE_PGM_RSRC2:TGID_X_EN: 1
; COMPUTE_PGM_RSRC2:TGID_Y_EN: 0
; COMPUTE_PGM_RSRC2:TGID_Z_EN: 0
; COMPUTE_PGM_RSRC2:TIDIG_COMP_CNT: 0
; COMPUTE_PGM_RSRC3_GFX90A:ACCUM_OFFSET: 5
; COMPUTE_PGM_RSRC3_GFX90A:TG_SPLIT: 0
	.section	.text._ZN2at6native29vectorized_elementwise_kernelILi16ENS0_11FillFunctorIN3c108BFloat16EEESt5arrayIPcLm1EEEEviT0_T1_,"axG",@progbits,_ZN2at6native29vectorized_elementwise_kernelILi16ENS0_11FillFunctorIN3c108BFloat16EEESt5arrayIPcLm1EEEEviT0_T1_,comdat
	.protected	_ZN2at6native29vectorized_elementwise_kernelILi16ENS0_11FillFunctorIN3c108BFloat16EEESt5arrayIPcLm1EEEEviT0_T1_ ; -- Begin function _ZN2at6native29vectorized_elementwise_kernelILi16ENS0_11FillFunctorIN3c108BFloat16EEESt5arrayIPcLm1EEEEviT0_T1_
	.globl	_ZN2at6native29vectorized_elementwise_kernelILi16ENS0_11FillFunctorIN3c108BFloat16EEESt5arrayIPcLm1EEEEviT0_T1_
	.p2align	8
	.type	_ZN2at6native29vectorized_elementwise_kernelILi16ENS0_11FillFunctorIN3c108BFloat16EEESt5arrayIPcLm1EEEEviT0_T1_,@function
_ZN2at6native29vectorized_elementwise_kernelILi16ENS0_11FillFunctorIN3c108BFloat16EEESt5arrayIPcLm1EEEEviT0_T1_: ; @_ZN2at6native29vectorized_elementwise_kernelILi16ENS0_11FillFunctorIN3c108BFloat16EEESt5arrayIPcLm1EEEEviT0_T1_
; %bb.0:
	s_load_dwordx4 s[0:3], s[4:5], 0x0
	s_lshl_b32 s4, s6, 11
	s_waitcnt lgkmcnt(0)
	s_sub_i32 s0, s0, s4
	s_cmpk_gt_i32 s0, 0x7ff
	s_cbranch_scc0 .LBB104_4
; %bb.1:
	s_ashr_i32 s5, s4, 31
	s_lshl_b64 s[6:7], s[4:5], 1
	s_add_u32 s6, s2, s6
	s_addc_u32 s7, s3, s7
	v_lshlrev_b32_e32 v1, 4, v0
	v_mov_b32_e32 v2, s7
	v_add_co_u32_e32 v5, vcc, s6, v1
	v_addc_co_u32_e32 v6, vcc, 0, v2, vcc
	s_pack_ll_b32_b16 s5, s1, s1
	v_mov_b32_e32 v2, s1
	global_store_short v1, v2, s[6:7] offset:12
	v_mov_b32_e32 v2, s5
	v_mov_b32_e32 v3, s5
	;; [unrolled: 1-line block ×3, first 2 shown]
	global_store_dwordx3 v1, v[2:4], s[6:7]
	s_nop 0
	v_add_co_u32_e32 v2, vcc, 14, v5
	v_addc_co_u32_e32 v3, vcc, 0, v6, vcc
	s_mov_b64 s[6:7], -1
	s_cbranch_execz .LBB104_5
; %bb.2:
	s_and_saveexec_b64 s[2:3], s[6:7]
	s_cbranch_execz .LBB104_16
.LBB104_3:
	v_mov_b32_e32 v0, s1
	global_store_short v[2:3], v0, off
	s_endpgm
.LBB104_4:
	s_mov_b64 s[6:7], 0
                                        ; implicit-def: $vgpr2_vgpr3
.LBB104_5:
	v_cmp_gt_i32_e32 vcc, s0, v0
	s_and_saveexec_b64 s[8:9], vcc
	s_cbranch_execz .LBB104_17
; %bb.6:
	v_or_b32_e32 v2, 0x100, v0
	v_or_b32_e32 v0, s4, v0
	v_mov_b32_e32 v1, 0
	v_lshlrev_b64 v[0:1], 1, v[0:1]
	v_mov_b32_e32 v3, s3
	v_add_co_u32_e32 v0, vcc, s2, v0
	v_addc_co_u32_e32 v1, vcc, v3, v1, vcc
	v_mov_b32_e32 v3, s1
	global_store_short v[0:1], v3, off
	v_mov_b32_e32 v0, v2
	s_or_b64 exec, exec, s[8:9]
	v_cmp_gt_i32_e32 vcc, s0, v0
	s_and_saveexec_b64 s[8:9], vcc
	s_cbranch_execnz .LBB104_18
.LBB104_7:
	s_or_b64 exec, exec, s[8:9]
	v_cmp_gt_i32_e32 vcc, s0, v0
	s_and_saveexec_b64 s[8:9], vcc
	s_cbranch_execz .LBB104_19
.LBB104_8:
	v_add_u32_e32 v2, s4, v0
	v_mov_b32_e32 v3, 0
	v_lshlrev_b64 v[2:3], 1, v[2:3]
	v_mov_b32_e32 v1, s3
	v_add_co_u32_e32 v2, vcc, s2, v2
	v_addc_co_u32_e32 v3, vcc, v1, v3, vcc
	v_add_u32_e32 v0, 0x100, v0
	v_mov_b32_e32 v1, s1
	global_store_short v[2:3], v1, off
	s_or_b64 exec, exec, s[8:9]
	v_cmp_gt_i32_e32 vcc, s0, v0
	s_and_saveexec_b64 s[8:9], vcc
	s_cbranch_execnz .LBB104_20
.LBB104_9:
	s_or_b64 exec, exec, s[8:9]
	v_cmp_gt_i32_e32 vcc, s0, v0
	s_and_saveexec_b64 s[8:9], vcc
	s_cbranch_execz .LBB104_21
.LBB104_10:
	v_add_u32_e32 v2, s4, v0
	v_mov_b32_e32 v3, 0
	v_lshlrev_b64 v[2:3], 1, v[2:3]
	v_mov_b32_e32 v1, s3
	v_add_co_u32_e32 v2, vcc, s2, v2
	v_addc_co_u32_e32 v3, vcc, v1, v3, vcc
	v_add_u32_e32 v0, 0x100, v0
	v_mov_b32_e32 v1, s1
	global_store_short v[2:3], v1, off
	s_or_b64 exec, exec, s[8:9]
	v_cmp_gt_i32_e32 vcc, s0, v0
	s_and_saveexec_b64 s[8:9], vcc
	s_cbranch_execnz .LBB104_22
.LBB104_11:
	s_or_b64 exec, exec, s[8:9]
	v_cmp_gt_i32_e32 vcc, s0, v0
	s_and_saveexec_b64 s[8:9], vcc
	s_cbranch_execz .LBB104_13
.LBB104_12:
	v_add_u32_e32 v2, s4, v0
	v_mov_b32_e32 v3, 0
	v_lshlrev_b64 v[2:3], 1, v[2:3]
	v_mov_b32_e32 v1, s3
	v_add_co_u32_e32 v2, vcc, s2, v2
	v_addc_co_u32_e32 v3, vcc, v1, v3, vcc
	v_add_u32_e32 v0, 0x100, v0
	v_mov_b32_e32 v1, s1
	global_store_short v[2:3], v1, off
.LBB104_13:
	s_or_b64 exec, exec, s[8:9]
	v_cmp_gt_i32_e32 vcc, s0, v0
                                        ; implicit-def: $vgpr2_vgpr3
	s_and_saveexec_b64 s[8:9], vcc
; %bb.14:
	v_add_u32_e32 v0, s4, v0
	v_mov_b32_e32 v1, 0
	v_lshlrev_b64 v[0:1], 1, v[0:1]
	v_mov_b32_e32 v3, s3
	v_add_co_u32_e32 v2, vcc, s2, v0
	v_addc_co_u32_e32 v3, vcc, v3, v1, vcc
	s_or_b64 s[6:7], s[6:7], exec
; %bb.15:
	s_or_b64 exec, exec, s[8:9]
	s_and_saveexec_b64 s[2:3], s[6:7]
	s_cbranch_execnz .LBB104_3
.LBB104_16:
	s_endpgm
.LBB104_17:
	s_or_b64 exec, exec, s[8:9]
	v_cmp_gt_i32_e32 vcc, s0, v0
	s_and_saveexec_b64 s[8:9], vcc
	s_cbranch_execz .LBB104_7
.LBB104_18:
	v_add_u32_e32 v2, s4, v0
	v_mov_b32_e32 v3, 0
	v_lshlrev_b64 v[2:3], 1, v[2:3]
	v_mov_b32_e32 v1, s3
	v_add_co_u32_e32 v2, vcc, s2, v2
	v_addc_co_u32_e32 v3, vcc, v1, v3, vcc
	v_add_u32_e32 v0, 0x100, v0
	v_mov_b32_e32 v1, s1
	global_store_short v[2:3], v1, off
	s_or_b64 exec, exec, s[8:9]
	v_cmp_gt_i32_e32 vcc, s0, v0
	s_and_saveexec_b64 s[8:9], vcc
	s_cbranch_execnz .LBB104_8
.LBB104_19:
	s_or_b64 exec, exec, s[8:9]
	v_cmp_gt_i32_e32 vcc, s0, v0
	s_and_saveexec_b64 s[8:9], vcc
	s_cbranch_execz .LBB104_9
.LBB104_20:
	v_add_u32_e32 v2, s4, v0
	v_mov_b32_e32 v3, 0
	v_lshlrev_b64 v[2:3], 1, v[2:3]
	v_mov_b32_e32 v1, s3
	v_add_co_u32_e32 v2, vcc, s2, v2
	v_addc_co_u32_e32 v3, vcc, v1, v3, vcc
	v_add_u32_e32 v0, 0x100, v0
	v_mov_b32_e32 v1, s1
	global_store_short v[2:3], v1, off
	s_or_b64 exec, exec, s[8:9]
	v_cmp_gt_i32_e32 vcc, s0, v0
	s_and_saveexec_b64 s[8:9], vcc
	s_cbranch_execnz .LBB104_10
.LBB104_21:
	s_or_b64 exec, exec, s[8:9]
	v_cmp_gt_i32_e32 vcc, s0, v0
	s_and_saveexec_b64 s[8:9], vcc
	s_cbranch_execz .LBB104_11
.LBB104_22:
	v_add_u32_e32 v2, s4, v0
	v_mov_b32_e32 v3, 0
	v_lshlrev_b64 v[2:3], 1, v[2:3]
	v_mov_b32_e32 v1, s3
	v_add_co_u32_e32 v2, vcc, s2, v2
	v_addc_co_u32_e32 v3, vcc, v1, v3, vcc
	v_add_u32_e32 v0, 0x100, v0
	v_mov_b32_e32 v1, s1
	global_store_short v[2:3], v1, off
	s_or_b64 exec, exec, s[8:9]
	v_cmp_gt_i32_e32 vcc, s0, v0
	s_and_saveexec_b64 s[8:9], vcc
	s_cbranch_execz .LBB104_13
	s_branch .LBB104_12
	.section	.rodata,"a",@progbits
	.p2align	6, 0x0
	.amdhsa_kernel _ZN2at6native29vectorized_elementwise_kernelILi16ENS0_11FillFunctorIN3c108BFloat16EEESt5arrayIPcLm1EEEEviT0_T1_
		.amdhsa_group_segment_fixed_size 0
		.amdhsa_private_segment_fixed_size 0
		.amdhsa_kernarg_size 16
		.amdhsa_user_sgpr_count 6
		.amdhsa_user_sgpr_private_segment_buffer 1
		.amdhsa_user_sgpr_dispatch_ptr 0
		.amdhsa_user_sgpr_queue_ptr 0
		.amdhsa_user_sgpr_kernarg_segment_ptr 1
		.amdhsa_user_sgpr_dispatch_id 0
		.amdhsa_user_sgpr_flat_scratch_init 0
		.amdhsa_user_sgpr_kernarg_preload_length 0
		.amdhsa_user_sgpr_kernarg_preload_offset 0
		.amdhsa_user_sgpr_private_segment_size 0
		.amdhsa_uses_dynamic_stack 0
		.amdhsa_system_sgpr_private_segment_wavefront_offset 0
		.amdhsa_system_sgpr_workgroup_id_x 1
		.amdhsa_system_sgpr_workgroup_id_y 0
		.amdhsa_system_sgpr_workgroup_id_z 0
		.amdhsa_system_sgpr_workgroup_info 0
		.amdhsa_system_vgpr_workitem_id 0
		.amdhsa_next_free_vgpr 7
		.amdhsa_next_free_sgpr 10
		.amdhsa_accum_offset 8
		.amdhsa_reserve_vcc 1
		.amdhsa_reserve_flat_scratch 0
		.amdhsa_float_round_mode_32 0
		.amdhsa_float_round_mode_16_64 0
		.amdhsa_float_denorm_mode_32 3
		.amdhsa_float_denorm_mode_16_64 3
		.amdhsa_dx10_clamp 1
		.amdhsa_ieee_mode 1
		.amdhsa_fp16_overflow 0
		.amdhsa_tg_split 0
		.amdhsa_exception_fp_ieee_invalid_op 0
		.amdhsa_exception_fp_denorm_src 0
		.amdhsa_exception_fp_ieee_div_zero 0
		.amdhsa_exception_fp_ieee_overflow 0
		.amdhsa_exception_fp_ieee_underflow 0
		.amdhsa_exception_fp_ieee_inexact 0
		.amdhsa_exception_int_div_zero 0
	.end_amdhsa_kernel
	.section	.text._ZN2at6native29vectorized_elementwise_kernelILi16ENS0_11FillFunctorIN3c108BFloat16EEESt5arrayIPcLm1EEEEviT0_T1_,"axG",@progbits,_ZN2at6native29vectorized_elementwise_kernelILi16ENS0_11FillFunctorIN3c108BFloat16EEESt5arrayIPcLm1EEEEviT0_T1_,comdat
.Lfunc_end104:
	.size	_ZN2at6native29vectorized_elementwise_kernelILi16ENS0_11FillFunctorIN3c108BFloat16EEESt5arrayIPcLm1EEEEviT0_T1_, .Lfunc_end104-_ZN2at6native29vectorized_elementwise_kernelILi16ENS0_11FillFunctorIN3c108BFloat16EEESt5arrayIPcLm1EEEEviT0_T1_
                                        ; -- End function
	.section	.AMDGPU.csdata,"",@progbits
; Kernel info:
; codeLenInByte = 752
; NumSgprs: 14
; NumVgprs: 7
; NumAgprs: 0
; TotalNumVgprs: 7
; ScratchSize: 0
; MemoryBound: 0
; FloatMode: 240
; IeeeMode: 1
; LDSByteSize: 0 bytes/workgroup (compile time only)
; SGPRBlocks: 1
; VGPRBlocks: 0
; NumSGPRsForWavesPerEU: 14
; NumVGPRsForWavesPerEU: 7
; AccumOffset: 8
; Occupancy: 8
; WaveLimiterHint : 0
; COMPUTE_PGM_RSRC2:SCRATCH_EN: 0
; COMPUTE_PGM_RSRC2:USER_SGPR: 6
; COMPUTE_PGM_RSRC2:TRAP_HANDLER: 0
; COMPUTE_PGM_RSRC2:TGID_X_EN: 1
; COMPUTE_PGM_RSRC2:TGID_Y_EN: 0
; COMPUTE_PGM_RSRC2:TGID_Z_EN: 0
; COMPUTE_PGM_RSRC2:TIDIG_COMP_CNT: 0
; COMPUTE_PGM_RSRC3_GFX90A:ACCUM_OFFSET: 1
; COMPUTE_PGM_RSRC3_GFX90A:TG_SPLIT: 0
	.section	.text._ZN2at6native29vectorized_elementwise_kernelILi8ENS0_11FillFunctorIN3c108BFloat16EEESt5arrayIPcLm1EEEEviT0_T1_,"axG",@progbits,_ZN2at6native29vectorized_elementwise_kernelILi8ENS0_11FillFunctorIN3c108BFloat16EEESt5arrayIPcLm1EEEEviT0_T1_,comdat
	.protected	_ZN2at6native29vectorized_elementwise_kernelILi8ENS0_11FillFunctorIN3c108BFloat16EEESt5arrayIPcLm1EEEEviT0_T1_ ; -- Begin function _ZN2at6native29vectorized_elementwise_kernelILi8ENS0_11FillFunctorIN3c108BFloat16EEESt5arrayIPcLm1EEEEviT0_T1_
	.globl	_ZN2at6native29vectorized_elementwise_kernelILi8ENS0_11FillFunctorIN3c108BFloat16EEESt5arrayIPcLm1EEEEviT0_T1_
	.p2align	8
	.type	_ZN2at6native29vectorized_elementwise_kernelILi8ENS0_11FillFunctorIN3c108BFloat16EEESt5arrayIPcLm1EEEEviT0_T1_,@function
_ZN2at6native29vectorized_elementwise_kernelILi8ENS0_11FillFunctorIN3c108BFloat16EEESt5arrayIPcLm1EEEEviT0_T1_: ; @_ZN2at6native29vectorized_elementwise_kernelILi8ENS0_11FillFunctorIN3c108BFloat16EEESt5arrayIPcLm1EEEEviT0_T1_
; %bb.0:
	s_load_dwordx4 s[0:3], s[4:5], 0x0
	s_lshl_b32 s4, s6, 11
	s_waitcnt lgkmcnt(0)
	s_sub_i32 s0, s0, s4
	s_cmpk_gt_i32 s0, 0x7ff
	s_cbranch_scc0 .LBB105_4
; %bb.1:
	s_ashr_i32 s5, s4, 31
	s_lshl_b64 s[6:7], s[4:5], 1
	s_add_u32 s6, s2, s6
	s_addc_u32 s7, s3, s7
	v_lshlrev_b32_e32 v1, 4, v0
	v_mov_b32_e32 v2, s7
	v_add_co_u32_e32 v5, vcc, s6, v1
	v_addc_co_u32_e32 v6, vcc, 0, v2, vcc
	s_pack_ll_b32_b16 s5, s1, s1
	v_mov_b32_e32 v2, s1
	global_store_short v1, v2, s[6:7] offset:12
	v_mov_b32_e32 v2, s5
	v_mov_b32_e32 v3, s5
	;; [unrolled: 1-line block ×3, first 2 shown]
	global_store_dwordx3 v1, v[2:4], s[6:7]
	s_nop 0
	v_add_co_u32_e32 v2, vcc, 14, v5
	v_addc_co_u32_e32 v3, vcc, 0, v6, vcc
	s_mov_b64 s[6:7], -1
	s_cbranch_execz .LBB105_5
; %bb.2:
	s_and_saveexec_b64 s[2:3], s[6:7]
	s_cbranch_execz .LBB105_16
.LBB105_3:
	v_mov_b32_e32 v0, s1
	global_store_short v[2:3], v0, off
	s_endpgm
.LBB105_4:
	s_mov_b64 s[6:7], 0
                                        ; implicit-def: $vgpr2_vgpr3
.LBB105_5:
	v_cmp_gt_i32_e32 vcc, s0, v0
	s_and_saveexec_b64 s[8:9], vcc
	s_cbranch_execz .LBB105_17
; %bb.6:
	v_or_b32_e32 v2, 0x100, v0
	v_or_b32_e32 v0, s4, v0
	v_mov_b32_e32 v1, 0
	v_lshlrev_b64 v[0:1], 1, v[0:1]
	v_mov_b32_e32 v3, s3
	v_add_co_u32_e32 v0, vcc, s2, v0
	v_addc_co_u32_e32 v1, vcc, v3, v1, vcc
	v_mov_b32_e32 v3, s1
	global_store_short v[0:1], v3, off
	v_mov_b32_e32 v0, v2
	s_or_b64 exec, exec, s[8:9]
	v_cmp_gt_i32_e32 vcc, s0, v0
	s_and_saveexec_b64 s[8:9], vcc
	s_cbranch_execnz .LBB105_18
.LBB105_7:
	s_or_b64 exec, exec, s[8:9]
	v_cmp_gt_i32_e32 vcc, s0, v0
	s_and_saveexec_b64 s[8:9], vcc
	s_cbranch_execz .LBB105_19
.LBB105_8:
	v_add_u32_e32 v2, s4, v0
	v_mov_b32_e32 v3, 0
	v_lshlrev_b64 v[2:3], 1, v[2:3]
	v_mov_b32_e32 v1, s3
	v_add_co_u32_e32 v2, vcc, s2, v2
	v_addc_co_u32_e32 v3, vcc, v1, v3, vcc
	v_add_u32_e32 v0, 0x100, v0
	v_mov_b32_e32 v1, s1
	global_store_short v[2:3], v1, off
	s_or_b64 exec, exec, s[8:9]
	v_cmp_gt_i32_e32 vcc, s0, v0
	s_and_saveexec_b64 s[8:9], vcc
	s_cbranch_execnz .LBB105_20
.LBB105_9:
	s_or_b64 exec, exec, s[8:9]
	v_cmp_gt_i32_e32 vcc, s0, v0
	s_and_saveexec_b64 s[8:9], vcc
	s_cbranch_execz .LBB105_21
.LBB105_10:
	v_add_u32_e32 v2, s4, v0
	v_mov_b32_e32 v3, 0
	v_lshlrev_b64 v[2:3], 1, v[2:3]
	v_mov_b32_e32 v1, s3
	v_add_co_u32_e32 v2, vcc, s2, v2
	v_addc_co_u32_e32 v3, vcc, v1, v3, vcc
	v_add_u32_e32 v0, 0x100, v0
	v_mov_b32_e32 v1, s1
	global_store_short v[2:3], v1, off
	s_or_b64 exec, exec, s[8:9]
	v_cmp_gt_i32_e32 vcc, s0, v0
	s_and_saveexec_b64 s[8:9], vcc
	s_cbranch_execnz .LBB105_22
.LBB105_11:
	s_or_b64 exec, exec, s[8:9]
	v_cmp_gt_i32_e32 vcc, s0, v0
	s_and_saveexec_b64 s[8:9], vcc
	s_cbranch_execz .LBB105_13
.LBB105_12:
	v_add_u32_e32 v2, s4, v0
	v_mov_b32_e32 v3, 0
	v_lshlrev_b64 v[2:3], 1, v[2:3]
	v_mov_b32_e32 v1, s3
	v_add_co_u32_e32 v2, vcc, s2, v2
	v_addc_co_u32_e32 v3, vcc, v1, v3, vcc
	v_add_u32_e32 v0, 0x100, v0
	v_mov_b32_e32 v1, s1
	global_store_short v[2:3], v1, off
.LBB105_13:
	s_or_b64 exec, exec, s[8:9]
	v_cmp_gt_i32_e32 vcc, s0, v0
                                        ; implicit-def: $vgpr2_vgpr3
	s_and_saveexec_b64 s[8:9], vcc
; %bb.14:
	v_add_u32_e32 v0, s4, v0
	v_mov_b32_e32 v1, 0
	v_lshlrev_b64 v[0:1], 1, v[0:1]
	v_mov_b32_e32 v3, s3
	v_add_co_u32_e32 v2, vcc, s2, v0
	v_addc_co_u32_e32 v3, vcc, v3, v1, vcc
	s_or_b64 s[6:7], s[6:7], exec
; %bb.15:
	s_or_b64 exec, exec, s[8:9]
	s_and_saveexec_b64 s[2:3], s[6:7]
	s_cbranch_execnz .LBB105_3
.LBB105_16:
	s_endpgm
.LBB105_17:
	s_or_b64 exec, exec, s[8:9]
	v_cmp_gt_i32_e32 vcc, s0, v0
	s_and_saveexec_b64 s[8:9], vcc
	s_cbranch_execz .LBB105_7
.LBB105_18:
	v_add_u32_e32 v2, s4, v0
	v_mov_b32_e32 v3, 0
	v_lshlrev_b64 v[2:3], 1, v[2:3]
	v_mov_b32_e32 v1, s3
	v_add_co_u32_e32 v2, vcc, s2, v2
	v_addc_co_u32_e32 v3, vcc, v1, v3, vcc
	v_add_u32_e32 v0, 0x100, v0
	v_mov_b32_e32 v1, s1
	global_store_short v[2:3], v1, off
	s_or_b64 exec, exec, s[8:9]
	v_cmp_gt_i32_e32 vcc, s0, v0
	s_and_saveexec_b64 s[8:9], vcc
	s_cbranch_execnz .LBB105_8
.LBB105_19:
	s_or_b64 exec, exec, s[8:9]
	v_cmp_gt_i32_e32 vcc, s0, v0
	s_and_saveexec_b64 s[8:9], vcc
	s_cbranch_execz .LBB105_9
.LBB105_20:
	v_add_u32_e32 v2, s4, v0
	v_mov_b32_e32 v3, 0
	v_lshlrev_b64 v[2:3], 1, v[2:3]
	v_mov_b32_e32 v1, s3
	v_add_co_u32_e32 v2, vcc, s2, v2
	v_addc_co_u32_e32 v3, vcc, v1, v3, vcc
	v_add_u32_e32 v0, 0x100, v0
	v_mov_b32_e32 v1, s1
	global_store_short v[2:3], v1, off
	s_or_b64 exec, exec, s[8:9]
	v_cmp_gt_i32_e32 vcc, s0, v0
	s_and_saveexec_b64 s[8:9], vcc
	s_cbranch_execnz .LBB105_10
.LBB105_21:
	s_or_b64 exec, exec, s[8:9]
	v_cmp_gt_i32_e32 vcc, s0, v0
	s_and_saveexec_b64 s[8:9], vcc
	s_cbranch_execz .LBB105_11
.LBB105_22:
	v_add_u32_e32 v2, s4, v0
	v_mov_b32_e32 v3, 0
	v_lshlrev_b64 v[2:3], 1, v[2:3]
	v_mov_b32_e32 v1, s3
	v_add_co_u32_e32 v2, vcc, s2, v2
	v_addc_co_u32_e32 v3, vcc, v1, v3, vcc
	v_add_u32_e32 v0, 0x100, v0
	v_mov_b32_e32 v1, s1
	global_store_short v[2:3], v1, off
	s_or_b64 exec, exec, s[8:9]
	v_cmp_gt_i32_e32 vcc, s0, v0
	s_and_saveexec_b64 s[8:9], vcc
	s_cbranch_execz .LBB105_13
	s_branch .LBB105_12
	.section	.rodata,"a",@progbits
	.p2align	6, 0x0
	.amdhsa_kernel _ZN2at6native29vectorized_elementwise_kernelILi8ENS0_11FillFunctorIN3c108BFloat16EEESt5arrayIPcLm1EEEEviT0_T1_
		.amdhsa_group_segment_fixed_size 0
		.amdhsa_private_segment_fixed_size 0
		.amdhsa_kernarg_size 16
		.amdhsa_user_sgpr_count 6
		.amdhsa_user_sgpr_private_segment_buffer 1
		.amdhsa_user_sgpr_dispatch_ptr 0
		.amdhsa_user_sgpr_queue_ptr 0
		.amdhsa_user_sgpr_kernarg_segment_ptr 1
		.amdhsa_user_sgpr_dispatch_id 0
		.amdhsa_user_sgpr_flat_scratch_init 0
		.amdhsa_user_sgpr_kernarg_preload_length 0
		.amdhsa_user_sgpr_kernarg_preload_offset 0
		.amdhsa_user_sgpr_private_segment_size 0
		.amdhsa_uses_dynamic_stack 0
		.amdhsa_system_sgpr_private_segment_wavefront_offset 0
		.amdhsa_system_sgpr_workgroup_id_x 1
		.amdhsa_system_sgpr_workgroup_id_y 0
		.amdhsa_system_sgpr_workgroup_id_z 0
		.amdhsa_system_sgpr_workgroup_info 0
		.amdhsa_system_vgpr_workitem_id 0
		.amdhsa_next_free_vgpr 7
		.amdhsa_next_free_sgpr 10
		.amdhsa_accum_offset 8
		.amdhsa_reserve_vcc 1
		.amdhsa_reserve_flat_scratch 0
		.amdhsa_float_round_mode_32 0
		.amdhsa_float_round_mode_16_64 0
		.amdhsa_float_denorm_mode_32 3
		.amdhsa_float_denorm_mode_16_64 3
		.amdhsa_dx10_clamp 1
		.amdhsa_ieee_mode 1
		.amdhsa_fp16_overflow 0
		.amdhsa_tg_split 0
		.amdhsa_exception_fp_ieee_invalid_op 0
		.amdhsa_exception_fp_denorm_src 0
		.amdhsa_exception_fp_ieee_div_zero 0
		.amdhsa_exception_fp_ieee_overflow 0
		.amdhsa_exception_fp_ieee_underflow 0
		.amdhsa_exception_fp_ieee_inexact 0
		.amdhsa_exception_int_div_zero 0
	.end_amdhsa_kernel
	.section	.text._ZN2at6native29vectorized_elementwise_kernelILi8ENS0_11FillFunctorIN3c108BFloat16EEESt5arrayIPcLm1EEEEviT0_T1_,"axG",@progbits,_ZN2at6native29vectorized_elementwise_kernelILi8ENS0_11FillFunctorIN3c108BFloat16EEESt5arrayIPcLm1EEEEviT0_T1_,comdat
.Lfunc_end105:
	.size	_ZN2at6native29vectorized_elementwise_kernelILi8ENS0_11FillFunctorIN3c108BFloat16EEESt5arrayIPcLm1EEEEviT0_T1_, .Lfunc_end105-_ZN2at6native29vectorized_elementwise_kernelILi8ENS0_11FillFunctorIN3c108BFloat16EEESt5arrayIPcLm1EEEEviT0_T1_
                                        ; -- End function
	.section	.AMDGPU.csdata,"",@progbits
; Kernel info:
; codeLenInByte = 752
; NumSgprs: 14
; NumVgprs: 7
; NumAgprs: 0
; TotalNumVgprs: 7
; ScratchSize: 0
; MemoryBound: 0
; FloatMode: 240
; IeeeMode: 1
; LDSByteSize: 0 bytes/workgroup (compile time only)
; SGPRBlocks: 1
; VGPRBlocks: 0
; NumSGPRsForWavesPerEU: 14
; NumVGPRsForWavesPerEU: 7
; AccumOffset: 8
; Occupancy: 8
; WaveLimiterHint : 0
; COMPUTE_PGM_RSRC2:SCRATCH_EN: 0
; COMPUTE_PGM_RSRC2:USER_SGPR: 6
; COMPUTE_PGM_RSRC2:TRAP_HANDLER: 0
; COMPUTE_PGM_RSRC2:TGID_X_EN: 1
; COMPUTE_PGM_RSRC2:TGID_Y_EN: 0
; COMPUTE_PGM_RSRC2:TGID_Z_EN: 0
; COMPUTE_PGM_RSRC2:TIDIG_COMP_CNT: 0
; COMPUTE_PGM_RSRC3_GFX90A:ACCUM_OFFSET: 1
; COMPUTE_PGM_RSRC3_GFX90A:TG_SPLIT: 0
	.section	.text._ZN2at6native29vectorized_elementwise_kernelILi4ENS0_11FillFunctorIN3c108BFloat16EEESt5arrayIPcLm1EEEEviT0_T1_,"axG",@progbits,_ZN2at6native29vectorized_elementwise_kernelILi4ENS0_11FillFunctorIN3c108BFloat16EEESt5arrayIPcLm1EEEEviT0_T1_,comdat
	.protected	_ZN2at6native29vectorized_elementwise_kernelILi4ENS0_11FillFunctorIN3c108BFloat16EEESt5arrayIPcLm1EEEEviT0_T1_ ; -- Begin function _ZN2at6native29vectorized_elementwise_kernelILi4ENS0_11FillFunctorIN3c108BFloat16EEESt5arrayIPcLm1EEEEviT0_T1_
	.globl	_ZN2at6native29vectorized_elementwise_kernelILi4ENS0_11FillFunctorIN3c108BFloat16EEESt5arrayIPcLm1EEEEviT0_T1_
	.p2align	8
	.type	_ZN2at6native29vectorized_elementwise_kernelILi4ENS0_11FillFunctorIN3c108BFloat16EEESt5arrayIPcLm1EEEEviT0_T1_,@function
_ZN2at6native29vectorized_elementwise_kernelILi4ENS0_11FillFunctorIN3c108BFloat16EEESt5arrayIPcLm1EEEEviT0_T1_: ; @_ZN2at6native29vectorized_elementwise_kernelILi4ENS0_11FillFunctorIN3c108BFloat16EEESt5arrayIPcLm1EEEEviT0_T1_
; %bb.0:
	s_load_dwordx4 s[0:3], s[4:5], 0x0
	s_lshl_b32 s4, s6, 11
	s_mov_b64 s[6:7], -1
	s_waitcnt lgkmcnt(0)
	s_sub_i32 s0, s0, s4
	s_cmpk_gt_i32 s0, 0x7ff
	s_cbranch_scc0 .LBB106_2
; %bb.1:
	s_ashr_i32 s5, s4, 31
	s_lshl_b64 s[6:7], s[4:5], 1
	s_add_u32 s6, s2, s6
	s_addc_u32 s7, s3, s7
	s_and_b32 s5, 0xffff, s1
	s_mul_i32 s8, s5, 0x10001
	s_mov_b32 s9, s8
	v_lshlrev_b32_e32 v1, 3, v0
	v_pk_mov_b32 v[2:3], s[8:9], s[8:9] op_sel:[0,1]
	global_store_dwordx2 v1, v[2:3], s[6:7]
	global_store_dwordx2 v1, v[2:3], s[6:7] offset:2048
	s_mov_b64 s[6:7], 0
.LBB106_2:
	s_andn2_b64 vcc, exec, s[6:7]
	s_cbranch_vccnz .LBB106_12
; %bb.3:
	v_cmp_gt_i32_e32 vcc, s0, v0
	s_and_saveexec_b64 s[6:7], vcc
	s_cbranch_execnz .LBB106_13
; %bb.4:
	s_or_b64 exec, exec, s[6:7]
	v_cmp_gt_i32_e32 vcc, s0, v0
	s_and_saveexec_b64 s[6:7], vcc
	s_cbranch_execnz .LBB106_14
.LBB106_5:
	s_or_b64 exec, exec, s[6:7]
	v_cmp_gt_i32_e32 vcc, s0, v0
	s_and_saveexec_b64 s[6:7], vcc
	s_cbranch_execnz .LBB106_15
.LBB106_6:
	s_or_b64 exec, exec, s[6:7]
	v_cmp_gt_i32_e32 vcc, s0, v0
	s_and_saveexec_b64 s[6:7], vcc
	s_cbranch_execnz .LBB106_16
.LBB106_7:
	s_or_b64 exec, exec, s[6:7]
	v_cmp_gt_i32_e32 vcc, s0, v0
	s_and_saveexec_b64 s[6:7], vcc
	s_cbranch_execnz .LBB106_17
.LBB106_8:
	s_or_b64 exec, exec, s[6:7]
	v_cmp_gt_i32_e32 vcc, s0, v0
	s_and_saveexec_b64 s[6:7], vcc
	s_cbranch_execnz .LBB106_18
.LBB106_9:
	s_or_b64 exec, exec, s[6:7]
	v_cmp_gt_i32_e32 vcc, s0, v0
	s_and_saveexec_b64 s[6:7], vcc
	s_cbranch_execnz .LBB106_19
.LBB106_10:
	s_or_b64 exec, exec, s[6:7]
	v_cmp_gt_i32_e32 vcc, s0, v0
	s_and_saveexec_b64 s[6:7], vcc
	s_cbranch_execz .LBB106_12
.LBB106_11:
	v_add_u32_e32 v0, s4, v0
	v_mov_b32_e32 v1, 0
	v_lshlrev_b64 v[0:1], 1, v[0:1]
	v_mov_b32_e32 v2, s3
	v_add_co_u32_e32 v0, vcc, s2, v0
	v_addc_co_u32_e32 v1, vcc, v2, v1, vcc
	v_mov_b32_e32 v2, s1
	global_store_short v[0:1], v2, off
.LBB106_12:
	s_endpgm
.LBB106_13:
	v_or_b32_e32 v2, 0x100, v0
	v_or_b32_e32 v0, s4, v0
	v_mov_b32_e32 v1, 0
	v_lshlrev_b64 v[0:1], 1, v[0:1]
	v_mov_b32_e32 v3, s3
	v_add_co_u32_e32 v0, vcc, s2, v0
	v_addc_co_u32_e32 v1, vcc, v3, v1, vcc
	v_mov_b32_e32 v3, s1
	global_store_short v[0:1], v3, off
	v_mov_b32_e32 v0, v2
	s_or_b64 exec, exec, s[6:7]
	v_cmp_gt_i32_e32 vcc, s0, v0
	s_and_saveexec_b64 s[6:7], vcc
	s_cbranch_execz .LBB106_5
.LBB106_14:
	v_add_u32_e32 v2, s4, v0
	v_mov_b32_e32 v3, 0
	v_lshlrev_b64 v[2:3], 1, v[2:3]
	v_mov_b32_e32 v1, s3
	v_add_co_u32_e32 v2, vcc, s2, v2
	v_addc_co_u32_e32 v3, vcc, v1, v3, vcc
	v_add_u32_e32 v0, 0x100, v0
	v_mov_b32_e32 v1, s1
	global_store_short v[2:3], v1, off
	s_or_b64 exec, exec, s[6:7]
	v_cmp_gt_i32_e32 vcc, s0, v0
	s_and_saveexec_b64 s[6:7], vcc
	s_cbranch_execz .LBB106_6
.LBB106_15:
	v_add_u32_e32 v2, s4, v0
	v_mov_b32_e32 v3, 0
	v_lshlrev_b64 v[2:3], 1, v[2:3]
	v_mov_b32_e32 v1, s3
	v_add_co_u32_e32 v2, vcc, s2, v2
	v_addc_co_u32_e32 v3, vcc, v1, v3, vcc
	v_add_u32_e32 v0, 0x100, v0
	v_mov_b32_e32 v1, s1
	global_store_short v[2:3], v1, off
	s_or_b64 exec, exec, s[6:7]
	v_cmp_gt_i32_e32 vcc, s0, v0
	s_and_saveexec_b64 s[6:7], vcc
	s_cbranch_execz .LBB106_7
.LBB106_16:
	v_add_u32_e32 v2, s4, v0
	v_mov_b32_e32 v3, 0
	v_lshlrev_b64 v[2:3], 1, v[2:3]
	v_mov_b32_e32 v1, s3
	v_add_co_u32_e32 v2, vcc, s2, v2
	v_addc_co_u32_e32 v3, vcc, v1, v3, vcc
	v_add_u32_e32 v0, 0x100, v0
	v_mov_b32_e32 v1, s1
	global_store_short v[2:3], v1, off
	s_or_b64 exec, exec, s[6:7]
	v_cmp_gt_i32_e32 vcc, s0, v0
	s_and_saveexec_b64 s[6:7], vcc
	s_cbranch_execz .LBB106_8
.LBB106_17:
	v_add_u32_e32 v2, s4, v0
	v_mov_b32_e32 v3, 0
	v_lshlrev_b64 v[2:3], 1, v[2:3]
	v_mov_b32_e32 v1, s3
	v_add_co_u32_e32 v2, vcc, s2, v2
	v_addc_co_u32_e32 v3, vcc, v1, v3, vcc
	v_add_u32_e32 v0, 0x100, v0
	v_mov_b32_e32 v1, s1
	global_store_short v[2:3], v1, off
	s_or_b64 exec, exec, s[6:7]
	v_cmp_gt_i32_e32 vcc, s0, v0
	s_and_saveexec_b64 s[6:7], vcc
	s_cbranch_execz .LBB106_9
.LBB106_18:
	v_add_u32_e32 v2, s4, v0
	v_mov_b32_e32 v3, 0
	v_lshlrev_b64 v[2:3], 1, v[2:3]
	v_mov_b32_e32 v1, s3
	v_add_co_u32_e32 v2, vcc, s2, v2
	v_addc_co_u32_e32 v3, vcc, v1, v3, vcc
	v_add_u32_e32 v0, 0x100, v0
	v_mov_b32_e32 v1, s1
	global_store_short v[2:3], v1, off
	s_or_b64 exec, exec, s[6:7]
	v_cmp_gt_i32_e32 vcc, s0, v0
	s_and_saveexec_b64 s[6:7], vcc
	s_cbranch_execz .LBB106_10
.LBB106_19:
	v_add_u32_e32 v2, s4, v0
	v_mov_b32_e32 v3, 0
	v_lshlrev_b64 v[2:3], 1, v[2:3]
	v_mov_b32_e32 v1, s3
	v_add_co_u32_e32 v2, vcc, s2, v2
	v_addc_co_u32_e32 v3, vcc, v1, v3, vcc
	v_add_u32_e32 v0, 0x100, v0
	v_mov_b32_e32 v1, s1
	global_store_short v[2:3], v1, off
	s_or_b64 exec, exec, s[6:7]
	v_cmp_gt_i32_e32 vcc, s0, v0
	s_and_saveexec_b64 s[6:7], vcc
	s_cbranch_execnz .LBB106_11
	s_branch .LBB106_12
	.section	.rodata,"a",@progbits
	.p2align	6, 0x0
	.amdhsa_kernel _ZN2at6native29vectorized_elementwise_kernelILi4ENS0_11FillFunctorIN3c108BFloat16EEESt5arrayIPcLm1EEEEviT0_T1_
		.amdhsa_group_segment_fixed_size 0
		.amdhsa_private_segment_fixed_size 0
		.amdhsa_kernarg_size 16
		.amdhsa_user_sgpr_count 6
		.amdhsa_user_sgpr_private_segment_buffer 1
		.amdhsa_user_sgpr_dispatch_ptr 0
		.amdhsa_user_sgpr_queue_ptr 0
		.amdhsa_user_sgpr_kernarg_segment_ptr 1
		.amdhsa_user_sgpr_dispatch_id 0
		.amdhsa_user_sgpr_flat_scratch_init 0
		.amdhsa_user_sgpr_kernarg_preload_length 0
		.amdhsa_user_sgpr_kernarg_preload_offset 0
		.amdhsa_user_sgpr_private_segment_size 0
		.amdhsa_uses_dynamic_stack 0
		.amdhsa_system_sgpr_private_segment_wavefront_offset 0
		.amdhsa_system_sgpr_workgroup_id_x 1
		.amdhsa_system_sgpr_workgroup_id_y 0
		.amdhsa_system_sgpr_workgroup_id_z 0
		.amdhsa_system_sgpr_workgroup_info 0
		.amdhsa_system_vgpr_workitem_id 0
		.amdhsa_next_free_vgpr 4
		.amdhsa_next_free_sgpr 10
		.amdhsa_accum_offset 4
		.amdhsa_reserve_vcc 1
		.amdhsa_reserve_flat_scratch 0
		.amdhsa_float_round_mode_32 0
		.amdhsa_float_round_mode_16_64 0
		.amdhsa_float_denorm_mode_32 3
		.amdhsa_float_denorm_mode_16_64 3
		.amdhsa_dx10_clamp 1
		.amdhsa_ieee_mode 1
		.amdhsa_fp16_overflow 0
		.amdhsa_tg_split 0
		.amdhsa_exception_fp_ieee_invalid_op 0
		.amdhsa_exception_fp_denorm_src 0
		.amdhsa_exception_fp_ieee_div_zero 0
		.amdhsa_exception_fp_ieee_overflow 0
		.amdhsa_exception_fp_ieee_underflow 0
		.amdhsa_exception_fp_ieee_inexact 0
		.amdhsa_exception_int_div_zero 0
	.end_amdhsa_kernel
	.section	.text._ZN2at6native29vectorized_elementwise_kernelILi4ENS0_11FillFunctorIN3c108BFloat16EEESt5arrayIPcLm1EEEEviT0_T1_,"axG",@progbits,_ZN2at6native29vectorized_elementwise_kernelILi4ENS0_11FillFunctorIN3c108BFloat16EEESt5arrayIPcLm1EEEEviT0_T1_,comdat
.Lfunc_end106:
	.size	_ZN2at6native29vectorized_elementwise_kernelILi4ENS0_11FillFunctorIN3c108BFloat16EEESt5arrayIPcLm1EEEEviT0_T1_, .Lfunc_end106-_ZN2at6native29vectorized_elementwise_kernelILi4ENS0_11FillFunctorIN3c108BFloat16EEESt5arrayIPcLm1EEEEviT0_T1_
                                        ; -- End function
	.section	.AMDGPU.csdata,"",@progbits
; Kernel info:
; codeLenInByte = 732
; NumSgprs: 14
; NumVgprs: 4
; NumAgprs: 0
; TotalNumVgprs: 4
; ScratchSize: 0
; MemoryBound: 0
; FloatMode: 240
; IeeeMode: 1
; LDSByteSize: 0 bytes/workgroup (compile time only)
; SGPRBlocks: 1
; VGPRBlocks: 0
; NumSGPRsForWavesPerEU: 14
; NumVGPRsForWavesPerEU: 4
; AccumOffset: 4
; Occupancy: 8
; WaveLimiterHint : 1
; COMPUTE_PGM_RSRC2:SCRATCH_EN: 0
; COMPUTE_PGM_RSRC2:USER_SGPR: 6
; COMPUTE_PGM_RSRC2:TRAP_HANDLER: 0
; COMPUTE_PGM_RSRC2:TGID_X_EN: 1
; COMPUTE_PGM_RSRC2:TGID_Y_EN: 0
; COMPUTE_PGM_RSRC2:TGID_Z_EN: 0
; COMPUTE_PGM_RSRC2:TIDIG_COMP_CNT: 0
; COMPUTE_PGM_RSRC3_GFX90A:ACCUM_OFFSET: 0
; COMPUTE_PGM_RSRC3_GFX90A:TG_SPLIT: 0
	.section	.text._ZN2at6native29vectorized_elementwise_kernelILi2ENS0_11FillFunctorIN3c108BFloat16EEESt5arrayIPcLm1EEEEviT0_T1_,"axG",@progbits,_ZN2at6native29vectorized_elementwise_kernelILi2ENS0_11FillFunctorIN3c108BFloat16EEESt5arrayIPcLm1EEEEviT0_T1_,comdat
	.protected	_ZN2at6native29vectorized_elementwise_kernelILi2ENS0_11FillFunctorIN3c108BFloat16EEESt5arrayIPcLm1EEEEviT0_T1_ ; -- Begin function _ZN2at6native29vectorized_elementwise_kernelILi2ENS0_11FillFunctorIN3c108BFloat16EEESt5arrayIPcLm1EEEEviT0_T1_
	.globl	_ZN2at6native29vectorized_elementwise_kernelILi2ENS0_11FillFunctorIN3c108BFloat16EEESt5arrayIPcLm1EEEEviT0_T1_
	.p2align	8
	.type	_ZN2at6native29vectorized_elementwise_kernelILi2ENS0_11FillFunctorIN3c108BFloat16EEESt5arrayIPcLm1EEEEviT0_T1_,@function
_ZN2at6native29vectorized_elementwise_kernelILi2ENS0_11FillFunctorIN3c108BFloat16EEESt5arrayIPcLm1EEEEviT0_T1_: ; @_ZN2at6native29vectorized_elementwise_kernelILi2ENS0_11FillFunctorIN3c108BFloat16EEESt5arrayIPcLm1EEEEviT0_T1_
; %bb.0:
	s_load_dwordx4 s[0:3], s[4:5], 0x0
	s_lshl_b32 s4, s6, 11
	s_mov_b64 s[6:7], -1
	s_waitcnt lgkmcnt(0)
	s_sub_i32 s0, s0, s4
	s_cmpk_gt_i32 s0, 0x7ff
	s_cbranch_scc0 .LBB107_2
; %bb.1:
	s_ashr_i32 s5, s4, 31
	s_lshl_b64 s[6:7], s[4:5], 1
	s_add_u32 s6, s2, s6
	s_addc_u32 s7, s3, s7
	s_and_b32 s5, 0xffff, s1
	s_mul_i32 s5, s5, 0x10001
	v_lshlrev_b32_e32 v1, 2, v0
	v_mov_b32_e32 v2, s5
	global_store_dword v1, v2, s[6:7]
	global_store_dword v1, v2, s[6:7] offset:1024
	global_store_dword v1, v2, s[6:7] offset:2048
	;; [unrolled: 1-line block ×3, first 2 shown]
	s_mov_b64 s[6:7], 0
.LBB107_2:
	s_andn2_b64 vcc, exec, s[6:7]
	s_cbranch_vccnz .LBB107_12
; %bb.3:
	v_cmp_gt_i32_e32 vcc, s0, v0
	s_and_saveexec_b64 s[6:7], vcc
	s_cbranch_execnz .LBB107_13
; %bb.4:
	s_or_b64 exec, exec, s[6:7]
	v_cmp_gt_i32_e32 vcc, s0, v0
	s_and_saveexec_b64 s[6:7], vcc
	s_cbranch_execnz .LBB107_14
.LBB107_5:
	s_or_b64 exec, exec, s[6:7]
	v_cmp_gt_i32_e32 vcc, s0, v0
	s_and_saveexec_b64 s[6:7], vcc
	s_cbranch_execnz .LBB107_15
.LBB107_6:
	s_or_b64 exec, exec, s[6:7]
	v_cmp_gt_i32_e32 vcc, s0, v0
	s_and_saveexec_b64 s[6:7], vcc
	s_cbranch_execnz .LBB107_16
.LBB107_7:
	s_or_b64 exec, exec, s[6:7]
	v_cmp_gt_i32_e32 vcc, s0, v0
	s_and_saveexec_b64 s[6:7], vcc
	s_cbranch_execnz .LBB107_17
.LBB107_8:
	s_or_b64 exec, exec, s[6:7]
	v_cmp_gt_i32_e32 vcc, s0, v0
	s_and_saveexec_b64 s[6:7], vcc
	s_cbranch_execnz .LBB107_18
.LBB107_9:
	s_or_b64 exec, exec, s[6:7]
	v_cmp_gt_i32_e32 vcc, s0, v0
	s_and_saveexec_b64 s[6:7], vcc
	s_cbranch_execnz .LBB107_19
.LBB107_10:
	s_or_b64 exec, exec, s[6:7]
	v_cmp_gt_i32_e32 vcc, s0, v0
	s_and_saveexec_b64 s[6:7], vcc
	s_cbranch_execz .LBB107_12
.LBB107_11:
	v_add_u32_e32 v0, s4, v0
	v_mov_b32_e32 v1, 0
	v_lshlrev_b64 v[0:1], 1, v[0:1]
	v_mov_b32_e32 v2, s3
	v_add_co_u32_e32 v0, vcc, s2, v0
	v_addc_co_u32_e32 v1, vcc, v2, v1, vcc
	v_mov_b32_e32 v2, s1
	global_store_short v[0:1], v2, off
.LBB107_12:
	s_endpgm
.LBB107_13:
	v_or_b32_e32 v2, 0x100, v0
	v_or_b32_e32 v0, s4, v0
	v_mov_b32_e32 v1, 0
	v_lshlrev_b64 v[0:1], 1, v[0:1]
	v_mov_b32_e32 v3, s3
	v_add_co_u32_e32 v0, vcc, s2, v0
	v_addc_co_u32_e32 v1, vcc, v3, v1, vcc
	v_mov_b32_e32 v3, s1
	global_store_short v[0:1], v3, off
	v_mov_b32_e32 v0, v2
	s_or_b64 exec, exec, s[6:7]
	v_cmp_gt_i32_e32 vcc, s0, v0
	s_and_saveexec_b64 s[6:7], vcc
	s_cbranch_execz .LBB107_5
.LBB107_14:
	v_add_u32_e32 v2, s4, v0
	v_mov_b32_e32 v3, 0
	v_lshlrev_b64 v[2:3], 1, v[2:3]
	v_mov_b32_e32 v1, s3
	v_add_co_u32_e32 v2, vcc, s2, v2
	v_addc_co_u32_e32 v3, vcc, v1, v3, vcc
	v_add_u32_e32 v0, 0x100, v0
	v_mov_b32_e32 v1, s1
	global_store_short v[2:3], v1, off
	s_or_b64 exec, exec, s[6:7]
	v_cmp_gt_i32_e32 vcc, s0, v0
	s_and_saveexec_b64 s[6:7], vcc
	s_cbranch_execz .LBB107_6
.LBB107_15:
	v_add_u32_e32 v2, s4, v0
	v_mov_b32_e32 v3, 0
	v_lshlrev_b64 v[2:3], 1, v[2:3]
	v_mov_b32_e32 v1, s3
	v_add_co_u32_e32 v2, vcc, s2, v2
	v_addc_co_u32_e32 v3, vcc, v1, v3, vcc
	v_add_u32_e32 v0, 0x100, v0
	v_mov_b32_e32 v1, s1
	global_store_short v[2:3], v1, off
	s_or_b64 exec, exec, s[6:7]
	v_cmp_gt_i32_e32 vcc, s0, v0
	s_and_saveexec_b64 s[6:7], vcc
	s_cbranch_execz .LBB107_7
.LBB107_16:
	v_add_u32_e32 v2, s4, v0
	v_mov_b32_e32 v3, 0
	v_lshlrev_b64 v[2:3], 1, v[2:3]
	v_mov_b32_e32 v1, s3
	v_add_co_u32_e32 v2, vcc, s2, v2
	v_addc_co_u32_e32 v3, vcc, v1, v3, vcc
	v_add_u32_e32 v0, 0x100, v0
	v_mov_b32_e32 v1, s1
	global_store_short v[2:3], v1, off
	s_or_b64 exec, exec, s[6:7]
	v_cmp_gt_i32_e32 vcc, s0, v0
	s_and_saveexec_b64 s[6:7], vcc
	s_cbranch_execz .LBB107_8
.LBB107_17:
	v_add_u32_e32 v2, s4, v0
	v_mov_b32_e32 v3, 0
	v_lshlrev_b64 v[2:3], 1, v[2:3]
	v_mov_b32_e32 v1, s3
	v_add_co_u32_e32 v2, vcc, s2, v2
	v_addc_co_u32_e32 v3, vcc, v1, v3, vcc
	v_add_u32_e32 v0, 0x100, v0
	v_mov_b32_e32 v1, s1
	global_store_short v[2:3], v1, off
	s_or_b64 exec, exec, s[6:7]
	v_cmp_gt_i32_e32 vcc, s0, v0
	s_and_saveexec_b64 s[6:7], vcc
	s_cbranch_execz .LBB107_9
.LBB107_18:
	v_add_u32_e32 v2, s4, v0
	v_mov_b32_e32 v3, 0
	v_lshlrev_b64 v[2:3], 1, v[2:3]
	v_mov_b32_e32 v1, s3
	v_add_co_u32_e32 v2, vcc, s2, v2
	v_addc_co_u32_e32 v3, vcc, v1, v3, vcc
	v_add_u32_e32 v0, 0x100, v0
	v_mov_b32_e32 v1, s1
	global_store_short v[2:3], v1, off
	s_or_b64 exec, exec, s[6:7]
	v_cmp_gt_i32_e32 vcc, s0, v0
	s_and_saveexec_b64 s[6:7], vcc
	s_cbranch_execz .LBB107_10
.LBB107_19:
	v_add_u32_e32 v2, s4, v0
	v_mov_b32_e32 v3, 0
	v_lshlrev_b64 v[2:3], 1, v[2:3]
	v_mov_b32_e32 v1, s3
	v_add_co_u32_e32 v2, vcc, s2, v2
	v_addc_co_u32_e32 v3, vcc, v1, v3, vcc
	v_add_u32_e32 v0, 0x100, v0
	v_mov_b32_e32 v1, s1
	global_store_short v[2:3], v1, off
	s_or_b64 exec, exec, s[6:7]
	v_cmp_gt_i32_e32 vcc, s0, v0
	s_and_saveexec_b64 s[6:7], vcc
	s_cbranch_execnz .LBB107_11
	s_branch .LBB107_12
	.section	.rodata,"a",@progbits
	.p2align	6, 0x0
	.amdhsa_kernel _ZN2at6native29vectorized_elementwise_kernelILi2ENS0_11FillFunctorIN3c108BFloat16EEESt5arrayIPcLm1EEEEviT0_T1_
		.amdhsa_group_segment_fixed_size 0
		.amdhsa_private_segment_fixed_size 0
		.amdhsa_kernarg_size 16
		.amdhsa_user_sgpr_count 6
		.amdhsa_user_sgpr_private_segment_buffer 1
		.amdhsa_user_sgpr_dispatch_ptr 0
		.amdhsa_user_sgpr_queue_ptr 0
		.amdhsa_user_sgpr_kernarg_segment_ptr 1
		.amdhsa_user_sgpr_dispatch_id 0
		.amdhsa_user_sgpr_flat_scratch_init 0
		.amdhsa_user_sgpr_kernarg_preload_length 0
		.amdhsa_user_sgpr_kernarg_preload_offset 0
		.amdhsa_user_sgpr_private_segment_size 0
		.amdhsa_uses_dynamic_stack 0
		.amdhsa_system_sgpr_private_segment_wavefront_offset 0
		.amdhsa_system_sgpr_workgroup_id_x 1
		.amdhsa_system_sgpr_workgroup_id_y 0
		.amdhsa_system_sgpr_workgroup_id_z 0
		.amdhsa_system_sgpr_workgroup_info 0
		.amdhsa_system_vgpr_workitem_id 0
		.amdhsa_next_free_vgpr 4
		.amdhsa_next_free_sgpr 8
		.amdhsa_accum_offset 4
		.amdhsa_reserve_vcc 1
		.amdhsa_reserve_flat_scratch 0
		.amdhsa_float_round_mode_32 0
		.amdhsa_float_round_mode_16_64 0
		.amdhsa_float_denorm_mode_32 3
		.amdhsa_float_denorm_mode_16_64 3
		.amdhsa_dx10_clamp 1
		.amdhsa_ieee_mode 1
		.amdhsa_fp16_overflow 0
		.amdhsa_tg_split 0
		.amdhsa_exception_fp_ieee_invalid_op 0
		.amdhsa_exception_fp_denorm_src 0
		.amdhsa_exception_fp_ieee_div_zero 0
		.amdhsa_exception_fp_ieee_overflow 0
		.amdhsa_exception_fp_ieee_underflow 0
		.amdhsa_exception_fp_ieee_inexact 0
		.amdhsa_exception_int_div_zero 0
	.end_amdhsa_kernel
	.section	.text._ZN2at6native29vectorized_elementwise_kernelILi2ENS0_11FillFunctorIN3c108BFloat16EEESt5arrayIPcLm1EEEEviT0_T1_,"axG",@progbits,_ZN2at6native29vectorized_elementwise_kernelILi2ENS0_11FillFunctorIN3c108BFloat16EEESt5arrayIPcLm1EEEEviT0_T1_,comdat
.Lfunc_end107:
	.size	_ZN2at6native29vectorized_elementwise_kernelILi2ENS0_11FillFunctorIN3c108BFloat16EEESt5arrayIPcLm1EEEEviT0_T1_, .Lfunc_end107-_ZN2at6native29vectorized_elementwise_kernelILi2ENS0_11FillFunctorIN3c108BFloat16EEESt5arrayIPcLm1EEEEviT0_T1_
                                        ; -- End function
	.section	.AMDGPU.csdata,"",@progbits
; Kernel info:
; codeLenInByte = 740
; NumSgprs: 12
; NumVgprs: 4
; NumAgprs: 0
; TotalNumVgprs: 4
; ScratchSize: 0
; MemoryBound: 0
; FloatMode: 240
; IeeeMode: 1
; LDSByteSize: 0 bytes/workgroup (compile time only)
; SGPRBlocks: 1
; VGPRBlocks: 0
; NumSGPRsForWavesPerEU: 12
; NumVGPRsForWavesPerEU: 4
; AccumOffset: 4
; Occupancy: 8
; WaveLimiterHint : 1
; COMPUTE_PGM_RSRC2:SCRATCH_EN: 0
; COMPUTE_PGM_RSRC2:USER_SGPR: 6
; COMPUTE_PGM_RSRC2:TRAP_HANDLER: 0
; COMPUTE_PGM_RSRC2:TGID_X_EN: 1
; COMPUTE_PGM_RSRC2:TGID_Y_EN: 0
; COMPUTE_PGM_RSRC2:TGID_Z_EN: 0
; COMPUTE_PGM_RSRC2:TIDIG_COMP_CNT: 0
; COMPUTE_PGM_RSRC3_GFX90A:ACCUM_OFFSET: 0
; COMPUTE_PGM_RSRC3_GFX90A:TG_SPLIT: 0
	.section	.text._ZN2at6native27unrolled_elementwise_kernelINS0_11FillFunctorIN3c108BFloat16EEESt5arrayIPcLm1EELi4E23TrivialOffsetCalculatorILi0EjES9_ILi1EjENS0_6memory15LoadWithoutCastENSC_16StoreWithoutCastEEEviT_T0_T2_T3_T4_T5_,"axG",@progbits,_ZN2at6native27unrolled_elementwise_kernelINS0_11FillFunctorIN3c108BFloat16EEESt5arrayIPcLm1EELi4E23TrivialOffsetCalculatorILi0EjES9_ILi1EjENS0_6memory15LoadWithoutCastENSC_16StoreWithoutCastEEEviT_T0_T2_T3_T4_T5_,comdat
	.protected	_ZN2at6native27unrolled_elementwise_kernelINS0_11FillFunctorIN3c108BFloat16EEESt5arrayIPcLm1EELi4E23TrivialOffsetCalculatorILi0EjES9_ILi1EjENS0_6memory15LoadWithoutCastENSC_16StoreWithoutCastEEEviT_T0_T2_T3_T4_T5_ ; -- Begin function _ZN2at6native27unrolled_elementwise_kernelINS0_11FillFunctorIN3c108BFloat16EEESt5arrayIPcLm1EELi4E23TrivialOffsetCalculatorILi0EjES9_ILi1EjENS0_6memory15LoadWithoutCastENSC_16StoreWithoutCastEEEviT_T0_T2_T3_T4_T5_
	.globl	_ZN2at6native27unrolled_elementwise_kernelINS0_11FillFunctorIN3c108BFloat16EEESt5arrayIPcLm1EELi4E23TrivialOffsetCalculatorILi0EjES9_ILi1EjENS0_6memory15LoadWithoutCastENSC_16StoreWithoutCastEEEviT_T0_T2_T3_T4_T5_
	.p2align	8
	.type	_ZN2at6native27unrolled_elementwise_kernelINS0_11FillFunctorIN3c108BFloat16EEESt5arrayIPcLm1EELi4E23TrivialOffsetCalculatorILi0EjES9_ILi1EjENS0_6memory15LoadWithoutCastENSC_16StoreWithoutCastEEEviT_T0_T2_T3_T4_T5_,@function
_ZN2at6native27unrolled_elementwise_kernelINS0_11FillFunctorIN3c108BFloat16EEESt5arrayIPcLm1EELi4E23TrivialOffsetCalculatorILi0EjES9_ILi1EjENS0_6memory15LoadWithoutCastENSC_16StoreWithoutCastEEEviT_T0_T2_T3_T4_T5_: ; @_ZN2at6native27unrolled_elementwise_kernelINS0_11FillFunctorIN3c108BFloat16EEESt5arrayIPcLm1EELi4E23TrivialOffsetCalculatorILi0EjES9_ILi1EjENS0_6memory15LoadWithoutCastENSC_16StoreWithoutCastEEEviT_T0_T2_T3_T4_T5_
; %bb.0:
	s_load_dwordx4 s[0:3], s[4:5], 0x0
	s_lshl_b32 s6, s6, 10
	s_waitcnt lgkmcnt(0)
	s_sub_i32 s0, s0, s6
	v_cmp_gt_i32_e32 vcc, s0, v0
	s_and_saveexec_b64 s[4:5], vcc
	s_cbranch_execnz .LBB108_5
; %bb.1:
	s_or_b64 exec, exec, s[4:5]
	v_cmp_gt_i32_e32 vcc, s0, v0
	s_and_saveexec_b64 s[4:5], vcc
	s_cbranch_execnz .LBB108_6
.LBB108_2:
	s_or_b64 exec, exec, s[4:5]
	v_cmp_gt_i32_e32 vcc, s0, v0
	s_and_saveexec_b64 s[4:5], vcc
	s_cbranch_execnz .LBB108_7
.LBB108_3:
	s_or_b64 exec, exec, s[4:5]
	v_cmp_gt_i32_e32 vcc, s0, v0
	s_and_saveexec_b64 s[4:5], vcc
	s_cbranch_execnz .LBB108_8
.LBB108_4:
	s_endpgm
.LBB108_5:
	v_or_b32_e32 v2, s6, v0
	v_mov_b32_e32 v3, 0
	v_lshlrev_b64 v[2:3], 1, v[2:3]
	v_mov_b32_e32 v1, s3
	v_add_co_u32_e32 v2, vcc, s2, v2
	v_addc_co_u32_e32 v3, vcc, v1, v3, vcc
	v_or_b32_e32 v0, 0x100, v0
	v_mov_b32_e32 v1, s1
	global_store_short v[2:3], v1, off
	s_or_b64 exec, exec, s[4:5]
	v_cmp_gt_i32_e32 vcc, s0, v0
	s_and_saveexec_b64 s[4:5], vcc
	s_cbranch_execz .LBB108_2
.LBB108_6:
	v_add_u32_e32 v2, 0x100, v0
	v_add_u32_e32 v0, s6, v0
	v_mov_b32_e32 v1, 0
	v_lshlrev_b64 v[0:1], 1, v[0:1]
	v_mov_b32_e32 v3, s3
	v_add_co_u32_e32 v0, vcc, s2, v0
	v_addc_co_u32_e32 v1, vcc, v3, v1, vcc
	v_mov_b32_e32 v3, s1
	global_store_short v[0:1], v3, off
	v_mov_b32_e32 v0, v2
	s_or_b64 exec, exec, s[4:5]
	v_cmp_gt_i32_e32 vcc, s0, v0
	s_and_saveexec_b64 s[4:5], vcc
	s_cbranch_execz .LBB108_3
.LBB108_7:
	v_add_u32_e32 v2, 0x100, v0
	v_add_u32_e32 v0, s6, v0
	v_mov_b32_e32 v1, 0
	v_lshlrev_b64 v[0:1], 1, v[0:1]
	v_mov_b32_e32 v3, s3
	v_add_co_u32_e32 v0, vcc, s2, v0
	v_addc_co_u32_e32 v1, vcc, v3, v1, vcc
	v_mov_b32_e32 v3, s1
	global_store_short v[0:1], v3, off
	v_mov_b32_e32 v0, v2
	s_or_b64 exec, exec, s[4:5]
	v_cmp_gt_i32_e32 vcc, s0, v0
	s_and_saveexec_b64 s[4:5], vcc
	s_cbranch_execz .LBB108_4
.LBB108_8:
	v_add_u32_e32 v0, s6, v0
	v_mov_b32_e32 v1, 0
	v_lshlrev_b64 v[0:1], 1, v[0:1]
	v_mov_b32_e32 v2, s3
	v_add_co_u32_e32 v0, vcc, s2, v0
	v_addc_co_u32_e32 v1, vcc, v2, v1, vcc
	v_mov_b32_e32 v2, s1
	global_store_short v[0:1], v2, off
	s_endpgm
	.section	.rodata,"a",@progbits
	.p2align	6, 0x0
	.amdhsa_kernel _ZN2at6native27unrolled_elementwise_kernelINS0_11FillFunctorIN3c108BFloat16EEESt5arrayIPcLm1EELi4E23TrivialOffsetCalculatorILi0EjES9_ILi1EjENS0_6memory15LoadWithoutCastENSC_16StoreWithoutCastEEEviT_T0_T2_T3_T4_T5_
		.amdhsa_group_segment_fixed_size 0
		.amdhsa_private_segment_fixed_size 0
		.amdhsa_kernarg_size 20
		.amdhsa_user_sgpr_count 6
		.amdhsa_user_sgpr_private_segment_buffer 1
		.amdhsa_user_sgpr_dispatch_ptr 0
		.amdhsa_user_sgpr_queue_ptr 0
		.amdhsa_user_sgpr_kernarg_segment_ptr 1
		.amdhsa_user_sgpr_dispatch_id 0
		.amdhsa_user_sgpr_flat_scratch_init 0
		.amdhsa_user_sgpr_kernarg_preload_length 0
		.amdhsa_user_sgpr_kernarg_preload_offset 0
		.amdhsa_user_sgpr_private_segment_size 0
		.amdhsa_uses_dynamic_stack 0
		.amdhsa_system_sgpr_private_segment_wavefront_offset 0
		.amdhsa_system_sgpr_workgroup_id_x 1
		.amdhsa_system_sgpr_workgroup_id_y 0
		.amdhsa_system_sgpr_workgroup_id_z 0
		.amdhsa_system_sgpr_workgroup_info 0
		.amdhsa_system_vgpr_workitem_id 0
		.amdhsa_next_free_vgpr 4
		.amdhsa_next_free_sgpr 7
		.amdhsa_accum_offset 4
		.amdhsa_reserve_vcc 1
		.amdhsa_reserve_flat_scratch 0
		.amdhsa_float_round_mode_32 0
		.amdhsa_float_round_mode_16_64 0
		.amdhsa_float_denorm_mode_32 3
		.amdhsa_float_denorm_mode_16_64 3
		.amdhsa_dx10_clamp 1
		.amdhsa_ieee_mode 1
		.amdhsa_fp16_overflow 0
		.amdhsa_tg_split 0
		.amdhsa_exception_fp_ieee_invalid_op 0
		.amdhsa_exception_fp_denorm_src 0
		.amdhsa_exception_fp_ieee_div_zero 0
		.amdhsa_exception_fp_ieee_overflow 0
		.amdhsa_exception_fp_ieee_underflow 0
		.amdhsa_exception_fp_ieee_inexact 0
		.amdhsa_exception_int_div_zero 0
	.end_amdhsa_kernel
	.section	.text._ZN2at6native27unrolled_elementwise_kernelINS0_11FillFunctorIN3c108BFloat16EEESt5arrayIPcLm1EELi4E23TrivialOffsetCalculatorILi0EjES9_ILi1EjENS0_6memory15LoadWithoutCastENSC_16StoreWithoutCastEEEviT_T0_T2_T3_T4_T5_,"axG",@progbits,_ZN2at6native27unrolled_elementwise_kernelINS0_11FillFunctorIN3c108BFloat16EEESt5arrayIPcLm1EELi4E23TrivialOffsetCalculatorILi0EjES9_ILi1EjENS0_6memory15LoadWithoutCastENSC_16StoreWithoutCastEEEviT_T0_T2_T3_T4_T5_,comdat
.Lfunc_end108:
	.size	_ZN2at6native27unrolled_elementwise_kernelINS0_11FillFunctorIN3c108BFloat16EEESt5arrayIPcLm1EELi4E23TrivialOffsetCalculatorILi0EjES9_ILi1EjENS0_6memory15LoadWithoutCastENSC_16StoreWithoutCastEEEviT_T0_T2_T3_T4_T5_, .Lfunc_end108-_ZN2at6native27unrolled_elementwise_kernelINS0_11FillFunctorIN3c108BFloat16EEESt5arrayIPcLm1EELi4E23TrivialOffsetCalculatorILi0EjES9_ILi1EjENS0_6memory15LoadWithoutCastENSC_16StoreWithoutCastEEEviT_T0_T2_T3_T4_T5_
                                        ; -- End function
	.section	.AMDGPU.csdata,"",@progbits
; Kernel info:
; codeLenInByte = 328
; NumSgprs: 11
; NumVgprs: 4
; NumAgprs: 0
; TotalNumVgprs: 4
; ScratchSize: 0
; MemoryBound: 0
; FloatMode: 240
; IeeeMode: 1
; LDSByteSize: 0 bytes/workgroup (compile time only)
; SGPRBlocks: 1
; VGPRBlocks: 0
; NumSGPRsForWavesPerEU: 11
; NumVGPRsForWavesPerEU: 4
; AccumOffset: 4
; Occupancy: 8
; WaveLimiterHint : 0
; COMPUTE_PGM_RSRC2:SCRATCH_EN: 0
; COMPUTE_PGM_RSRC2:USER_SGPR: 6
; COMPUTE_PGM_RSRC2:TRAP_HANDLER: 0
; COMPUTE_PGM_RSRC2:TGID_X_EN: 1
; COMPUTE_PGM_RSRC2:TGID_Y_EN: 0
; COMPUTE_PGM_RSRC2:TGID_Z_EN: 0
; COMPUTE_PGM_RSRC2:TIDIG_COMP_CNT: 0
; COMPUTE_PGM_RSRC3_GFX90A:ACCUM_OFFSET: 0
; COMPUTE_PGM_RSRC3_GFX90A:TG_SPLIT: 0
	.section	.text._ZN2at6native32elementwise_kernel_manual_unrollILi128ELi8EZNS0_22gpu_kernel_impl_nocastINS0_11FillFunctorIN3c108BFloat16EEEEEvRNS_18TensorIteratorBaseERKT_EUlibE_EEviT1_,"axG",@progbits,_ZN2at6native32elementwise_kernel_manual_unrollILi128ELi8EZNS0_22gpu_kernel_impl_nocastINS0_11FillFunctorIN3c108BFloat16EEEEEvRNS_18TensorIteratorBaseERKT_EUlibE_EEviT1_,comdat
	.protected	_ZN2at6native32elementwise_kernel_manual_unrollILi128ELi8EZNS0_22gpu_kernel_impl_nocastINS0_11FillFunctorIN3c108BFloat16EEEEEvRNS_18TensorIteratorBaseERKT_EUlibE_EEviT1_ ; -- Begin function _ZN2at6native32elementwise_kernel_manual_unrollILi128ELi8EZNS0_22gpu_kernel_impl_nocastINS0_11FillFunctorIN3c108BFloat16EEEEEvRNS_18TensorIteratorBaseERKT_EUlibE_EEviT1_
	.globl	_ZN2at6native32elementwise_kernel_manual_unrollILi128ELi8EZNS0_22gpu_kernel_impl_nocastINS0_11FillFunctorIN3c108BFloat16EEEEEvRNS_18TensorIteratorBaseERKT_EUlibE_EEviT1_
	.p2align	8
	.type	_ZN2at6native32elementwise_kernel_manual_unrollILi128ELi8EZNS0_22gpu_kernel_impl_nocastINS0_11FillFunctorIN3c108BFloat16EEEEEvRNS_18TensorIteratorBaseERKT_EUlibE_EEviT1_,@function
_ZN2at6native32elementwise_kernel_manual_unrollILi128ELi8EZNS0_22gpu_kernel_impl_nocastINS0_11FillFunctorIN3c108BFloat16EEEEEvRNS_18TensorIteratorBaseERKT_EUlibE_EEviT1_: ; @_ZN2at6native32elementwise_kernel_manual_unrollILi128ELi8EZNS0_22gpu_kernel_impl_nocastINS0_11FillFunctorIN3c108BFloat16EEEEEvRNS_18TensorIteratorBaseERKT_EUlibE_EEviT1_
; %bb.0:
	s_load_dword s48, s[4:5], 0x0
	s_load_dword s33, s[4:5], 0x8
	s_or_b32 s4, s4, 8
	v_lshl_or_b32 v12, s6, 10, v0
	v_or_b32_e32 v16, 0x380, v12
	s_waitcnt lgkmcnt(0)
	v_cmp_le_i32_e32 vcc, s48, v16
	s_add_i32 s46, s33, -1
	s_cmp_gt_u32 s46, 1
	s_cselect_b64 s[6:7], -1, 0
	s_and_saveexec_b64 s[0:1], vcc
	s_xor_b64 s[24:25], exec, s[0:1]
	s_cbranch_execz .LBB109_7
; %bb.1:
	s_load_dwordx4 s[0:3], s[4:5], 0x4
	s_load_dwordx2 s[30:31], s[4:5], 0x14
	s_load_dwordx2 s[28:29], s[4:5], 0xc4
	;; [unrolled: 1-line block ×3, first 2 shown]
	s_load_dword s47, s[4:5], 0x110
	s_cmp_lg_u32 s33, 0
	s_cselect_b64 s[38:39], -1, 0
	s_add_u32 s36, s4, 0xc4
	s_addc_u32 s37, s5, 0
	s_min_u32 s49, s46, 15
	s_cmp_gt_u32 s33, 1
	s_cselect_b64 s[34:35], -1, 0
	v_cmp_gt_i32_e32 vcc, s48, v12
	s_and_saveexec_b64 s[40:41], vcc
	s_cbranch_execz .LBB109_14
; %bb.2:
	s_andn2_b64 vcc, exec, s[6:7]
	s_cbranch_vccnz .LBB109_21
; %bb.3:
	s_andn2_b64 vcc, exec, s[38:39]
	s_cbranch_vccnz .LBB109_121
; %bb.4:
	s_add_i32 s51, s49, 1
	s_mov_b32 s50, 0
	s_cmp_eq_u32 s46, 2
	v_mov_b32_e32 v0, 0
	s_cbranch_scc1 .LBB109_123
; %bb.5:
	s_and_b32 s50, s51, 28
	s_mov_b32 s52, 0
	v_mov_b32_e32 v0, 0
	s_mov_b64 s[42:43], s[4:5]
	s_mov_b64 s[44:45], s[36:37]
	v_mov_b32_e32 v2, v12
.LBB109_6:                              ; =>This Inner Loop Header: Depth=1
	s_load_dwordx8 s[8:15], s[42:43], 0x4
	s_load_dwordx4 s[16:19], s[42:43], 0x24
	s_load_dwordx4 s[20:23], s[44:45], 0x0
	s_add_u32 s42, s42, 48
	s_addc_u32 s43, s43, 0
	s_waitcnt lgkmcnt(0)
	v_mul_hi_u32 v1, s9, v2
	v_add_u32_e32 v1, v2, v1
	v_lshrrev_b32_e32 v1, s10, v1
	v_mul_lo_u32 v3, v1, s8
	v_mul_hi_u32 v4, s12, v1
	v_sub_u32_e32 v2, v2, v3
	v_add_u32_e32 v3, v1, v4
	v_lshrrev_b32_e32 v3, s13, v3
	v_mul_lo_u32 v4, v3, s11
	v_mul_hi_u32 v5, s15, v3
	v_sub_u32_e32 v1, v1, v4
	v_add_u32_e32 v4, v3, v5
	v_mul_lo_u32 v2, v2, s20
	v_mul_lo_u32 v1, v1, s21
	v_lshrrev_b32_e32 v4, s16, v4
	v_add3_u32 v0, v2, v0, v1
	v_mul_hi_u32 v2, s18, v4
	v_add_u32_e32 v2, v4, v2
	v_mul_lo_u32 v1, v4, s14
	v_lshrrev_b32_e32 v2, s19, v2
	s_add_i32 s52, s52, 4
	v_sub_u32_e32 v1, v3, v1
	v_mul_lo_u32 v3, v2, s17
	s_add_u32 s44, s44, 16
	v_sub_u32_e32 v3, v4, v3
	s_addc_u32 s45, s45, 0
	v_mul_lo_u32 v1, v1, s22
	v_mul_lo_u32 v3, v3, s23
	s_cmp_lg_u32 s50, s52
	v_add3_u32 v0, v1, v0, v3
	s_cbranch_scc1 .LBB109_6
	s_branch .LBB109_124
.LBB109_7:
	s_andn2_saveexec_b64 s[0:1], s[24:25]
	s_cbranch_execz .LBB109_213
.LBB109_8:
	v_cndmask_b32_e64 v0, 0, 1, s[6:7]
	v_cmp_ne_u32_e64 s[0:1], 1, v0
	s_andn2_b64 vcc, exec, s[6:7]
	s_cbranch_vccnz .LBB109_20
; %bb.9:
	s_mov_b32 s24, 0
	s_cmp_eq_u32 s33, 0
	v_mov_b32_e32 v0, 0
	s_cbranch_scc1 .LBB109_26
; %bb.10:
	s_min_u32 s25, s46, 15
	s_add_i32 s25, s25, 1
	s_cmp_eq_u32 s46, 2
	v_mov_b32_e32 v0, 0
	s_cbranch_scc1 .LBB109_23
; %bb.11:
	s_add_u32 s2, s4, 0xc4
	s_addc_u32 s3, s5, 0
	s_and_b32 s24, s25, 28
	s_mov_b32 s26, 0
	v_mov_b32_e32 v0, 0
	s_mov_b64 s[6:7], s[4:5]
	v_mov_b32_e32 v2, v12
.LBB109_12:                             ; =>This Inner Loop Header: Depth=1
	s_load_dwordx8 s[8:15], s[6:7], 0x4
	s_load_dwordx4 s[16:19], s[6:7], 0x24
	s_load_dwordx4 s[20:23], s[2:3], 0x0
	s_add_u32 s6, s6, 48
	s_addc_u32 s7, s7, 0
	s_waitcnt lgkmcnt(0)
	v_mul_hi_u32 v1, s9, v2
	v_add_u32_e32 v1, v2, v1
	v_lshrrev_b32_e32 v1, s10, v1
	v_mul_lo_u32 v3, v1, s8
	v_mul_hi_u32 v4, s12, v1
	v_sub_u32_e32 v2, v2, v3
	v_add_u32_e32 v3, v1, v4
	v_lshrrev_b32_e32 v3, s13, v3
	v_mul_lo_u32 v4, v3, s11
	v_mul_hi_u32 v5, s15, v3
	v_sub_u32_e32 v1, v1, v4
	v_add_u32_e32 v4, v3, v5
	v_mul_lo_u32 v2, v2, s20
	v_mul_lo_u32 v1, v1, s21
	v_lshrrev_b32_e32 v4, s16, v4
	v_add3_u32 v0, v2, v0, v1
	v_mul_hi_u32 v2, s18, v4
	v_add_u32_e32 v2, v4, v2
	v_mul_lo_u32 v1, v4, s14
	v_lshrrev_b32_e32 v2, s19, v2
	s_add_i32 s26, s26, 4
	v_sub_u32_e32 v1, v3, v1
	v_mul_lo_u32 v3, v2, s17
	s_add_u32 s2, s2, 16
	v_sub_u32_e32 v3, v4, v3
	s_addc_u32 s3, s3, 0
	v_mul_lo_u32 v1, v1, s22
	v_mul_lo_u32 v3, v3, s23
	s_cmp_lg_u32 s24, s26
	v_add3_u32 v0, v1, v0, v3
	s_cbranch_scc1 .LBB109_12
; %bb.13:
	s_and_b32 s8, s25, 3
	s_cmp_eq_u32 s8, 0
	s_cbranch_scc0 .LBB109_24
	s_branch .LBB109_26
.LBB109_14:
	s_or_b64 exec, exec, s[40:41]
	v_cmp_gt_i32_e32 vcc, s48, v12
	s_and_saveexec_b64 s[40:41], vcc
	s_cbranch_execz .LBB109_131
.LBB109_15:
	s_andn2_b64 vcc, exec, s[6:7]
	s_cbranch_vccnz .LBB109_22
; %bb.16:
	s_andn2_b64 vcc, exec, s[38:39]
	s_cbranch_vccnz .LBB109_122
; %bb.17:
	s_add_i32 s51, s49, 1
	s_mov_b32 s50, 0
	s_cmp_eq_u32 s46, 2
	v_mov_b32_e32 v0, 0
	s_cbranch_scc1 .LBB109_139
; %bb.18:
	s_and_b32 s50, s51, 28
	s_mov_b32 s52, 0
	v_mov_b32_e32 v0, 0
	s_mov_b64 s[42:43], s[4:5]
	s_mov_b64 s[44:45], s[36:37]
	v_mov_b32_e32 v2, v12
.LBB109_19:                             ; =>This Inner Loop Header: Depth=1
	s_load_dwordx8 s[8:15], s[42:43], 0x4
	s_load_dwordx4 s[16:19], s[42:43], 0x24
	s_load_dwordx4 s[20:23], s[44:45], 0x0
	s_add_u32 s42, s42, 48
	s_addc_u32 s43, s43, 0
	s_waitcnt lgkmcnt(0)
	v_mul_hi_u32 v1, s9, v2
	v_add_u32_e32 v1, v2, v1
	v_lshrrev_b32_e32 v1, s10, v1
	v_mul_lo_u32 v3, v1, s8
	v_mul_hi_u32 v4, s12, v1
	v_sub_u32_e32 v2, v2, v3
	v_add_u32_e32 v3, v1, v4
	v_lshrrev_b32_e32 v3, s13, v3
	v_mul_lo_u32 v4, v3, s11
	v_mul_hi_u32 v5, s15, v3
	v_sub_u32_e32 v1, v1, v4
	v_add_u32_e32 v4, v3, v5
	v_mul_lo_u32 v2, v2, s20
	v_mul_lo_u32 v1, v1, s21
	v_lshrrev_b32_e32 v4, s16, v4
	v_add3_u32 v0, v2, v0, v1
	v_mul_hi_u32 v2, s18, v4
	v_add_u32_e32 v2, v4, v2
	v_mul_lo_u32 v1, v4, s14
	v_lshrrev_b32_e32 v2, s19, v2
	s_add_i32 s52, s52, 4
	v_sub_u32_e32 v1, v3, v1
	v_mul_lo_u32 v3, v2, s17
	s_add_u32 s44, s44, 16
	v_sub_u32_e32 v3, v4, v3
	s_addc_u32 s45, s45, 0
	v_mul_lo_u32 v1, v1, s22
	v_mul_lo_u32 v3, v3, s23
	s_cmp_eq_u32 s50, s52
	v_add3_u32 v0, v1, v0, v3
	s_cbranch_scc0 .LBB109_19
	s_branch .LBB109_140
.LBB109_20:
                                        ; implicit-def: $vgpr0
	s_branch .LBB109_27
.LBB109_21:
                                        ; implicit-def: $vgpr0
	s_branch .LBB109_128
.LBB109_22:
                                        ; implicit-def: $vgpr0
	s_branch .LBB109_144
.LBB109_23:
	v_mov_b32_e32 v2, v12
	s_and_b32 s8, s25, 3
	s_cmp_eq_u32 s8, 0
	s_cbranch_scc1 .LBB109_26
.LBB109_24:
	s_lshl_b32 s2, s24, 2
	s_add_u32 s2, s2, s4
	s_addc_u32 s3, 0, s5
	s_add_u32 s2, s2, 0xc4
	s_addc_u32 s3, s3, 0
	s_mul_i32 s6, s24, 12
	s_add_u32 s6, s4, s6
	s_addc_u32 s7, 0, s5
.LBB109_25:                             ; =>This Inner Loop Header: Depth=1
	s_load_dwordx2 s[10:11], s[6:7], 0x4
	s_load_dword s9, s[6:7], 0xc
	s_load_dword s12, s[2:3], 0x0
	s_add_u32 s6, s6, 12
	s_addc_u32 s7, s7, 0
	s_waitcnt lgkmcnt(0)
	v_mul_hi_u32 v1, s11, v2
	v_add_u32_e32 v1, v2, v1
	v_lshrrev_b32_e32 v1, s9, v1
	s_add_u32 s2, s2, 4
	v_mul_lo_u32 v3, v1, s10
	s_addc_u32 s3, s3, 0
	s_add_i32 s8, s8, -1
	v_sub_u32_e32 v3, v2, v3
	s_cmp_lg_u32 s8, 0
	v_mov_b32_e32 v2, v1
	v_mad_u64_u32 v[0:1], s[10:11], v3, s12, v[0:1]
	s_cbranch_scc1 .LBB109_25
.LBB109_26:
	s_cbranch_execnz .LBB109_29
.LBB109_27:
	s_load_dwordx4 s[8:11], s[4:5], 0x4
	s_load_dword s2, s[4:5], 0xc4
	s_cmp_lt_u32 s33, 2
	s_waitcnt lgkmcnt(0)
	v_mul_hi_u32 v0, s9, v12
	v_add_u32_e32 v0, v12, v0
	v_lshrrev_b32_e32 v1, s10, v0
	v_mul_lo_u32 v0, v1, s8
	v_sub_u32_e32 v0, v12, v0
	v_mul_lo_u32 v0, v0, s2
	s_cbranch_scc1 .LBB109_29
; %bb.28:
	s_load_dwordx4 s[8:11], s[4:5], 0x10
	s_load_dword s2, s[4:5], 0xc8
	s_waitcnt lgkmcnt(0)
	v_mul_hi_u32 v2, s9, v1
	v_add_u32_e32 v2, v1, v2
	v_lshrrev_b32_e32 v2, s10, v2
	v_mul_lo_u32 v2, v2, s8
	v_sub_u32_e32 v1, v1, v2
	v_mad_u64_u32 v[0:1], s[2:3], v1, s2, v[0:1]
.LBB109_29:
	s_and_b64 vcc, exec, s[0:1]
	v_add_u32_e32 v1, 0x80, v12
	s_cbranch_vccnz .LBB109_35
; %bb.30:
	s_mov_b32 s24, 0
	s_cmp_eq_u32 s33, 0
	v_mov_b32_e32 v2, 0
	s_cbranch_scc1 .LBB109_39
; %bb.31:
	s_min_u32 s25, s46, 15
	s_add_i32 s25, s25, 1
	s_cmp_eq_u32 s46, 2
	v_mov_b32_e32 v2, 0
	s_cbranch_scc1 .LBB109_36
; %bb.32:
	s_add_u32 s2, s4, 0xc4
	s_addc_u32 s3, s5, 0
	s_and_b32 s24, s25, 28
	s_mov_b32 s26, 0
	v_mov_b32_e32 v2, 0
	s_mov_b64 s[6:7], s[4:5]
	v_mov_b32_e32 v4, v1
.LBB109_33:                             ; =>This Inner Loop Header: Depth=1
	s_load_dwordx8 s[8:15], s[6:7], 0x4
	s_load_dwordx4 s[16:19], s[6:7], 0x24
	s_load_dwordx4 s[20:23], s[2:3], 0x0
	s_add_u32 s6, s6, 48
	s_addc_u32 s7, s7, 0
	s_waitcnt lgkmcnt(0)
	v_mul_hi_u32 v3, s9, v4
	v_add_u32_e32 v3, v4, v3
	v_lshrrev_b32_e32 v3, s10, v3
	v_mul_lo_u32 v5, v3, s8
	v_mul_hi_u32 v6, s12, v3
	v_sub_u32_e32 v4, v4, v5
	v_add_u32_e32 v5, v3, v6
	v_lshrrev_b32_e32 v5, s13, v5
	v_mul_lo_u32 v6, v5, s11
	v_mul_hi_u32 v7, s15, v5
	v_sub_u32_e32 v3, v3, v6
	v_add_u32_e32 v6, v5, v7
	v_mul_lo_u32 v4, v4, s20
	v_mul_lo_u32 v3, v3, s21
	v_lshrrev_b32_e32 v6, s16, v6
	v_add3_u32 v2, v4, v2, v3
	v_mul_hi_u32 v4, s18, v6
	v_add_u32_e32 v4, v6, v4
	v_mul_lo_u32 v3, v6, s14
	v_lshrrev_b32_e32 v4, s19, v4
	s_add_i32 s26, s26, 4
	v_sub_u32_e32 v3, v5, v3
	v_mul_lo_u32 v5, v4, s17
	s_add_u32 s2, s2, 16
	v_sub_u32_e32 v5, v6, v5
	s_addc_u32 s3, s3, 0
	v_mul_lo_u32 v3, v3, s22
	v_mul_lo_u32 v5, v5, s23
	s_cmp_lg_u32 s24, s26
	v_add3_u32 v2, v3, v2, v5
	s_cbranch_scc1 .LBB109_33
; %bb.34:
	s_and_b32 s8, s25, 3
	s_cmp_eq_u32 s8, 0
	s_cbranch_scc0 .LBB109_37
	s_branch .LBB109_39
.LBB109_35:
                                        ; implicit-def: $vgpr2
	s_branch .LBB109_40
.LBB109_36:
	v_mov_b32_e32 v4, v1
	s_and_b32 s8, s25, 3
	s_cmp_eq_u32 s8, 0
	s_cbranch_scc1 .LBB109_39
.LBB109_37:
	s_lshl_b32 s2, s24, 2
	s_add_u32 s2, s2, s4
	s_addc_u32 s3, 0, s5
	s_add_u32 s2, s2, 0xc4
	s_addc_u32 s3, s3, 0
	s_mul_i32 s6, s24, 12
	s_add_u32 s6, s4, s6
	s_addc_u32 s7, 0, s5
.LBB109_38:                             ; =>This Inner Loop Header: Depth=1
	s_load_dwordx2 s[10:11], s[6:7], 0x4
	s_load_dword s9, s[6:7], 0xc
	s_load_dword s12, s[2:3], 0x0
	s_add_u32 s6, s6, 12
	s_addc_u32 s7, s7, 0
	s_waitcnt lgkmcnt(0)
	v_mul_hi_u32 v3, s11, v4
	v_add_u32_e32 v3, v4, v3
	v_lshrrev_b32_e32 v3, s9, v3
	s_add_u32 s2, s2, 4
	v_mul_lo_u32 v5, v3, s10
	s_addc_u32 s3, s3, 0
	s_add_i32 s8, s8, -1
	v_sub_u32_e32 v5, v4, v5
	s_cmp_lg_u32 s8, 0
	v_mov_b32_e32 v4, v3
	v_mad_u64_u32 v[2:3], s[10:11], v5, s12, v[2:3]
	s_cbranch_scc1 .LBB109_38
.LBB109_39:
	s_cbranch_execnz .LBB109_42
.LBB109_40:
	s_load_dwordx4 s[8:11], s[4:5], 0x4
	s_load_dword s2, s[4:5], 0xc4
	s_cmp_lt_u32 s33, 2
	s_waitcnt lgkmcnt(0)
	v_mul_hi_u32 v2, s9, v1
	v_add_u32_e32 v2, v1, v2
	v_lshrrev_b32_e32 v3, s10, v2
	v_mul_lo_u32 v2, v3, s8
	v_sub_u32_e32 v1, v1, v2
	v_mul_lo_u32 v2, v1, s2
	s_cbranch_scc1 .LBB109_42
; %bb.41:
	s_load_dwordx4 s[8:11], s[4:5], 0x10
	s_load_dword s2, s[4:5], 0xc8
	s_waitcnt lgkmcnt(0)
	v_mul_hi_u32 v1, s9, v3
	v_add_u32_e32 v1, v3, v1
	v_lshrrev_b32_e32 v1, s10, v1
	v_mul_lo_u32 v1, v1, s8
	v_sub_u32_e32 v1, v3, v1
	v_mad_u64_u32 v[2:3], s[2:3], v1, s2, v[2:3]
.LBB109_42:
	s_and_b64 vcc, exec, s[0:1]
	v_add_u32_e32 v1, 0x100, v12
	s_cbranch_vccnz .LBB109_48
; %bb.43:
	s_mov_b32 s24, 0
	s_cmp_eq_u32 s33, 0
	v_mov_b32_e32 v4, 0
	s_cbranch_scc1 .LBB109_52
; %bb.44:
	s_min_u32 s25, s46, 15
	s_add_i32 s25, s25, 1
	s_cmp_eq_u32 s46, 2
	v_mov_b32_e32 v4, 0
	s_cbranch_scc1 .LBB109_49
; %bb.45:
	s_add_u32 s2, s4, 0xc4
	s_addc_u32 s3, s5, 0
	s_and_b32 s24, s25, 28
	s_mov_b32 s26, 0
	v_mov_b32_e32 v4, 0
	s_mov_b64 s[6:7], s[4:5]
	v_mov_b32_e32 v3, v1
.LBB109_46:                             ; =>This Inner Loop Header: Depth=1
	s_load_dwordx8 s[8:15], s[6:7], 0x4
	s_load_dwordx4 s[16:19], s[6:7], 0x24
	s_load_dwordx4 s[20:23], s[2:3], 0x0
	s_add_u32 s6, s6, 48
	s_addc_u32 s7, s7, 0
	s_waitcnt lgkmcnt(0)
	v_mul_hi_u32 v5, s9, v3
	v_add_u32_e32 v5, v3, v5
	v_lshrrev_b32_e32 v5, s10, v5
	v_mul_lo_u32 v6, v5, s8
	v_mul_hi_u32 v7, s12, v5
	v_sub_u32_e32 v3, v3, v6
	v_add_u32_e32 v6, v5, v7
	v_lshrrev_b32_e32 v6, s13, v6
	v_mul_lo_u32 v7, v6, s11
	v_mul_hi_u32 v8, s15, v6
	v_sub_u32_e32 v5, v5, v7
	v_add_u32_e32 v7, v6, v8
	v_mul_lo_u32 v3, v3, s20
	v_mul_lo_u32 v5, v5, s21
	v_lshrrev_b32_e32 v7, s16, v7
	v_add3_u32 v4, v3, v4, v5
	v_mul_lo_u32 v3, v7, s14
	v_mul_hi_u32 v5, s18, v7
	v_sub_u32_e32 v3, v6, v3
	v_add_u32_e32 v5, v7, v5
	v_mul_lo_u32 v6, v3, s22
	v_lshrrev_b32_e32 v3, s19, v5
	s_add_i32 s26, s26, 4
	v_mul_lo_u32 v5, v3, s17
	s_add_u32 s2, s2, 16
	v_sub_u32_e32 v5, v7, v5
	s_addc_u32 s3, s3, 0
	v_mul_lo_u32 v5, v5, s23
	s_cmp_lg_u32 s24, s26
	v_add3_u32 v4, v6, v4, v5
	s_cbranch_scc1 .LBB109_46
; %bb.47:
	s_and_b32 s8, s25, 3
	s_cmp_eq_u32 s8, 0
	s_cbranch_scc0 .LBB109_50
	s_branch .LBB109_52
.LBB109_48:
                                        ; implicit-def: $vgpr4
	s_branch .LBB109_53
.LBB109_49:
	v_mov_b32_e32 v3, v1
	s_and_b32 s8, s25, 3
	s_cmp_eq_u32 s8, 0
	s_cbranch_scc1 .LBB109_52
.LBB109_50:
	s_lshl_b32 s2, s24, 2
	s_add_u32 s2, s2, s4
	s_addc_u32 s3, 0, s5
	s_add_u32 s2, s2, 0xc4
	s_addc_u32 s3, s3, 0
	s_mul_i32 s6, s24, 12
	s_add_u32 s6, s4, s6
	s_addc_u32 s7, 0, s5
.LBB109_51:                             ; =>This Inner Loop Header: Depth=1
	s_load_dwordx2 s[10:11], s[6:7], 0x4
	s_load_dword s9, s[6:7], 0xc
	s_load_dword s12, s[2:3], 0x0
	s_add_u32 s6, s6, 12
	s_addc_u32 s7, s7, 0
	s_waitcnt lgkmcnt(0)
	v_mul_hi_u32 v5, s11, v3
	v_add_u32_e32 v5, v3, v5
	v_lshrrev_b32_e32 v5, s9, v5
	s_add_u32 s2, s2, 4
	v_mul_lo_u32 v6, v5, s10
	s_addc_u32 s3, s3, 0
	s_add_i32 s8, s8, -1
	v_sub_u32_e32 v6, v3, v6
	s_cmp_lg_u32 s8, 0
	v_mov_b32_e32 v3, v5
	v_mad_u64_u32 v[4:5], s[10:11], v6, s12, v[4:5]
	s_cbranch_scc1 .LBB109_51
.LBB109_52:
	s_cbranch_execnz .LBB109_55
.LBB109_53:
	s_load_dwordx4 s[8:11], s[4:5], 0x4
	s_load_dword s2, s[4:5], 0xc4
	s_cmp_lt_u32 s33, 2
	s_waitcnt lgkmcnt(0)
	v_mul_hi_u32 v3, s9, v1
	v_add_u32_e32 v3, v1, v3
	v_lshrrev_b32_e32 v3, s10, v3
	v_mul_lo_u32 v4, v3, s8
	v_sub_u32_e32 v1, v1, v4
	v_mul_lo_u32 v4, v1, s2
	s_cbranch_scc1 .LBB109_55
; %bb.54:
	s_load_dwordx4 s[8:11], s[4:5], 0x10
	s_load_dword s2, s[4:5], 0xc8
	s_waitcnt lgkmcnt(0)
	v_mul_hi_u32 v1, s9, v3
	v_add_u32_e32 v1, v3, v1
	v_lshrrev_b32_e32 v1, s10, v1
	v_mul_lo_u32 v1, v1, s8
	v_sub_u32_e32 v1, v3, v1
	v_mad_u64_u32 v[4:5], s[2:3], v1, s2, v[4:5]
.LBB109_55:
	s_and_b64 vcc, exec, s[0:1]
	v_add_u32_e32 v1, 0x180, v12
	s_cbranch_vccnz .LBB109_61
; %bb.56:
	s_mov_b32 s24, 0
	s_cmp_eq_u32 s33, 0
	v_mov_b32_e32 v6, 0
	s_cbranch_scc1 .LBB109_65
; %bb.57:
	s_min_u32 s25, s46, 15
	s_add_i32 s25, s25, 1
	s_cmp_eq_u32 s46, 2
	v_mov_b32_e32 v6, 0
	s_cbranch_scc1 .LBB109_62
; %bb.58:
	s_add_u32 s2, s4, 0xc4
	s_addc_u32 s3, s5, 0
	s_and_b32 s24, s25, 28
	s_mov_b32 s26, 0
	v_mov_b32_e32 v6, 0
	s_mov_b64 s[6:7], s[4:5]
	v_mov_b32_e32 v3, v1
.LBB109_59:                             ; =>This Inner Loop Header: Depth=1
	s_load_dwordx8 s[8:15], s[6:7], 0x4
	s_load_dwordx4 s[16:19], s[6:7], 0x24
	s_load_dwordx4 s[20:23], s[2:3], 0x0
	s_add_u32 s6, s6, 48
	s_addc_u32 s7, s7, 0
	s_waitcnt lgkmcnt(0)
	v_mul_hi_u32 v5, s9, v3
	v_add_u32_e32 v5, v3, v5
	v_lshrrev_b32_e32 v5, s10, v5
	v_mul_lo_u32 v7, v5, s8
	v_mul_hi_u32 v8, s12, v5
	v_sub_u32_e32 v3, v3, v7
	v_add_u32_e32 v7, v5, v8
	v_lshrrev_b32_e32 v7, s13, v7
	v_mul_lo_u32 v8, v7, s11
	v_mul_hi_u32 v9, s15, v7
	v_sub_u32_e32 v5, v5, v8
	v_add_u32_e32 v8, v7, v9
	v_mul_lo_u32 v3, v3, s20
	v_mul_lo_u32 v5, v5, s21
	v_lshrrev_b32_e32 v8, s16, v8
	v_add3_u32 v5, v3, v6, v5
	v_mul_lo_u32 v3, v8, s14
	v_mul_hi_u32 v6, s18, v8
	v_sub_u32_e32 v3, v7, v3
	v_add_u32_e32 v6, v8, v6
	v_mul_lo_u32 v7, v3, s22
	v_lshrrev_b32_e32 v3, s19, v6
	s_add_i32 s26, s26, 4
	v_mul_lo_u32 v6, v3, s17
	s_add_u32 s2, s2, 16
	v_sub_u32_e32 v6, v8, v6
	s_addc_u32 s3, s3, 0
	v_mul_lo_u32 v6, v6, s23
	s_cmp_lg_u32 s24, s26
	v_add3_u32 v6, v7, v5, v6
	s_cbranch_scc1 .LBB109_59
; %bb.60:
	s_and_b32 s8, s25, 3
	s_cmp_eq_u32 s8, 0
	s_cbranch_scc0 .LBB109_63
	s_branch .LBB109_65
.LBB109_61:
                                        ; implicit-def: $vgpr6
	s_branch .LBB109_66
.LBB109_62:
	v_mov_b32_e32 v3, v1
	s_and_b32 s8, s25, 3
	s_cmp_eq_u32 s8, 0
	s_cbranch_scc1 .LBB109_65
.LBB109_63:
	s_lshl_b32 s2, s24, 2
	s_add_u32 s2, s2, s4
	s_addc_u32 s3, 0, s5
	s_add_u32 s2, s2, 0xc4
	s_addc_u32 s3, s3, 0
	s_mul_i32 s6, s24, 12
	s_add_u32 s6, s4, s6
	s_addc_u32 s7, 0, s5
.LBB109_64:                             ; =>This Inner Loop Header: Depth=1
	s_load_dwordx2 s[10:11], s[6:7], 0x4
	s_load_dword s9, s[6:7], 0xc
	s_load_dword s12, s[2:3], 0x0
	s_add_u32 s6, s6, 12
	s_addc_u32 s7, s7, 0
	s_waitcnt lgkmcnt(0)
	v_mul_hi_u32 v5, s11, v3
	v_add_u32_e32 v5, v3, v5
	v_lshrrev_b32_e32 v5, s9, v5
	s_add_u32 s2, s2, 4
	v_mul_lo_u32 v7, v5, s10
	s_addc_u32 s3, s3, 0
	s_add_i32 s8, s8, -1
	v_sub_u32_e32 v7, v3, v7
	s_cmp_lg_u32 s8, 0
	v_mov_b32_e32 v3, v5
	v_mad_u64_u32 v[6:7], s[10:11], v7, s12, v[6:7]
	s_cbranch_scc1 .LBB109_64
.LBB109_65:
	s_cbranch_execnz .LBB109_68
.LBB109_66:
	s_load_dwordx4 s[8:11], s[4:5], 0x4
	s_load_dword s2, s[4:5], 0xc4
	s_cmp_lt_u32 s33, 2
	s_waitcnt lgkmcnt(0)
	v_mul_hi_u32 v3, s9, v1
	v_add_u32_e32 v3, v1, v3
	v_lshrrev_b32_e32 v3, s10, v3
	v_mul_lo_u32 v5, v3, s8
	v_sub_u32_e32 v1, v1, v5
	v_mul_lo_u32 v6, v1, s2
	s_cbranch_scc1 .LBB109_68
; %bb.67:
	s_load_dwordx4 s[8:11], s[4:5], 0x10
	s_load_dword s2, s[4:5], 0xc8
	s_waitcnt lgkmcnt(0)
	v_mul_hi_u32 v1, s9, v3
	v_add_u32_e32 v1, v3, v1
	v_lshrrev_b32_e32 v1, s10, v1
	v_mul_lo_u32 v1, v1, s8
	v_sub_u32_e32 v1, v3, v1
	v_mad_u64_u32 v[6:7], s[2:3], v1, s2, v[6:7]
.LBB109_68:
	s_and_b64 vcc, exec, s[0:1]
	v_add_u32_e32 v1, 0x200, v12
	s_cbranch_vccnz .LBB109_74
; %bb.69:
	s_mov_b32 s24, 0
	s_cmp_eq_u32 s33, 0
	v_mov_b32_e32 v8, 0
	s_cbranch_scc1 .LBB109_78
; %bb.70:
	s_min_u32 s25, s46, 15
	s_add_i32 s25, s25, 1
	s_cmp_eq_u32 s46, 2
	v_mov_b32_e32 v8, 0
	s_cbranch_scc1 .LBB109_75
; %bb.71:
	s_add_u32 s2, s4, 0xc4
	s_addc_u32 s3, s5, 0
	s_and_b32 s24, s25, 28
	s_mov_b32 s26, 0
	v_mov_b32_e32 v8, 0
	s_mov_b64 s[6:7], s[4:5]
	v_mov_b32_e32 v3, v1
.LBB109_72:                             ; =>This Inner Loop Header: Depth=1
	s_load_dwordx8 s[8:15], s[6:7], 0x4
	s_load_dwordx4 s[16:19], s[6:7], 0x24
	s_load_dwordx4 s[20:23], s[2:3], 0x0
	s_add_u32 s6, s6, 48
	s_addc_u32 s7, s7, 0
	s_waitcnt lgkmcnt(0)
	v_mul_hi_u32 v5, s9, v3
	v_add_u32_e32 v5, v3, v5
	v_lshrrev_b32_e32 v5, s10, v5
	v_mul_lo_u32 v7, v5, s8
	v_mul_hi_u32 v9, s12, v5
	v_sub_u32_e32 v3, v3, v7
	v_add_u32_e32 v7, v5, v9
	v_lshrrev_b32_e32 v7, s13, v7
	v_mul_lo_u32 v9, v7, s11
	v_mul_hi_u32 v10, s15, v7
	v_sub_u32_e32 v5, v5, v9
	v_add_u32_e32 v9, v7, v10
	v_mul_lo_u32 v3, v3, s20
	v_mul_lo_u32 v5, v5, s21
	v_lshrrev_b32_e32 v9, s16, v9
	v_add3_u32 v5, v3, v8, v5
	v_mul_lo_u32 v3, v9, s14
	v_mul_hi_u32 v8, s18, v9
	v_sub_u32_e32 v3, v7, v3
	v_add_u32_e32 v7, v9, v8
	v_mul_lo_u32 v8, v3, s22
	v_lshrrev_b32_e32 v3, s19, v7
	s_add_i32 s26, s26, 4
	v_mul_lo_u32 v7, v3, s17
	s_add_u32 s2, s2, 16
	v_sub_u32_e32 v7, v9, v7
	s_addc_u32 s3, s3, 0
	v_mul_lo_u32 v7, v7, s23
	s_cmp_lg_u32 s24, s26
	v_add3_u32 v8, v8, v5, v7
	s_cbranch_scc1 .LBB109_72
; %bb.73:
	s_and_b32 s8, s25, 3
	s_cmp_eq_u32 s8, 0
	s_cbranch_scc0 .LBB109_76
	s_branch .LBB109_78
.LBB109_74:
                                        ; implicit-def: $vgpr8
	s_branch .LBB109_79
.LBB109_75:
	v_mov_b32_e32 v3, v1
	s_and_b32 s8, s25, 3
	s_cmp_eq_u32 s8, 0
	s_cbranch_scc1 .LBB109_78
.LBB109_76:
	s_lshl_b32 s2, s24, 2
	s_add_u32 s2, s2, s4
	s_addc_u32 s3, 0, s5
	s_add_u32 s2, s2, 0xc4
	s_addc_u32 s3, s3, 0
	s_mul_i32 s6, s24, 12
	s_add_u32 s6, s4, s6
	s_addc_u32 s7, 0, s5
.LBB109_77:                             ; =>This Inner Loop Header: Depth=1
	s_load_dwordx2 s[10:11], s[6:7], 0x4
	s_load_dword s9, s[6:7], 0xc
	s_load_dword s12, s[2:3], 0x0
	s_add_u32 s6, s6, 12
	s_addc_u32 s7, s7, 0
	s_waitcnt lgkmcnt(0)
	v_mul_hi_u32 v5, s11, v3
	v_add_u32_e32 v5, v3, v5
	v_lshrrev_b32_e32 v5, s9, v5
	s_add_u32 s2, s2, 4
	v_mul_lo_u32 v7, v5, s10
	s_addc_u32 s3, s3, 0
	s_add_i32 s8, s8, -1
	v_sub_u32_e32 v7, v3, v7
	s_cmp_lg_u32 s8, 0
	v_mov_b32_e32 v3, v5
	v_mad_u64_u32 v[8:9], s[10:11], v7, s12, v[8:9]
	s_cbranch_scc1 .LBB109_77
.LBB109_78:
	s_cbranch_execnz .LBB109_81
.LBB109_79:
	s_load_dwordx4 s[8:11], s[4:5], 0x4
	s_load_dword s2, s[4:5], 0xc4
	s_cmp_lt_u32 s33, 2
	s_waitcnt lgkmcnt(0)
	v_mul_hi_u32 v3, s9, v1
	v_add_u32_e32 v3, v1, v3
	v_lshrrev_b32_e32 v3, s10, v3
	v_mul_lo_u32 v5, v3, s8
	v_sub_u32_e32 v1, v1, v5
	v_mul_lo_u32 v8, v1, s2
	s_cbranch_scc1 .LBB109_81
; %bb.80:
	s_load_dwordx4 s[8:11], s[4:5], 0x10
	s_load_dword s2, s[4:5], 0xc8
	s_waitcnt lgkmcnt(0)
	v_mul_hi_u32 v1, s9, v3
	v_add_u32_e32 v1, v3, v1
	v_lshrrev_b32_e32 v1, s10, v1
	v_mul_lo_u32 v1, v1, s8
	v_sub_u32_e32 v1, v3, v1
	v_mad_u64_u32 v[8:9], s[2:3], v1, s2, v[8:9]
.LBB109_81:
	s_and_b64 vcc, exec, s[0:1]
	v_add_u32_e32 v1, 0x280, v12
	s_cbranch_vccnz .LBB109_87
; %bb.82:
	s_mov_b32 s24, 0
	s_cmp_eq_u32 s33, 0
	v_mov_b32_e32 v10, 0
	s_cbranch_scc1 .LBB109_91
; %bb.83:
	s_min_u32 s25, s46, 15
	s_add_i32 s25, s25, 1
	s_cmp_eq_u32 s46, 2
	v_mov_b32_e32 v10, 0
	s_cbranch_scc1 .LBB109_88
; %bb.84:
	s_add_u32 s2, s4, 0xc4
	s_addc_u32 s3, s5, 0
	s_and_b32 s24, s25, 28
	s_mov_b32 s26, 0
	v_mov_b32_e32 v10, 0
	s_mov_b64 s[6:7], s[4:5]
	v_mov_b32_e32 v3, v1
.LBB109_85:                             ; =>This Inner Loop Header: Depth=1
	s_load_dwordx8 s[8:15], s[6:7], 0x4
	s_load_dwordx4 s[16:19], s[6:7], 0x24
	s_load_dwordx4 s[20:23], s[2:3], 0x0
	s_add_u32 s6, s6, 48
	s_addc_u32 s7, s7, 0
	s_waitcnt lgkmcnt(0)
	v_mul_hi_u32 v5, s9, v3
	v_add_u32_e32 v5, v3, v5
	v_lshrrev_b32_e32 v5, s10, v5
	v_mul_lo_u32 v7, v5, s8
	v_mul_hi_u32 v9, s12, v5
	v_sub_u32_e32 v3, v3, v7
	v_add_u32_e32 v7, v5, v9
	v_lshrrev_b32_e32 v7, s13, v7
	v_mul_lo_u32 v9, v7, s11
	v_mul_hi_u32 v11, s15, v7
	v_sub_u32_e32 v5, v5, v9
	v_add_u32_e32 v9, v7, v11
	v_mul_lo_u32 v3, v3, s20
	v_mul_lo_u32 v5, v5, s21
	v_lshrrev_b32_e32 v9, s16, v9
	v_add3_u32 v5, v3, v10, v5
	v_mul_lo_u32 v3, v9, s14
	v_mul_hi_u32 v10, s18, v9
	v_sub_u32_e32 v3, v7, v3
	v_add_u32_e32 v7, v9, v10
	v_mul_lo_u32 v10, v3, s22
	v_lshrrev_b32_e32 v3, s19, v7
	s_add_i32 s26, s26, 4
	v_mul_lo_u32 v7, v3, s17
	s_add_u32 s2, s2, 16
	v_sub_u32_e32 v7, v9, v7
	s_addc_u32 s3, s3, 0
	v_mul_lo_u32 v7, v7, s23
	s_cmp_lg_u32 s24, s26
	v_add3_u32 v10, v10, v5, v7
	s_cbranch_scc1 .LBB109_85
; %bb.86:
	s_and_b32 s8, s25, 3
	s_cmp_eq_u32 s8, 0
	s_cbranch_scc0 .LBB109_89
	s_branch .LBB109_91
.LBB109_87:
                                        ; implicit-def: $vgpr10
	s_branch .LBB109_92
.LBB109_88:
	v_mov_b32_e32 v3, v1
	s_and_b32 s8, s25, 3
	s_cmp_eq_u32 s8, 0
	s_cbranch_scc1 .LBB109_91
.LBB109_89:
	s_lshl_b32 s2, s24, 2
	s_add_u32 s2, s2, s4
	s_addc_u32 s3, 0, s5
	s_add_u32 s2, s2, 0xc4
	s_addc_u32 s3, s3, 0
	s_mul_i32 s6, s24, 12
	s_add_u32 s6, s4, s6
	s_addc_u32 s7, 0, s5
.LBB109_90:                             ; =>This Inner Loop Header: Depth=1
	s_load_dwordx2 s[10:11], s[6:7], 0x4
	s_load_dword s9, s[6:7], 0xc
	s_load_dword s12, s[2:3], 0x0
	s_add_u32 s6, s6, 12
	s_addc_u32 s7, s7, 0
	s_waitcnt lgkmcnt(0)
	v_mul_hi_u32 v5, s11, v3
	v_add_u32_e32 v5, v3, v5
	v_lshrrev_b32_e32 v5, s9, v5
	s_add_u32 s2, s2, 4
	v_mul_lo_u32 v7, v5, s10
	s_addc_u32 s3, s3, 0
	s_add_i32 s8, s8, -1
	v_sub_u32_e32 v7, v3, v7
	s_cmp_lg_u32 s8, 0
	v_mov_b32_e32 v3, v5
	v_mad_u64_u32 v[10:11], s[10:11], v7, s12, v[10:11]
	s_cbranch_scc1 .LBB109_90
.LBB109_91:
	s_cbranch_execnz .LBB109_94
.LBB109_92:
	s_load_dwordx4 s[8:11], s[4:5], 0x4
	s_load_dword s2, s[4:5], 0xc4
	s_cmp_lt_u32 s33, 2
	s_waitcnt lgkmcnt(0)
	v_mul_hi_u32 v3, s9, v1
	v_add_u32_e32 v3, v1, v3
	v_lshrrev_b32_e32 v3, s10, v3
	v_mul_lo_u32 v5, v3, s8
	v_sub_u32_e32 v1, v1, v5
	v_mul_lo_u32 v10, v1, s2
	s_cbranch_scc1 .LBB109_94
; %bb.93:
	s_load_dwordx4 s[8:11], s[4:5], 0x10
	s_load_dword s2, s[4:5], 0xc8
	s_waitcnt lgkmcnt(0)
	v_mul_hi_u32 v1, s9, v3
	v_add_u32_e32 v1, v3, v1
	v_lshrrev_b32_e32 v1, s10, v1
	v_mul_lo_u32 v1, v1, s8
	v_sub_u32_e32 v1, v3, v1
	v_mad_u64_u32 v[10:11], s[2:3], v1, s2, v[10:11]
.LBB109_94:
	s_and_b64 vcc, exec, s[0:1]
	v_add_u32_e32 v1, 0x300, v12
	s_cbranch_vccnz .LBB109_100
; %bb.95:
	s_mov_b32 s24, 0
	s_cmp_eq_u32 s33, 0
	v_mov_b32_e32 v12, 0
	s_cbranch_scc1 .LBB109_104
; %bb.96:
	s_min_u32 s25, s46, 15
	s_add_i32 s25, s25, 1
	s_cmp_eq_u32 s46, 2
	v_mov_b32_e32 v12, 0
	s_cbranch_scc1 .LBB109_101
; %bb.97:
	s_add_u32 s2, s4, 0xc4
	s_addc_u32 s3, s5, 0
	s_and_b32 s24, s25, 28
	s_mov_b32 s26, 0
	v_mov_b32_e32 v12, 0
	s_mov_b64 s[6:7], s[4:5]
	v_mov_b32_e32 v3, v1
.LBB109_98:                             ; =>This Inner Loop Header: Depth=1
	s_load_dwordx8 s[8:15], s[6:7], 0x4
	s_load_dwordx4 s[16:19], s[6:7], 0x24
	s_load_dwordx4 s[20:23], s[2:3], 0x0
	s_add_u32 s6, s6, 48
	s_addc_u32 s7, s7, 0
	s_waitcnt lgkmcnt(0)
	v_mul_hi_u32 v5, s9, v3
	v_add_u32_e32 v5, v3, v5
	v_lshrrev_b32_e32 v5, s10, v5
	v_mul_lo_u32 v7, v5, s8
	v_mul_hi_u32 v9, s12, v5
	v_sub_u32_e32 v3, v3, v7
	v_add_u32_e32 v7, v5, v9
	v_lshrrev_b32_e32 v7, s13, v7
	v_mul_lo_u32 v9, v7, s11
	v_mul_hi_u32 v11, s15, v7
	v_sub_u32_e32 v5, v5, v9
	v_add_u32_e32 v9, v7, v11
	v_mul_lo_u32 v3, v3, s20
	v_mul_lo_u32 v5, v5, s21
	v_lshrrev_b32_e32 v9, s16, v9
	v_add3_u32 v5, v3, v12, v5
	v_mul_lo_u32 v3, v9, s14
	v_mul_hi_u32 v11, s18, v9
	v_sub_u32_e32 v3, v7, v3
	v_add_u32_e32 v7, v9, v11
	v_mul_lo_u32 v11, v3, s22
	v_lshrrev_b32_e32 v3, s19, v7
	s_add_i32 s26, s26, 4
	v_mul_lo_u32 v7, v3, s17
	s_add_u32 s2, s2, 16
	v_sub_u32_e32 v7, v9, v7
	s_addc_u32 s3, s3, 0
	v_mul_lo_u32 v7, v7, s23
	s_cmp_lg_u32 s24, s26
	v_add3_u32 v12, v11, v5, v7
	s_cbranch_scc1 .LBB109_98
; %bb.99:
	s_and_b32 s8, s25, 3
	s_cmp_eq_u32 s8, 0
	s_cbranch_scc0 .LBB109_102
	s_branch .LBB109_104
.LBB109_100:
                                        ; implicit-def: $vgpr12
	s_branch .LBB109_105
.LBB109_101:
	v_mov_b32_e32 v3, v1
	s_and_b32 s8, s25, 3
	s_cmp_eq_u32 s8, 0
	s_cbranch_scc1 .LBB109_104
.LBB109_102:
	s_lshl_b32 s2, s24, 2
	s_add_u32 s2, s2, s4
	s_addc_u32 s3, 0, s5
	s_add_u32 s2, s2, 0xc4
	s_addc_u32 s3, s3, 0
	s_mul_i32 s6, s24, 12
	s_add_u32 s6, s4, s6
	s_addc_u32 s7, 0, s5
.LBB109_103:                            ; =>This Inner Loop Header: Depth=1
	s_load_dwordx2 s[10:11], s[6:7], 0x4
	s_load_dword s9, s[6:7], 0xc
	s_load_dword s12, s[2:3], 0x0
	s_add_u32 s6, s6, 12
	s_addc_u32 s7, s7, 0
	s_waitcnt lgkmcnt(0)
	v_mul_hi_u32 v5, s11, v3
	v_add_u32_e32 v5, v3, v5
	v_lshrrev_b32_e32 v5, s9, v5
	s_add_u32 s2, s2, 4
	v_mul_lo_u32 v7, v5, s10
	s_addc_u32 s3, s3, 0
	s_add_i32 s8, s8, -1
	v_sub_u32_e32 v7, v3, v7
	s_cmp_lg_u32 s8, 0
	v_mov_b32_e32 v3, v5
	v_mad_u64_u32 v[12:13], s[10:11], v7, s12, v[12:13]
	s_cbranch_scc1 .LBB109_103
.LBB109_104:
	s_cbranch_execnz .LBB109_107
.LBB109_105:
	s_load_dwordx4 s[8:11], s[4:5], 0x4
	s_load_dword s2, s[4:5], 0xc4
	s_cmp_lt_u32 s33, 2
	s_waitcnt lgkmcnt(0)
	v_mul_hi_u32 v3, s9, v1
	v_add_u32_e32 v3, v1, v3
	v_lshrrev_b32_e32 v3, s10, v3
	v_mul_lo_u32 v5, v3, s8
	v_sub_u32_e32 v1, v1, v5
	v_mul_lo_u32 v12, v1, s2
	s_cbranch_scc1 .LBB109_107
; %bb.106:
	s_load_dwordx4 s[8:11], s[4:5], 0x10
	s_load_dword s2, s[4:5], 0xc8
	s_waitcnt lgkmcnt(0)
	v_mul_hi_u32 v1, s9, v3
	v_add_u32_e32 v1, v3, v1
	v_lshrrev_b32_e32 v1, s10, v1
	v_mul_lo_u32 v1, v1, s8
	v_sub_u32_e32 v1, v3, v1
	v_mad_u64_u32 v[12:13], s[2:3], v1, s2, v[12:13]
.LBB109_107:
	s_and_b64 vcc, exec, s[0:1]
	s_cbranch_vccnz .LBB109_113
; %bb.108:
	s_mov_b32 s22, 0
	s_cmp_eq_u32 s33, 0
	v_mov_b32_e32 v14, 0
	s_cbranch_scc1 .LBB109_117
; %bb.109:
	s_min_u32 s23, s46, 15
	s_add_i32 s23, s23, 1
	s_cmp_eq_u32 s46, 2
	v_mov_b32_e32 v14, 0
	s_cbranch_scc1 .LBB109_114
; %bb.110:
	s_add_u32 s6, s4, 0xc4
	s_addc_u32 s7, s5, 0
	s_and_b32 s22, s23, 28
	s_mov_b32 s24, 0
	v_mov_b32_e32 v14, 0
	s_mov_b64 s[20:21], s[4:5]
	v_mov_b32_e32 v1, v16
.LBB109_111:                            ; =>This Inner Loop Header: Depth=1
	s_load_dwordx8 s[8:15], s[20:21], 0x4
	s_load_dwordx4 s[0:3], s[20:21], 0x24
	s_load_dwordx4 s[16:19], s[6:7], 0x0
	s_add_u32 s20, s20, 48
	s_addc_u32 s21, s21, 0
	s_waitcnt lgkmcnt(0)
	v_mul_hi_u32 v3, s9, v1
	v_add_u32_e32 v3, v1, v3
	v_lshrrev_b32_e32 v3, s10, v3
	v_mul_lo_u32 v5, v3, s8
	v_mul_hi_u32 v7, s12, v3
	v_sub_u32_e32 v1, v1, v5
	v_add_u32_e32 v5, v3, v7
	v_lshrrev_b32_e32 v5, s13, v5
	v_mul_lo_u32 v7, v5, s11
	v_mul_hi_u32 v9, s15, v5
	v_sub_u32_e32 v3, v3, v7
	v_add_u32_e32 v7, v5, v9
	v_mul_lo_u32 v1, v1, s16
	v_mul_lo_u32 v3, v3, s17
	v_lshrrev_b32_e32 v7, s0, v7
	v_add3_u32 v3, v1, v14, v3
	v_mul_lo_u32 v1, v7, s14
	v_mul_hi_u32 v9, s2, v7
	v_sub_u32_e32 v1, v5, v1
	v_add_u32_e32 v5, v7, v9
	v_mul_lo_u32 v9, v1, s18
	v_lshrrev_b32_e32 v1, s3, v5
	s_add_i32 s24, s24, 4
	v_mul_lo_u32 v5, v1, s1
	s_add_u32 s6, s6, 16
	v_sub_u32_e32 v5, v7, v5
	s_addc_u32 s7, s7, 0
	v_mul_lo_u32 v5, v5, s19
	s_cmp_lg_u32 s22, s24
	v_add3_u32 v14, v9, v3, v5
	s_cbranch_scc1 .LBB109_111
; %bb.112:
	s_and_b32 s6, s23, 3
	s_cmp_eq_u32 s6, 0
	s_cbranch_scc0 .LBB109_115
	s_branch .LBB109_117
.LBB109_113:
                                        ; implicit-def: $vgpr14
	s_branch .LBB109_118
.LBB109_114:
	v_mov_b32_e32 v1, v16
	s_and_b32 s6, s23, 3
	s_cmp_eq_u32 s6, 0
	s_cbranch_scc1 .LBB109_117
.LBB109_115:
	s_lshl_b32 s0, s22, 2
	s_add_u32 s0, s0, s4
	s_addc_u32 s1, 0, s5
	s_add_u32 s0, s0, 0xc4
	s_addc_u32 s1, s1, 0
	s_mul_i32 s2, s22, 12
	s_add_u32 s2, s4, s2
	s_addc_u32 s3, 0, s5
.LBB109_116:                            ; =>This Inner Loop Header: Depth=1
	s_load_dwordx2 s[8:9], s[2:3], 0x4
	s_load_dword s7, s[2:3], 0xc
	s_load_dword s10, s[0:1], 0x0
	s_add_u32 s2, s2, 12
	s_addc_u32 s3, s3, 0
	s_waitcnt lgkmcnt(0)
	v_mul_hi_u32 v3, s9, v1
	v_add_u32_e32 v3, v1, v3
	v_lshrrev_b32_e32 v3, s7, v3
	s_add_u32 s0, s0, 4
	v_mul_lo_u32 v5, v3, s8
	s_addc_u32 s1, s1, 0
	s_add_i32 s6, s6, -1
	v_sub_u32_e32 v5, v1, v5
	s_cmp_lg_u32 s6, 0
	v_mov_b32_e32 v1, v3
	v_mad_u64_u32 v[14:15], s[8:9], v5, s10, v[14:15]
	s_cbranch_scc1 .LBB109_116
.LBB109_117:
	s_cbranch_execnz .LBB109_120
.LBB109_118:
	s_load_dwordx4 s[0:3], s[4:5], 0x4
	s_waitcnt lgkmcnt(0)
	s_load_dword s3, s[4:5], 0xc4
	s_cmp_lt_u32 s33, 2
	v_mul_hi_u32 v1, s1, v16
	v_add_u32_e32 v1, v16, v1
	v_lshrrev_b32_e32 v1, s2, v1
	v_mul_lo_u32 v3, v1, s0
	v_sub_u32_e32 v3, v16, v3
	s_waitcnt lgkmcnt(0)
	v_mul_lo_u32 v14, v3, s3
	s_cbranch_scc1 .LBB109_120
; %bb.119:
	s_load_dwordx4 s[0:3], s[4:5], 0x10
	s_waitcnt lgkmcnt(0)
	s_load_dword s3, s[4:5], 0xc8
	v_mul_hi_u32 v3, s1, v1
	v_add_u32_e32 v3, v1, v3
	v_lshrrev_b32_e32 v3, s2, v3
	v_mul_lo_u32 v3, v3, s0
	v_sub_u32_e32 v1, v1, v3
	s_waitcnt lgkmcnt(0)
	v_mad_u64_u32 v[14:15], s[0:1], v1, s3, v[14:15]
.LBB109_120:
	s_load_dword s2, s[4:5], 0x110
	s_load_dwordx2 s[0:1], s[4:5], 0x108
	s_waitcnt lgkmcnt(0)
	v_mov_b32_e32 v1, s2
	s_nop 0
	global_store_short v0, v1, s[0:1]
	global_store_short v2, v1, s[0:1]
	;; [unrolled: 1-line block ×8, first 2 shown]
	s_endpgm
.LBB109_121:
	v_mov_b32_e32 v0, 0
	s_branch .LBB109_127
.LBB109_122:
	v_mov_b32_e32 v0, 0
	s_branch .LBB109_143
.LBB109_123:
	v_mov_b32_e32 v2, v12
.LBB109_124:
	s_and_b32 s12, s51, 3
	s_cmp_eq_u32 s12, 0
	s_cbranch_scc1 .LBB109_127
; %bb.125:
	s_lshl_b32 s8, s50, 2
	s_add_u32 s8, s8, s4
	s_addc_u32 s9, s5, 0
	s_add_u32 s8, s8, 0xc4
	s_addc_u32 s9, s9, 0
	s_mul_i32 s10, s50, 12
	s_add_u32 s10, s4, s10
	s_addc_u32 s11, s5, 0
.LBB109_126:                            ; =>This Inner Loop Header: Depth=1
	s_load_dwordx2 s[14:15], s[10:11], 0x4
	s_load_dword s13, s[10:11], 0xc
	s_load_dword s16, s[8:9], 0x0
	s_add_u32 s10, s10, 12
	s_addc_u32 s11, s11, 0
	s_waitcnt lgkmcnt(0)
	v_mul_hi_u32 v1, s15, v2
	v_add_u32_e32 v1, v2, v1
	v_lshrrev_b32_e32 v1, s13, v1
	s_add_u32 s8, s8, 4
	v_mul_lo_u32 v3, v1, s14
	s_addc_u32 s9, s9, 0
	s_add_i32 s12, s12, -1
	v_sub_u32_e32 v3, v2, v3
	s_cmp_lg_u32 s12, 0
	v_mov_b32_e32 v2, v1
	v_mad_u64_u32 v[0:1], s[14:15], v3, s16, v[0:1]
	s_cbranch_scc1 .LBB109_126
.LBB109_127:
	s_cbranch_execnz .LBB109_130
.LBB109_128:
	s_waitcnt lgkmcnt(0)
	v_mul_hi_u32 v0, s1, v12
	v_add_u32_e32 v0, v12, v0
	v_lshrrev_b32_e32 v1, s2, v0
	v_mul_lo_u32 v0, v1, s0
	v_sub_u32_e32 v0, v12, v0
	s_andn2_b64 vcc, exec, s[34:35]
	v_mul_lo_u32 v0, v0, s28
	s_cbranch_vccnz .LBB109_130
; %bb.129:
	v_mul_hi_u32 v2, s30, v1
	v_add_u32_e32 v2, v1, v2
	v_lshrrev_b32_e32 v2, s31, v2
	v_mul_lo_u32 v2, v2, s3
	v_sub_u32_e32 v1, v1, v2
	v_mad_u64_u32 v[0:1], s[8:9], v1, s29, v[0:1]
.LBB109_130:
	s_waitcnt lgkmcnt(0)
	v_mov_b32_e32 v1, s47
	v_add_u32_e32 v12, 0x80, v12
	global_store_short v0, v1, s[26:27]
	s_or_b64 exec, exec, s[40:41]
	v_cmp_gt_i32_e32 vcc, s48, v12
	s_and_saveexec_b64 s[40:41], vcc
	s_cbranch_execnz .LBB109_15
.LBB109_131:
	s_or_b64 exec, exec, s[40:41]
	v_cmp_gt_i32_e32 vcc, s48, v12
	s_and_saveexec_b64 s[40:41], vcc
	s_cbranch_execz .LBB109_147
.LBB109_132:
	s_andn2_b64 vcc, exec, s[6:7]
	s_cbranch_vccnz .LBB109_137
; %bb.133:
	s_andn2_b64 vcc, exec, s[38:39]
	s_cbranch_vccnz .LBB109_138
; %bb.134:
	s_add_i32 s51, s49, 1
	s_mov_b32 s50, 0
	s_cmp_eq_u32 s46, 2
	v_mov_b32_e32 v0, 0
	s_cbranch_scc1 .LBB109_155
; %bb.135:
	s_and_b32 s50, s51, 28
	s_mov_b32 s52, 0
	v_mov_b32_e32 v0, 0
	s_mov_b64 s[42:43], s[4:5]
	s_mov_b64 s[44:45], s[36:37]
	v_mov_b32_e32 v2, v12
.LBB109_136:                            ; =>This Inner Loop Header: Depth=1
	s_load_dwordx8 s[8:15], s[42:43], 0x4
	s_load_dwordx4 s[16:19], s[42:43], 0x24
	s_load_dwordx4 s[20:23], s[44:45], 0x0
	s_add_u32 s42, s42, 48
	s_addc_u32 s43, s43, 0
	s_waitcnt lgkmcnt(0)
	v_mul_hi_u32 v1, s9, v2
	v_add_u32_e32 v1, v2, v1
	v_lshrrev_b32_e32 v1, s10, v1
	v_mul_lo_u32 v3, v1, s8
	v_mul_hi_u32 v4, s12, v1
	v_sub_u32_e32 v2, v2, v3
	v_add_u32_e32 v3, v1, v4
	v_lshrrev_b32_e32 v3, s13, v3
	v_mul_lo_u32 v4, v3, s11
	v_mul_hi_u32 v5, s15, v3
	v_sub_u32_e32 v1, v1, v4
	v_add_u32_e32 v4, v3, v5
	v_mul_lo_u32 v2, v2, s20
	v_mul_lo_u32 v1, v1, s21
	v_lshrrev_b32_e32 v4, s16, v4
	v_add3_u32 v0, v2, v0, v1
	v_mul_hi_u32 v2, s18, v4
	v_add_u32_e32 v2, v4, v2
	v_mul_lo_u32 v1, v4, s14
	v_lshrrev_b32_e32 v2, s19, v2
	s_add_i32 s52, s52, 4
	v_sub_u32_e32 v1, v3, v1
	v_mul_lo_u32 v3, v2, s17
	s_add_u32 s44, s44, 16
	v_sub_u32_e32 v3, v4, v3
	s_addc_u32 s45, s45, 0
	v_mul_lo_u32 v1, v1, s22
	v_mul_lo_u32 v3, v3, s23
	s_cmp_eq_u32 s50, s52
	v_add3_u32 v0, v1, v0, v3
	s_cbranch_scc0 .LBB109_136
	s_branch .LBB109_156
.LBB109_137:
                                        ; implicit-def: $vgpr0
	s_branch .LBB109_160
.LBB109_138:
	v_mov_b32_e32 v0, 0
	s_branch .LBB109_159
.LBB109_139:
	v_mov_b32_e32 v2, v12
.LBB109_140:
	s_and_b32 s12, s51, 3
	s_cmp_eq_u32 s12, 0
	s_cbranch_scc1 .LBB109_143
; %bb.141:
	s_lshl_b32 s8, s50, 2
	s_add_u32 s8, s8, s4
	s_addc_u32 s9, s5, 0
	s_add_u32 s8, s8, 0xc4
	s_addc_u32 s9, s9, 0
	s_mul_i32 s10, s50, 12
	s_add_u32 s10, s4, s10
	s_addc_u32 s11, s5, 0
.LBB109_142:                            ; =>This Inner Loop Header: Depth=1
	s_load_dwordx2 s[14:15], s[10:11], 0x4
	s_load_dword s13, s[10:11], 0xc
	s_load_dword s16, s[8:9], 0x0
	s_add_u32 s10, s10, 12
	s_addc_u32 s11, s11, 0
	s_waitcnt lgkmcnt(0)
	v_mul_hi_u32 v1, s15, v2
	v_add_u32_e32 v1, v2, v1
	v_lshrrev_b32_e32 v1, s13, v1
	s_add_u32 s8, s8, 4
	v_mul_lo_u32 v3, v1, s14
	s_addc_u32 s9, s9, 0
	s_add_i32 s12, s12, -1
	v_sub_u32_e32 v3, v2, v3
	s_cmp_lg_u32 s12, 0
	v_mov_b32_e32 v2, v1
	v_mad_u64_u32 v[0:1], s[14:15], v3, s16, v[0:1]
	s_cbranch_scc1 .LBB109_142
.LBB109_143:
	s_cbranch_execnz .LBB109_146
.LBB109_144:
	s_waitcnt lgkmcnt(0)
	v_mul_hi_u32 v0, s1, v12
	v_add_u32_e32 v0, v12, v0
	v_lshrrev_b32_e32 v1, s2, v0
	v_mul_lo_u32 v0, v1, s0
	v_sub_u32_e32 v0, v12, v0
	s_andn2_b64 vcc, exec, s[34:35]
	v_mul_lo_u32 v0, v0, s28
	s_cbranch_vccnz .LBB109_146
; %bb.145:
	v_mul_hi_u32 v2, s30, v1
	v_add_u32_e32 v2, v1, v2
	v_lshrrev_b32_e32 v2, s31, v2
	v_mul_lo_u32 v2, v2, s3
	v_sub_u32_e32 v1, v1, v2
	v_mad_u64_u32 v[0:1], s[8:9], v1, s29, v[0:1]
.LBB109_146:
	s_waitcnt lgkmcnt(0)
	v_mov_b32_e32 v1, s47
	v_add_u32_e32 v12, 0x80, v12
	global_store_short v0, v1, s[26:27]
	s_or_b64 exec, exec, s[40:41]
	v_cmp_gt_i32_e32 vcc, s48, v12
	s_and_saveexec_b64 s[40:41], vcc
	s_cbranch_execnz .LBB109_132
.LBB109_147:
	s_or_b64 exec, exec, s[40:41]
	v_cmp_gt_i32_e32 vcc, s48, v12
	s_and_saveexec_b64 s[40:41], vcc
	s_cbranch_execz .LBB109_163
.LBB109_148:
	s_andn2_b64 vcc, exec, s[6:7]
	s_cbranch_vccnz .LBB109_153
; %bb.149:
	s_andn2_b64 vcc, exec, s[38:39]
	s_cbranch_vccnz .LBB109_154
; %bb.150:
	s_add_i32 s51, s49, 1
	s_mov_b32 s50, 0
	s_cmp_eq_u32 s46, 2
	v_mov_b32_e32 v0, 0
	s_cbranch_scc1 .LBB109_171
; %bb.151:
	s_and_b32 s50, s51, 28
	s_mov_b32 s52, 0
	v_mov_b32_e32 v0, 0
	s_mov_b64 s[42:43], s[4:5]
	s_mov_b64 s[44:45], s[36:37]
	v_mov_b32_e32 v2, v12
.LBB109_152:                            ; =>This Inner Loop Header: Depth=1
	s_load_dwordx8 s[8:15], s[42:43], 0x4
	s_load_dwordx4 s[16:19], s[42:43], 0x24
	s_load_dwordx4 s[20:23], s[44:45], 0x0
	s_add_u32 s42, s42, 48
	s_addc_u32 s43, s43, 0
	s_waitcnt lgkmcnt(0)
	v_mul_hi_u32 v1, s9, v2
	v_add_u32_e32 v1, v2, v1
	v_lshrrev_b32_e32 v1, s10, v1
	v_mul_lo_u32 v3, v1, s8
	v_mul_hi_u32 v4, s12, v1
	v_sub_u32_e32 v2, v2, v3
	v_add_u32_e32 v3, v1, v4
	v_lshrrev_b32_e32 v3, s13, v3
	v_mul_lo_u32 v4, v3, s11
	v_mul_hi_u32 v5, s15, v3
	v_sub_u32_e32 v1, v1, v4
	v_add_u32_e32 v4, v3, v5
	v_mul_lo_u32 v2, v2, s20
	v_mul_lo_u32 v1, v1, s21
	v_lshrrev_b32_e32 v4, s16, v4
	v_add3_u32 v0, v2, v0, v1
	v_mul_hi_u32 v2, s18, v4
	v_add_u32_e32 v2, v4, v2
	v_mul_lo_u32 v1, v4, s14
	v_lshrrev_b32_e32 v2, s19, v2
	s_add_i32 s52, s52, 4
	v_sub_u32_e32 v1, v3, v1
	v_mul_lo_u32 v3, v2, s17
	s_add_u32 s44, s44, 16
	v_sub_u32_e32 v3, v4, v3
	s_addc_u32 s45, s45, 0
	v_mul_lo_u32 v1, v1, s22
	v_mul_lo_u32 v3, v3, s23
	s_cmp_eq_u32 s50, s52
	v_add3_u32 v0, v1, v0, v3
	s_cbranch_scc0 .LBB109_152
	s_branch .LBB109_172
.LBB109_153:
                                        ; implicit-def: $vgpr0
	s_branch .LBB109_176
.LBB109_154:
	v_mov_b32_e32 v0, 0
	s_branch .LBB109_175
.LBB109_155:
	v_mov_b32_e32 v2, v12
.LBB109_156:
	s_and_b32 s12, s51, 3
	s_cmp_eq_u32 s12, 0
	s_cbranch_scc1 .LBB109_159
; %bb.157:
	s_lshl_b32 s8, s50, 2
	s_add_u32 s8, s8, s4
	s_addc_u32 s9, s5, 0
	s_add_u32 s8, s8, 0xc4
	s_addc_u32 s9, s9, 0
	s_mul_i32 s10, s50, 12
	s_add_u32 s10, s4, s10
	s_addc_u32 s11, s5, 0
.LBB109_158:                            ; =>This Inner Loop Header: Depth=1
	s_load_dwordx2 s[14:15], s[10:11], 0x4
	s_load_dword s13, s[10:11], 0xc
	s_load_dword s16, s[8:9], 0x0
	s_add_u32 s10, s10, 12
	s_addc_u32 s11, s11, 0
	s_waitcnt lgkmcnt(0)
	v_mul_hi_u32 v1, s15, v2
	v_add_u32_e32 v1, v2, v1
	v_lshrrev_b32_e32 v1, s13, v1
	s_add_u32 s8, s8, 4
	v_mul_lo_u32 v3, v1, s14
	s_addc_u32 s9, s9, 0
	s_add_i32 s12, s12, -1
	v_sub_u32_e32 v3, v2, v3
	s_cmp_lg_u32 s12, 0
	v_mov_b32_e32 v2, v1
	v_mad_u64_u32 v[0:1], s[14:15], v3, s16, v[0:1]
	s_cbranch_scc1 .LBB109_158
.LBB109_159:
	s_cbranch_execnz .LBB109_162
.LBB109_160:
	s_waitcnt lgkmcnt(0)
	v_mul_hi_u32 v0, s1, v12
	v_add_u32_e32 v0, v12, v0
	v_lshrrev_b32_e32 v1, s2, v0
	v_mul_lo_u32 v0, v1, s0
	v_sub_u32_e32 v0, v12, v0
	s_andn2_b64 vcc, exec, s[34:35]
	v_mul_lo_u32 v0, v0, s28
	s_cbranch_vccnz .LBB109_162
; %bb.161:
	v_mul_hi_u32 v2, s30, v1
	v_add_u32_e32 v2, v1, v2
	v_lshrrev_b32_e32 v2, s31, v2
	v_mul_lo_u32 v2, v2, s3
	v_sub_u32_e32 v1, v1, v2
	v_mad_u64_u32 v[0:1], s[8:9], v1, s29, v[0:1]
.LBB109_162:
	s_waitcnt lgkmcnt(0)
	v_mov_b32_e32 v1, s47
	v_add_u32_e32 v12, 0x80, v12
	global_store_short v0, v1, s[26:27]
	s_or_b64 exec, exec, s[40:41]
	v_cmp_gt_i32_e32 vcc, s48, v12
	s_and_saveexec_b64 s[40:41], vcc
	s_cbranch_execnz .LBB109_148
.LBB109_163:
	s_or_b64 exec, exec, s[40:41]
	v_cmp_gt_i32_e32 vcc, s48, v12
	s_and_saveexec_b64 s[40:41], vcc
	s_cbranch_execz .LBB109_179
.LBB109_164:
	s_andn2_b64 vcc, exec, s[6:7]
	s_cbranch_vccnz .LBB109_169
; %bb.165:
	s_andn2_b64 vcc, exec, s[38:39]
	s_cbranch_vccnz .LBB109_170
; %bb.166:
	s_add_i32 s51, s49, 1
	s_mov_b32 s50, 0
	s_cmp_eq_u32 s46, 2
	v_mov_b32_e32 v0, 0
	s_cbranch_scc1 .LBB109_187
; %bb.167:
	s_and_b32 s50, s51, 28
	s_mov_b32 s52, 0
	v_mov_b32_e32 v0, 0
	s_mov_b64 s[42:43], s[4:5]
	s_mov_b64 s[44:45], s[36:37]
	v_mov_b32_e32 v2, v12
.LBB109_168:                            ; =>This Inner Loop Header: Depth=1
	s_load_dwordx8 s[8:15], s[42:43], 0x4
	s_load_dwordx4 s[16:19], s[42:43], 0x24
	s_load_dwordx4 s[20:23], s[44:45], 0x0
	s_add_u32 s42, s42, 48
	s_addc_u32 s43, s43, 0
	s_waitcnt lgkmcnt(0)
	v_mul_hi_u32 v1, s9, v2
	v_add_u32_e32 v1, v2, v1
	v_lshrrev_b32_e32 v1, s10, v1
	v_mul_lo_u32 v3, v1, s8
	v_mul_hi_u32 v4, s12, v1
	v_sub_u32_e32 v2, v2, v3
	v_add_u32_e32 v3, v1, v4
	v_lshrrev_b32_e32 v3, s13, v3
	v_mul_lo_u32 v4, v3, s11
	v_mul_hi_u32 v5, s15, v3
	v_sub_u32_e32 v1, v1, v4
	v_add_u32_e32 v4, v3, v5
	v_mul_lo_u32 v2, v2, s20
	v_mul_lo_u32 v1, v1, s21
	v_lshrrev_b32_e32 v4, s16, v4
	v_add3_u32 v0, v2, v0, v1
	v_mul_hi_u32 v2, s18, v4
	v_add_u32_e32 v2, v4, v2
	v_mul_lo_u32 v1, v4, s14
	v_lshrrev_b32_e32 v2, s19, v2
	s_add_i32 s52, s52, 4
	v_sub_u32_e32 v1, v3, v1
	v_mul_lo_u32 v3, v2, s17
	s_add_u32 s44, s44, 16
	v_sub_u32_e32 v3, v4, v3
	s_addc_u32 s45, s45, 0
	v_mul_lo_u32 v1, v1, s22
	v_mul_lo_u32 v3, v3, s23
	s_cmp_eq_u32 s50, s52
	v_add3_u32 v0, v1, v0, v3
	s_cbranch_scc0 .LBB109_168
	s_branch .LBB109_188
.LBB109_169:
                                        ; implicit-def: $vgpr0
	s_branch .LBB109_192
.LBB109_170:
	v_mov_b32_e32 v0, 0
	s_branch .LBB109_191
.LBB109_171:
	v_mov_b32_e32 v2, v12
.LBB109_172:
	s_and_b32 s12, s51, 3
	s_cmp_eq_u32 s12, 0
	s_cbranch_scc1 .LBB109_175
; %bb.173:
	s_lshl_b32 s8, s50, 2
	s_add_u32 s8, s8, s4
	s_addc_u32 s9, s5, 0
	s_add_u32 s8, s8, 0xc4
	s_addc_u32 s9, s9, 0
	s_mul_i32 s10, s50, 12
	s_add_u32 s10, s4, s10
	s_addc_u32 s11, s5, 0
.LBB109_174:                            ; =>This Inner Loop Header: Depth=1
	s_load_dwordx2 s[14:15], s[10:11], 0x4
	s_load_dword s13, s[10:11], 0xc
	s_load_dword s16, s[8:9], 0x0
	s_add_u32 s10, s10, 12
	s_addc_u32 s11, s11, 0
	s_waitcnt lgkmcnt(0)
	v_mul_hi_u32 v1, s15, v2
	v_add_u32_e32 v1, v2, v1
	v_lshrrev_b32_e32 v1, s13, v1
	s_add_u32 s8, s8, 4
	v_mul_lo_u32 v3, v1, s14
	s_addc_u32 s9, s9, 0
	s_add_i32 s12, s12, -1
	v_sub_u32_e32 v3, v2, v3
	s_cmp_lg_u32 s12, 0
	v_mov_b32_e32 v2, v1
	v_mad_u64_u32 v[0:1], s[14:15], v3, s16, v[0:1]
	s_cbranch_scc1 .LBB109_174
.LBB109_175:
	s_cbranch_execnz .LBB109_178
.LBB109_176:
	s_waitcnt lgkmcnt(0)
	v_mul_hi_u32 v0, s1, v12
	v_add_u32_e32 v0, v12, v0
	v_lshrrev_b32_e32 v1, s2, v0
	v_mul_lo_u32 v0, v1, s0
	v_sub_u32_e32 v0, v12, v0
	s_andn2_b64 vcc, exec, s[34:35]
	v_mul_lo_u32 v0, v0, s28
	s_cbranch_vccnz .LBB109_178
; %bb.177:
	v_mul_hi_u32 v2, s30, v1
	v_add_u32_e32 v2, v1, v2
	v_lshrrev_b32_e32 v2, s31, v2
	v_mul_lo_u32 v2, v2, s3
	v_sub_u32_e32 v1, v1, v2
	v_mad_u64_u32 v[0:1], s[8:9], v1, s29, v[0:1]
.LBB109_178:
	s_waitcnt lgkmcnt(0)
	v_mov_b32_e32 v1, s47
	v_add_u32_e32 v12, 0x80, v12
	global_store_short v0, v1, s[26:27]
	s_or_b64 exec, exec, s[40:41]
	v_cmp_gt_i32_e32 vcc, s48, v12
	s_and_saveexec_b64 s[40:41], vcc
	s_cbranch_execnz .LBB109_164
.LBB109_179:
	s_or_b64 exec, exec, s[40:41]
	v_cmp_gt_i32_e32 vcc, s48, v12
	s_and_saveexec_b64 s[40:41], vcc
	s_cbranch_execz .LBB109_195
.LBB109_180:
	s_andn2_b64 vcc, exec, s[6:7]
	s_cbranch_vccnz .LBB109_185
; %bb.181:
	s_andn2_b64 vcc, exec, s[38:39]
	s_cbranch_vccnz .LBB109_186
; %bb.182:
	s_add_i32 s51, s49, 1
	s_mov_b32 s50, 0
	s_cmp_eq_u32 s46, 2
	v_mov_b32_e32 v0, 0
	s_cbranch_scc1 .LBB109_203
; %bb.183:
	s_and_b32 s50, s51, 28
	s_mov_b32 s52, 0
	v_mov_b32_e32 v0, 0
	s_mov_b64 s[42:43], s[4:5]
	s_mov_b64 s[44:45], s[36:37]
	v_mov_b32_e32 v2, v12
.LBB109_184:                            ; =>This Inner Loop Header: Depth=1
	s_load_dwordx8 s[8:15], s[42:43], 0x4
	s_load_dwordx4 s[16:19], s[42:43], 0x24
	s_load_dwordx4 s[20:23], s[44:45], 0x0
	s_add_u32 s42, s42, 48
	s_addc_u32 s43, s43, 0
	s_waitcnt lgkmcnt(0)
	v_mul_hi_u32 v1, s9, v2
	v_add_u32_e32 v1, v2, v1
	v_lshrrev_b32_e32 v1, s10, v1
	v_mul_lo_u32 v3, v1, s8
	v_mul_hi_u32 v4, s12, v1
	v_sub_u32_e32 v2, v2, v3
	v_add_u32_e32 v3, v1, v4
	v_lshrrev_b32_e32 v3, s13, v3
	v_mul_lo_u32 v4, v3, s11
	v_mul_hi_u32 v5, s15, v3
	v_sub_u32_e32 v1, v1, v4
	v_add_u32_e32 v4, v3, v5
	v_mul_lo_u32 v2, v2, s20
	v_mul_lo_u32 v1, v1, s21
	v_lshrrev_b32_e32 v4, s16, v4
	v_add3_u32 v0, v2, v0, v1
	v_mul_hi_u32 v2, s18, v4
	v_add_u32_e32 v2, v4, v2
	v_mul_lo_u32 v1, v4, s14
	v_lshrrev_b32_e32 v2, s19, v2
	s_add_i32 s52, s52, 4
	v_sub_u32_e32 v1, v3, v1
	v_mul_lo_u32 v3, v2, s17
	s_add_u32 s44, s44, 16
	v_sub_u32_e32 v3, v4, v3
	s_addc_u32 s45, s45, 0
	v_mul_lo_u32 v1, v1, s22
	v_mul_lo_u32 v3, v3, s23
	s_cmp_eq_u32 s50, s52
	v_add3_u32 v0, v1, v0, v3
	s_cbranch_scc0 .LBB109_184
	s_branch .LBB109_204
.LBB109_185:
                                        ; implicit-def: $vgpr0
	s_branch .LBB109_208
.LBB109_186:
	v_mov_b32_e32 v0, 0
	s_branch .LBB109_207
.LBB109_187:
	v_mov_b32_e32 v2, v12
.LBB109_188:
	s_and_b32 s12, s51, 3
	s_cmp_eq_u32 s12, 0
	s_cbranch_scc1 .LBB109_191
; %bb.189:
	s_lshl_b32 s8, s50, 2
	s_add_u32 s8, s8, s4
	s_addc_u32 s9, s5, 0
	s_add_u32 s8, s8, 0xc4
	s_addc_u32 s9, s9, 0
	s_mul_i32 s10, s50, 12
	s_add_u32 s10, s4, s10
	s_addc_u32 s11, s5, 0
.LBB109_190:                            ; =>This Inner Loop Header: Depth=1
	s_load_dwordx2 s[14:15], s[10:11], 0x4
	s_load_dword s13, s[10:11], 0xc
	s_load_dword s16, s[8:9], 0x0
	s_add_u32 s10, s10, 12
	s_addc_u32 s11, s11, 0
	s_waitcnt lgkmcnt(0)
	v_mul_hi_u32 v1, s15, v2
	v_add_u32_e32 v1, v2, v1
	v_lshrrev_b32_e32 v1, s13, v1
	s_add_u32 s8, s8, 4
	v_mul_lo_u32 v3, v1, s14
	s_addc_u32 s9, s9, 0
	s_add_i32 s12, s12, -1
	v_sub_u32_e32 v3, v2, v3
	s_cmp_lg_u32 s12, 0
	v_mov_b32_e32 v2, v1
	v_mad_u64_u32 v[0:1], s[14:15], v3, s16, v[0:1]
	s_cbranch_scc1 .LBB109_190
.LBB109_191:
	s_cbranch_execnz .LBB109_194
.LBB109_192:
	s_waitcnt lgkmcnt(0)
	v_mul_hi_u32 v0, s1, v12
	v_add_u32_e32 v0, v12, v0
	v_lshrrev_b32_e32 v1, s2, v0
	v_mul_lo_u32 v0, v1, s0
	v_sub_u32_e32 v0, v12, v0
	s_andn2_b64 vcc, exec, s[34:35]
	v_mul_lo_u32 v0, v0, s28
	s_cbranch_vccnz .LBB109_194
; %bb.193:
	v_mul_hi_u32 v2, s30, v1
	v_add_u32_e32 v2, v1, v2
	v_lshrrev_b32_e32 v2, s31, v2
	v_mul_lo_u32 v2, v2, s3
	v_sub_u32_e32 v1, v1, v2
	v_mad_u64_u32 v[0:1], s[8:9], v1, s29, v[0:1]
.LBB109_194:
	s_waitcnt lgkmcnt(0)
	v_mov_b32_e32 v1, s47
	v_add_u32_e32 v12, 0x80, v12
	global_store_short v0, v1, s[26:27]
	s_or_b64 exec, exec, s[40:41]
	v_cmp_gt_i32_e32 vcc, s48, v12
	s_and_saveexec_b64 s[40:41], vcc
	s_cbranch_execnz .LBB109_180
.LBB109_195:
	s_or_b64 exec, exec, s[40:41]
	v_cmp_gt_i32_e32 vcc, s48, v12
	s_and_saveexec_b64 s[40:41], vcc
	s_cbranch_execz .LBB109_211
.LBB109_196:
	s_andn2_b64 vcc, exec, s[6:7]
	s_cbranch_vccnz .LBB109_201
; %bb.197:
	s_andn2_b64 vcc, exec, s[38:39]
	s_cbranch_vccnz .LBB109_202
; %bb.198:
	s_add_i32 s51, s49, 1
	s_mov_b32 s50, 0
	s_cmp_eq_u32 s46, 2
	v_mov_b32_e32 v0, 0
	s_cbranch_scc1 .LBB109_214
; %bb.199:
	s_and_b32 s50, s51, 28
	s_mov_b32 s52, 0
	v_mov_b32_e32 v0, 0
	s_mov_b64 s[42:43], s[4:5]
	s_mov_b64 s[44:45], s[36:37]
	v_mov_b32_e32 v2, v12
.LBB109_200:                            ; =>This Inner Loop Header: Depth=1
	s_load_dwordx8 s[8:15], s[42:43], 0x4
	s_load_dwordx4 s[16:19], s[42:43], 0x24
	s_load_dwordx4 s[20:23], s[44:45], 0x0
	s_add_u32 s42, s42, 48
	s_addc_u32 s43, s43, 0
	s_waitcnt lgkmcnt(0)
	v_mul_hi_u32 v1, s9, v2
	v_add_u32_e32 v1, v2, v1
	v_lshrrev_b32_e32 v1, s10, v1
	v_mul_lo_u32 v3, v1, s8
	v_mul_hi_u32 v4, s12, v1
	v_sub_u32_e32 v2, v2, v3
	v_add_u32_e32 v3, v1, v4
	v_lshrrev_b32_e32 v3, s13, v3
	v_mul_lo_u32 v4, v3, s11
	v_mul_hi_u32 v5, s15, v3
	v_sub_u32_e32 v1, v1, v4
	v_add_u32_e32 v4, v3, v5
	v_mul_lo_u32 v2, v2, s20
	v_mul_lo_u32 v1, v1, s21
	v_lshrrev_b32_e32 v4, s16, v4
	v_add3_u32 v0, v2, v0, v1
	v_mul_hi_u32 v2, s18, v4
	v_add_u32_e32 v2, v4, v2
	v_mul_lo_u32 v1, v4, s14
	v_lshrrev_b32_e32 v2, s19, v2
	s_add_i32 s52, s52, 4
	v_sub_u32_e32 v1, v3, v1
	v_mul_lo_u32 v3, v2, s17
	s_add_u32 s44, s44, 16
	v_sub_u32_e32 v3, v4, v3
	s_addc_u32 s45, s45, 0
	v_mul_lo_u32 v1, v1, s22
	v_mul_lo_u32 v3, v3, s23
	s_cmp_eq_u32 s50, s52
	v_add3_u32 v0, v1, v0, v3
	s_cbranch_scc0 .LBB109_200
	s_branch .LBB109_215
.LBB109_201:
                                        ; implicit-def: $vgpr0
	s_branch .LBB109_219
.LBB109_202:
	v_mov_b32_e32 v0, 0
	s_branch .LBB109_218
.LBB109_203:
	v_mov_b32_e32 v2, v12
.LBB109_204:
	s_and_b32 s12, s51, 3
	s_cmp_eq_u32 s12, 0
	s_cbranch_scc1 .LBB109_207
; %bb.205:
	s_lshl_b32 s8, s50, 2
	s_add_u32 s8, s8, s4
	s_addc_u32 s9, s5, 0
	s_add_u32 s8, s8, 0xc4
	s_addc_u32 s9, s9, 0
	s_mul_i32 s10, s50, 12
	s_add_u32 s10, s4, s10
	s_addc_u32 s11, s5, 0
.LBB109_206:                            ; =>This Inner Loop Header: Depth=1
	s_load_dwordx2 s[14:15], s[10:11], 0x4
	s_load_dword s13, s[10:11], 0xc
	s_load_dword s16, s[8:9], 0x0
	s_add_u32 s10, s10, 12
	s_addc_u32 s11, s11, 0
	s_waitcnt lgkmcnt(0)
	v_mul_hi_u32 v1, s15, v2
	v_add_u32_e32 v1, v2, v1
	v_lshrrev_b32_e32 v1, s13, v1
	s_add_u32 s8, s8, 4
	v_mul_lo_u32 v3, v1, s14
	s_addc_u32 s9, s9, 0
	s_add_i32 s12, s12, -1
	v_sub_u32_e32 v3, v2, v3
	s_cmp_lg_u32 s12, 0
	v_mov_b32_e32 v2, v1
	v_mad_u64_u32 v[0:1], s[14:15], v3, s16, v[0:1]
	s_cbranch_scc1 .LBB109_206
.LBB109_207:
	s_cbranch_execnz .LBB109_210
.LBB109_208:
	s_waitcnt lgkmcnt(0)
	v_mul_hi_u32 v0, s1, v12
	v_add_u32_e32 v0, v12, v0
	v_lshrrev_b32_e32 v1, s2, v0
	v_mul_lo_u32 v0, v1, s0
	v_sub_u32_e32 v0, v12, v0
	s_andn2_b64 vcc, exec, s[34:35]
	v_mul_lo_u32 v0, v0, s28
	s_cbranch_vccnz .LBB109_210
; %bb.209:
	v_mul_hi_u32 v2, s30, v1
	v_add_u32_e32 v2, v1, v2
	v_lshrrev_b32_e32 v2, s31, v2
	v_mul_lo_u32 v2, v2, s3
	v_sub_u32_e32 v1, v1, v2
	v_mad_u64_u32 v[0:1], s[8:9], v1, s29, v[0:1]
.LBB109_210:
	s_waitcnt lgkmcnt(0)
	v_mov_b32_e32 v1, s47
	v_add_u32_e32 v12, 0x80, v12
	global_store_short v0, v1, s[26:27]
	s_or_b64 exec, exec, s[40:41]
	v_cmp_gt_i32_e32 vcc, s48, v12
	s_and_saveexec_b64 s[40:41], vcc
	s_cbranch_execnz .LBB109_196
.LBB109_211:
	s_or_b64 exec, exec, s[40:41]
	v_cmp_gt_i32_e32 vcc, s48, v12
	s_and_saveexec_b64 s[40:41], vcc
	s_cbranch_execnz .LBB109_222
.LBB109_212:
	s_or_b64 exec, exec, s[40:41]
                                        ; implicit-def: $vgpr16
                                        ; implicit-def: $vgpr12
	s_waitcnt lgkmcnt(0)
	s_andn2_saveexec_b64 s[0:1], s[24:25]
	s_cbranch_execnz .LBB109_8
.LBB109_213:
	s_endpgm
.LBB109_214:
	v_mov_b32_e32 v2, v12
.LBB109_215:
	s_and_b32 s12, s51, 3
	s_cmp_eq_u32 s12, 0
	s_cbranch_scc1 .LBB109_218
; %bb.216:
	s_lshl_b32 s8, s50, 2
	s_add_u32 s8, s8, s4
	s_addc_u32 s9, s5, 0
	s_add_u32 s8, s8, 0xc4
	s_addc_u32 s9, s9, 0
	s_mul_i32 s10, s50, 12
	s_add_u32 s10, s4, s10
	s_addc_u32 s11, s5, 0
.LBB109_217:                            ; =>This Inner Loop Header: Depth=1
	s_load_dwordx2 s[14:15], s[10:11], 0x4
	s_load_dword s13, s[10:11], 0xc
	s_load_dword s16, s[8:9], 0x0
	s_add_u32 s10, s10, 12
	s_addc_u32 s11, s11, 0
	s_waitcnt lgkmcnt(0)
	v_mul_hi_u32 v1, s15, v2
	v_add_u32_e32 v1, v2, v1
	v_lshrrev_b32_e32 v1, s13, v1
	s_add_u32 s8, s8, 4
	v_mul_lo_u32 v3, v1, s14
	s_addc_u32 s9, s9, 0
	s_add_i32 s12, s12, -1
	v_sub_u32_e32 v3, v2, v3
	s_cmp_lg_u32 s12, 0
	v_mov_b32_e32 v2, v1
	v_mad_u64_u32 v[0:1], s[14:15], v3, s16, v[0:1]
	s_cbranch_scc1 .LBB109_217
.LBB109_218:
	s_cbranch_execnz .LBB109_221
.LBB109_219:
	s_waitcnt lgkmcnt(0)
	v_mul_hi_u32 v0, s1, v12
	v_add_u32_e32 v0, v12, v0
	v_lshrrev_b32_e32 v1, s2, v0
	v_mul_lo_u32 v0, v1, s0
	v_sub_u32_e32 v0, v12, v0
	s_andn2_b64 vcc, exec, s[34:35]
	v_mul_lo_u32 v0, v0, s28
	s_cbranch_vccnz .LBB109_221
; %bb.220:
	v_mul_hi_u32 v2, s30, v1
	v_add_u32_e32 v2, v1, v2
	v_lshrrev_b32_e32 v2, s31, v2
	v_mul_lo_u32 v2, v2, s3
	v_sub_u32_e32 v1, v1, v2
	v_mad_u64_u32 v[0:1], s[8:9], v1, s29, v[0:1]
.LBB109_221:
	s_waitcnt lgkmcnt(0)
	v_mov_b32_e32 v1, s47
	v_add_u32_e32 v12, 0x80, v12
	global_store_short v0, v1, s[26:27]
	s_or_b64 exec, exec, s[40:41]
	v_cmp_gt_i32_e32 vcc, s48, v12
	s_and_saveexec_b64 s[40:41], vcc
	s_cbranch_execz .LBB109_212
.LBB109_222:
	s_andn2_b64 vcc, exec, s[6:7]
	s_cbranch_vccnz .LBB109_227
; %bb.223:
	s_andn2_b64 vcc, exec, s[38:39]
	s_cbranch_vccnz .LBB109_228
; %bb.224:
	s_add_i32 s49, s49, 1
	s_mov_b32 s42, 0
	s_cmp_eq_u32 s46, 2
	v_mov_b32_e32 v0, 0
	s_cbranch_scc1 .LBB109_229
; %bb.225:
	s_and_b32 s42, s49, 28
	s_mov_b32 s43, 0
	v_mov_b32_e32 v0, 0
	s_mov_b64 s[38:39], s[4:5]
	v_mov_b32_e32 v2, v12
.LBB109_226:                            ; =>This Inner Loop Header: Depth=1
	s_load_dwordx8 s[8:15], s[38:39], 0x4
	s_load_dwordx4 s[16:19], s[38:39], 0x24
	s_load_dwordx4 s[20:23], s[36:37], 0x0
	s_add_u32 s38, s38, 48
	s_addc_u32 s39, s39, 0
	s_waitcnt lgkmcnt(0)
	v_mul_hi_u32 v1, s9, v2
	v_add_u32_e32 v1, v2, v1
	v_lshrrev_b32_e32 v1, s10, v1
	v_mul_lo_u32 v3, v1, s8
	v_mul_hi_u32 v4, s12, v1
	v_sub_u32_e32 v2, v2, v3
	v_add_u32_e32 v3, v1, v4
	v_lshrrev_b32_e32 v3, s13, v3
	v_mul_lo_u32 v4, v3, s11
	v_mul_hi_u32 v5, s15, v3
	v_sub_u32_e32 v1, v1, v4
	v_add_u32_e32 v4, v3, v5
	v_mul_lo_u32 v2, v2, s20
	v_mul_lo_u32 v1, v1, s21
	v_lshrrev_b32_e32 v4, s16, v4
	v_add3_u32 v0, v2, v0, v1
	v_mul_hi_u32 v2, s18, v4
	v_add_u32_e32 v2, v4, v2
	v_mul_lo_u32 v1, v4, s14
	v_lshrrev_b32_e32 v2, s19, v2
	s_add_i32 s43, s43, 4
	v_sub_u32_e32 v1, v3, v1
	v_mul_lo_u32 v3, v2, s17
	s_add_u32 s36, s36, 16
	v_sub_u32_e32 v3, v4, v3
	s_addc_u32 s37, s37, 0
	v_mul_lo_u32 v1, v1, s22
	v_mul_lo_u32 v3, v3, s23
	s_cmp_eq_u32 s42, s43
	v_add3_u32 v0, v1, v0, v3
	s_cbranch_scc0 .LBB109_226
	s_branch .LBB109_230
.LBB109_227:
                                        ; implicit-def: $vgpr0
	s_branch .LBB109_234
.LBB109_228:
	v_mov_b32_e32 v0, 0
	s_branch .LBB109_233
.LBB109_229:
	v_mov_b32_e32 v2, v12
.LBB109_230:
	s_and_b32 s12, s49, 3
	s_cmp_eq_u32 s12, 0
	s_cbranch_scc1 .LBB109_233
; %bb.231:
	s_lshl_b32 s8, s42, 2
	s_add_u32 s8, s8, s4
	s_addc_u32 s9, s5, 0
	s_add_u32 s8, s8, 0xc4
	s_addc_u32 s9, s9, 0
	s_mul_i32 s10, s42, 12
	s_add_u32 s10, s4, s10
	s_addc_u32 s11, s5, 0
.LBB109_232:                            ; =>This Inner Loop Header: Depth=1
	s_load_dwordx2 s[14:15], s[10:11], 0x4
	s_load_dword s13, s[10:11], 0xc
	s_load_dword s16, s[8:9], 0x0
	s_add_u32 s10, s10, 12
	s_addc_u32 s11, s11, 0
	s_waitcnt lgkmcnt(0)
	v_mul_hi_u32 v1, s15, v2
	v_add_u32_e32 v1, v2, v1
	v_lshrrev_b32_e32 v1, s13, v1
	s_add_u32 s8, s8, 4
	v_mul_lo_u32 v3, v1, s14
	s_addc_u32 s9, s9, 0
	s_add_i32 s12, s12, -1
	v_sub_u32_e32 v3, v2, v3
	s_cmp_lg_u32 s12, 0
	v_mov_b32_e32 v2, v1
	v_mad_u64_u32 v[0:1], s[14:15], v3, s16, v[0:1]
	s_cbranch_scc1 .LBB109_232
.LBB109_233:
	s_cbranch_execnz .LBB109_236
.LBB109_234:
	s_waitcnt lgkmcnt(0)
	v_mul_hi_u32 v0, s1, v12
	v_add_u32_e32 v0, v12, v0
	v_lshrrev_b32_e32 v1, s2, v0
	v_mul_lo_u32 v0, v1, s0
	v_sub_u32_e32 v0, v12, v0
	s_andn2_b64 vcc, exec, s[34:35]
	v_mul_lo_u32 v0, v0, s28
	s_cbranch_vccnz .LBB109_236
; %bb.235:
	v_mul_hi_u32 v2, s30, v1
	v_add_u32_e32 v2, v1, v2
	v_lshrrev_b32_e32 v2, s31, v2
	v_mul_lo_u32 v2, v2, s3
	v_sub_u32_e32 v1, v1, v2
	v_mad_u64_u32 v[0:1], s[0:1], v1, s29, v[0:1]
.LBB109_236:
	s_waitcnt lgkmcnt(0)
	v_mov_b32_e32 v1, s47
	global_store_short v0, v1, s[26:27]
	s_or_b64 exec, exec, s[40:41]
                                        ; implicit-def: $vgpr16
                                        ; implicit-def: $vgpr12
	s_andn2_saveexec_b64 s[0:1], s[24:25]
	s_cbranch_execz .LBB109_213
	s_branch .LBB109_8
	.section	.rodata,"a",@progbits
	.p2align	6, 0x0
	.amdhsa_kernel _ZN2at6native32elementwise_kernel_manual_unrollILi128ELi8EZNS0_22gpu_kernel_impl_nocastINS0_11FillFunctorIN3c108BFloat16EEEEEvRNS_18TensorIteratorBaseERKT_EUlibE_EEviT1_
		.amdhsa_group_segment_fixed_size 0
		.amdhsa_private_segment_fixed_size 0
		.amdhsa_kernarg_size 288
		.amdhsa_user_sgpr_count 6
		.amdhsa_user_sgpr_private_segment_buffer 1
		.amdhsa_user_sgpr_dispatch_ptr 0
		.amdhsa_user_sgpr_queue_ptr 0
		.amdhsa_user_sgpr_kernarg_segment_ptr 1
		.amdhsa_user_sgpr_dispatch_id 0
		.amdhsa_user_sgpr_flat_scratch_init 0
		.amdhsa_user_sgpr_kernarg_preload_length 0
		.amdhsa_user_sgpr_kernarg_preload_offset 0
		.amdhsa_user_sgpr_private_segment_size 0
		.amdhsa_uses_dynamic_stack 0
		.amdhsa_system_sgpr_private_segment_wavefront_offset 0
		.amdhsa_system_sgpr_workgroup_id_x 1
		.amdhsa_system_sgpr_workgroup_id_y 0
		.amdhsa_system_sgpr_workgroup_id_z 0
		.amdhsa_system_sgpr_workgroup_info 0
		.amdhsa_system_vgpr_workitem_id 0
		.amdhsa_next_free_vgpr 17
		.amdhsa_next_free_sgpr 53
		.amdhsa_accum_offset 20
		.amdhsa_reserve_vcc 1
		.amdhsa_reserve_flat_scratch 0
		.amdhsa_float_round_mode_32 0
		.amdhsa_float_round_mode_16_64 0
		.amdhsa_float_denorm_mode_32 3
		.amdhsa_float_denorm_mode_16_64 3
		.amdhsa_dx10_clamp 1
		.amdhsa_ieee_mode 1
		.amdhsa_fp16_overflow 0
		.amdhsa_tg_split 0
		.amdhsa_exception_fp_ieee_invalid_op 0
		.amdhsa_exception_fp_denorm_src 0
		.amdhsa_exception_fp_ieee_div_zero 0
		.amdhsa_exception_fp_ieee_overflow 0
		.amdhsa_exception_fp_ieee_underflow 0
		.amdhsa_exception_fp_ieee_inexact 0
		.amdhsa_exception_int_div_zero 0
	.end_amdhsa_kernel
	.section	.text._ZN2at6native32elementwise_kernel_manual_unrollILi128ELi8EZNS0_22gpu_kernel_impl_nocastINS0_11FillFunctorIN3c108BFloat16EEEEEvRNS_18TensorIteratorBaseERKT_EUlibE_EEviT1_,"axG",@progbits,_ZN2at6native32elementwise_kernel_manual_unrollILi128ELi8EZNS0_22gpu_kernel_impl_nocastINS0_11FillFunctorIN3c108BFloat16EEEEEvRNS_18TensorIteratorBaseERKT_EUlibE_EEviT1_,comdat
.Lfunc_end109:
	.size	_ZN2at6native32elementwise_kernel_manual_unrollILi128ELi8EZNS0_22gpu_kernel_impl_nocastINS0_11FillFunctorIN3c108BFloat16EEEEEvRNS_18TensorIteratorBaseERKT_EUlibE_EEviT1_, .Lfunc_end109-_ZN2at6native32elementwise_kernel_manual_unrollILi128ELi8EZNS0_22gpu_kernel_impl_nocastINS0_11FillFunctorIN3c108BFloat16EEEEEvRNS_18TensorIteratorBaseERKT_EUlibE_EEviT1_
                                        ; -- End function
	.section	.AMDGPU.csdata,"",@progbits
; Kernel info:
; codeLenInByte = 9664
; NumSgprs: 57
; NumVgprs: 17
; NumAgprs: 0
; TotalNumVgprs: 17
; ScratchSize: 0
; MemoryBound: 0
; FloatMode: 240
; IeeeMode: 1
; LDSByteSize: 0 bytes/workgroup (compile time only)
; SGPRBlocks: 7
; VGPRBlocks: 2
; NumSGPRsForWavesPerEU: 57
; NumVGPRsForWavesPerEU: 17
; AccumOffset: 20
; Occupancy: 8
; WaveLimiterHint : 1
; COMPUTE_PGM_RSRC2:SCRATCH_EN: 0
; COMPUTE_PGM_RSRC2:USER_SGPR: 6
; COMPUTE_PGM_RSRC2:TRAP_HANDLER: 0
; COMPUTE_PGM_RSRC2:TGID_X_EN: 1
; COMPUTE_PGM_RSRC2:TGID_Y_EN: 0
; COMPUTE_PGM_RSRC2:TGID_Z_EN: 0
; COMPUTE_PGM_RSRC2:TIDIG_COMP_CNT: 0
; COMPUTE_PGM_RSRC3_GFX90A:ACCUM_OFFSET: 4
; COMPUTE_PGM_RSRC3_GFX90A:TG_SPLIT: 0
	.section	.text._ZN2at6native32elementwise_kernel_manual_unrollILi128ELi4EZNS0_15gpu_kernel_implINS0_11FillFunctorIN3c108BFloat16EEEEEvRNS_18TensorIteratorBaseERKT_EUlibE_EEviT1_,"axG",@progbits,_ZN2at6native32elementwise_kernel_manual_unrollILi128ELi4EZNS0_15gpu_kernel_implINS0_11FillFunctorIN3c108BFloat16EEEEEvRNS_18TensorIteratorBaseERKT_EUlibE_EEviT1_,comdat
	.protected	_ZN2at6native32elementwise_kernel_manual_unrollILi128ELi4EZNS0_15gpu_kernel_implINS0_11FillFunctorIN3c108BFloat16EEEEEvRNS_18TensorIteratorBaseERKT_EUlibE_EEviT1_ ; -- Begin function _ZN2at6native32elementwise_kernel_manual_unrollILi128ELi4EZNS0_15gpu_kernel_implINS0_11FillFunctorIN3c108BFloat16EEEEEvRNS_18TensorIteratorBaseERKT_EUlibE_EEviT1_
	.globl	_ZN2at6native32elementwise_kernel_manual_unrollILi128ELi4EZNS0_15gpu_kernel_implINS0_11FillFunctorIN3c108BFloat16EEEEEvRNS_18TensorIteratorBaseERKT_EUlibE_EEviT1_
	.p2align	8
	.type	_ZN2at6native32elementwise_kernel_manual_unrollILi128ELi4EZNS0_15gpu_kernel_implINS0_11FillFunctorIN3c108BFloat16EEEEEvRNS_18TensorIteratorBaseERKT_EUlibE_EEviT1_,@function
_ZN2at6native32elementwise_kernel_manual_unrollILi128ELi4EZNS0_15gpu_kernel_implINS0_11FillFunctorIN3c108BFloat16EEEEEvRNS_18TensorIteratorBaseERKT_EUlibE_EEviT1_: ; @_ZN2at6native32elementwise_kernel_manual_unrollILi128ELi4EZNS0_15gpu_kernel_implINS0_11FillFunctorIN3c108BFloat16EEEEEvRNS_18TensorIteratorBaseERKT_EUlibE_EEviT1_
; %bb.0:
	s_load_dwordx4 s[8:11], s[4:5], 0x8
	s_load_dword s48, s[4:5], 0x0
	v_lshl_or_b32 v15, s6, 9, v0
	v_or_b32_e32 v0, 0x180, v15
	s_mov_b64 s[4:5], 0
	s_waitcnt lgkmcnt(0)
	s_lshr_b32 s33, s11, 16
	v_cmp_le_i32_e32 vcc, s48, v0
	s_mov_b64 s[0:1], 0
	s_and_saveexec_b64 s[2:3], vcc
	s_xor_b64 s[2:3], exec, s[2:3]
	s_cbranch_execz .LBB110_404
; %bb.1:
	s_and_b32 s64, 0xffff, s11
	s_lshl_b32 s52, s11, 16
	s_lshr_b32 s14, s64, 7
	s_or_b32 s12, s14, s52
	s_bfe_u32 s0, s64, 0x80007
	s_cmpk_eq_i32 s0, 0xff
	s_cselect_b64 s[0:1], -1, 0
	s_bitcmp1_b32 s64, 6
	s_cselect_b64 s[6:7], -1, 0
	s_and_b32 s12, s12, 0x3f00ff
	s_cmp_lg_u32 s12, 0
	v_trunc_f32_e32 v2, s52
	s_cselect_b64 s[12:13], -1, 0
	v_mul_f32_e32 v0, 0x2f800000, v2
	s_and_b64 s[6:7], s[6:7], s[12:13]
	s_and_b32 s34, s52, 0x7fffffff
	v_floor_f32_e32 v0, v0
	v_mov_b32_e32 v1, v2
	s_cmp_lt_u32 s34, 0x43800000
	v_cvt_u32_f32_e32 v7, v0
	v_fmac_f32_e32 v1, 0xcf800000, v0
	v_cndmask_b32_e64 v0, 0, 1, s[6:7]
	s_cselect_b64 s[26:27], -1, 0
	s_cmp_gt_u32 s34, 0x3bffffff
	v_add_u32_e32 v14, s14, v0
	s_cselect_b64 s[24:25], -1, 0
	s_bfe_u32 s6, s64, 0x10004
	v_mov_b32_e32 v0, 0x46000000
	s_or_b32 s12, s52, s6
	v_add_f32_e64 v0, |s52|, v0
	s_add_i32 s6, s12, 0x487ffff
	v_readfirstlane_b32 s63, v0
	s_lshr_b32 s62, s6, 20
	s_and_b32 s6, s63, 0xff
	s_cmp_lg_u32 s6, 0
	s_cselect_b64 s[28:29], -1, 0
	s_lshr_b32 s6, s64, 8
	s_and_b32 s53, s6, 0x80
	s_cmp_gt_u32 s34, 0x477fffff
	s_cselect_b64 s[6:7], -1, 0
	s_cmp_lt_u32 s34, 0x47800000
	s_cselect_b64 s[20:21], -1, 0
	s_cmp_gt_u32 s34, 0x37ffffff
	s_cselect_b64 s[18:19], -1, 0
	s_bfe_u32 s13, s64, 0x10005
	v_mov_b32_e32 v0, 0x42800000
	s_or_b32 s35, s52, s13
	v_add_f32_e64 v0, |s52|, v0
	s_add_i32 s13, s35, 0x88fffff
	v_readfirstlane_b32 s61, v0
	s_lshr_b32 s59, s13, 21
	s_and_b32 s13, s61, 0xff
	s_mov_b32 s30, 0x2f800000
	s_cmp_lg_u32 s13, 0
	s_cselect_b64 s[22:23], -1, 0
	s_cmp_gt_u32 s34, 0x43efffff
	v_mul_f32_e64 v3, |v2|, s30
	s_mov_b32 s31, 0xcf800000
	s_cselect_b64 s[14:15], -1, 0
	s_cmp_lt_u32 s34, 0x3c800000
	v_mov_b32_e32 v0, 0x46800000
	v_floor_f32_e32 v3, v3
	s_cselect_b64 s[16:17], -1, 0
	s_add_i32 s12, s12, 0x407ffff
	v_add_f32_e64 v0, |s52|, v0
	v_fma_f32 v4, v3, s31, |v2|
	s_lshr_b32 s13, s12, 20
	s_and_b32 s12, s12, 0xff00000
	v_readfirstlane_b32 s58, v0
	v_mov_b32_e32 v0, 0x43000000
	v_cvt_u32_f32_e32 v4, v4
	s_cmp_lg_u32 s12, 0x7f00000
	v_add_f32_e64 v0, |s52|, v0
	v_cvt_u32_f32_e32 v3, v3
	s_cselect_b32 s57, s13, 0x7e
	s_cmp_lt_u32 s34, 0x38800000
	v_readfirstlane_b32 s55, v0
	v_mov_b32_e32 v0, 0x7fff
	s_cselect_b64 s[12:13], -1, 0
	s_add_i32 s35, s35, 0x80fffff
	v_and_b32_e32 v0, s11, v0
	v_ashrrev_i32_e32 v2, 31, v2
	v_cvt_u32_f32_e32 v6, v1
	v_cvt_u32_f32_e32 v13, s52
	s_lshr_b32 s54, s35, 21
	v_cmp_ne_u16_e32 vcc, 0, v0
	v_cvt_f16_f32_e32 v11, s52
	v_xor_b32_e32 v4, v4, v2
	v_cvt_i32_f32_e32 v10, s52
	s_cmp_gt_u32 s34, 0x7f800000
	s_movk_i32 s34, 0x7f
	v_cndmask_b32_e64 v12, 0, 1, vcc
	v_xor_b32_e32 v3, v3, v2
	v_sub_co_u32_e32 v4, vcc, v4, v2
	s_cselect_b32 s60, s34, 0x7e
	s_movk_i32 s34, 0x7c
	v_subb_co_u32_e32 v5, vcc, v3, v2, vcc
	s_cselect_b32 s56, 0x7f, s34
	v_cvt_f64_f32_e32 v[0:1], s52
	v_cmp_gt_i32_e32 vcc, s48, v15
	s_mov_b64 s[36:37], -1
	s_mov_b64 s[38:39], 0
	s_mov_b64 s[30:31], 0
	s_and_saveexec_b64 s[34:35], vcc
	s_cbranch_execz .LBB110_100
; %bb.2:
	v_mul_lo_u32 v2, v15, s10
	v_ashrrev_i32_e32 v3, 31, v2
	v_mov_b32_e32 v9, s9
	v_add_co_u32_e32 v8, vcc, s8, v2
	v_mov_b32_e32 v2, 11
	v_addc_co_u32_e32 v9, vcc, v9, v3, vcc
	v_cmp_lt_i16_sdwa s[30:31], s33, v2 src0_sel:BYTE_0 src1_sel:DWORD
	s_and_b64 vcc, exec, s[30:31]
	s_cbranch_vccnz .LBB110_9
; %bb.3:
	v_mov_b32_e32 v2, 25
	v_cmp_gt_i16_sdwa s[30:31], s33, v2 src0_sel:BYTE_0 src1_sel:DWORD
	s_and_b64 vcc, exec, s[30:31]
	s_cbranch_vccz .LBB110_12
; %bb.4:
	v_mov_b32_e32 v2, 28
	v_cmp_gt_i16_sdwa s[30:31], s33, v2 src0_sel:BYTE_0 src1_sel:DWORD
	s_and_b64 vcc, exec, s[30:31]
	s_cbranch_vccz .LBB110_13
	;; [unrolled: 5-line block ×4, first 2 shown]
; %bb.7:
	v_mov_b32_e32 v2, 46
	v_cmp_eq_u16_sdwa s[36:37], s33, v2 src0_sel:BYTE_0 src1_sel:DWORD
	s_mov_b64 s[40:41], 0
	s_mov_b64 s[30:31], -1
	s_and_b64 vcc, exec, s[36:37]
	s_mov_b64 s[36:37], 0
	s_cbranch_vccz .LBB110_16
; %bb.8:
	v_mov_b32_e32 v2, s64
	global_store_dword v[8:9], v2, off
	s_mov_b64 s[36:37], -1
	s_mov_b64 s[30:31], 0
	s_branch .LBB110_16
.LBB110_9:
	s_mov_b64 s[30:31], 0
	s_mov_b64 s[36:37], 0
	s_cbranch_execnz .LBB110_60
.LBB110_10:
	s_andn2_b64 vcc, exec, s[36:37]
	s_cbranch_vccnz .LBB110_98
.LBB110_11:
	v_add_u32_e32 v15, 0x80, v15
	s_mov_b64 s[36:37], -1
	s_branch .LBB110_99
.LBB110_12:
	s_mov_b64 s[30:31], 0
	s_mov_b64 s[36:37], 0
	s_cbranch_execnz .LBB110_38
	s_branch .LBB110_59
.LBB110_13:
	s_mov_b64 s[40:41], -1
	s_mov_b64 s[30:31], 0
	s_mov_b64 s[36:37], 0
	s_branch .LBB110_24
.LBB110_14:
	s_mov_b64 s[40:41], -1
	s_mov_b64 s[30:31], 0
	s_mov_b64 s[36:37], 0
	s_branch .LBB110_20
.LBB110_15:
	s_mov_b64 s[40:41], -1
	s_mov_b64 s[30:31], 0
	s_mov_b64 s[36:37], 0
.LBB110_16:
	s_and_b64 vcc, exec, s[40:41]
	s_cbranch_vccz .LBB110_19
; %bb.17:
	v_mov_b32_e32 v2, 44
	v_cmp_eq_u16_sdwa s[40:41], s33, v2 src0_sel:BYTE_0 src1_sel:DWORD
	s_mov_b64 s[30:31], -1
	s_and_b64 vcc, exec, s[40:41]
	s_cbranch_vccz .LBB110_19
; %bb.18:
	v_mov_b32_e32 v2, 0xff
	v_cndmask_b32_e64 v2, v14, v2, s[0:1]
	global_store_byte v[8:9], v2, off
	s_mov_b64 s[36:37], -1
	s_mov_b64 s[30:31], 0
.LBB110_19:
	s_mov_b64 s[40:41], 0
.LBB110_20:
	s_and_b64 vcc, exec, s[40:41]
	s_cbranch_vccz .LBB110_23
; %bb.21:
	v_mov_b32_e32 v2, 29
	v_cmp_eq_u16_sdwa s[40:41], s33, v2 src0_sel:BYTE_0 src1_sel:DWORD
	s_mov_b64 s[30:31], -1
	s_and_b64 vcc, exec, s[40:41]
	s_cbranch_vccz .LBB110_23
; %bb.22:
	global_store_dwordx2 v[8:9], v[6:7], off
	s_mov_b64 s[36:37], -1
	s_mov_b64 s[30:31], 0
.LBB110_23:
	s_mov_b64 s[40:41], 0
.LBB110_24:
	s_and_b64 vcc, exec, s[40:41]
	s_cbranch_vccz .LBB110_37
; %bb.25:
	v_mov_b32_e32 v2, 27
	v_cmp_lt_i16_sdwa s[40:41], s33, v2 src0_sel:BYTE_0 src1_sel:DWORD
	s_mov_b64 s[36:37], -1
	s_and_b64 vcc, exec, s[40:41]
	s_cbranch_vccnz .LBB110_31
; %bb.26:
	v_cmp_gt_i16_sdwa s[40:41], s33, v2 src0_sel:BYTE_0 src1_sel:DWORD
	s_and_b64 vcc, exec, s[40:41]
	s_cbranch_vccz .LBB110_28
; %bb.27:
	s_mov_b64 s[36:37], 0
	global_store_dword v[8:9], v13, off
.LBB110_28:
	s_andn2_b64 vcc, exec, s[36:37]
	s_cbranch_vccnz .LBB110_30
; %bb.29:
	global_store_short v[8:9], v13, off
.LBB110_30:
	s_mov_b64 s[36:37], 0
.LBB110_31:
	s_andn2_b64 vcc, exec, s[36:37]
	s_cbranch_vccnz .LBB110_36
; %bb.32:
	s_andn2_b64 vcc, exec, s[26:27]
	s_movk_i32 s36, 0x80
	s_cbranch_vccnz .LBB110_35
; %bb.33:
	s_or_b64 s[36:37], s[24:25], s[28:29]
	s_andn2_b64 vcc, exec, s[36:37]
	s_mov_b32 s36, 0
	s_cbranch_vccnz .LBB110_35
; %bb.34:
	s_and_b64 s[36:37], s[24:25], exec
	s_cselect_b32 s36, s62, s63
	s_or_b32 s36, s36, s53
.LBB110_35:
	v_mov_b32_e32 v2, s36
	global_store_byte v[8:9], v2, off
.LBB110_36:
	s_mov_b64 s[36:37], -1
.LBB110_37:
	s_branch .LBB110_59
.LBB110_38:
	v_mov_b32_e32 v2, 22
	v_cmp_gt_i16_sdwa s[42:43], s33, v2 src0_sel:BYTE_0 src1_sel:DWORD
	s_mov_b64 s[40:41], -1
	s_and_b64 vcc, exec, s[42:43]
	s_cbranch_vccz .LBB110_51
; %bb.39:
	v_mov_b32_e32 v2, 24
	v_cmp_lt_i16_sdwa s[40:41], s33, v2 src0_sel:BYTE_0 src1_sel:DWORD
	s_mov_b64 s[36:37], -1
	s_and_b64 vcc, exec, s[40:41]
	s_cbranch_vccnz .LBB110_48
; %bb.40:
	v_cmp_gt_i16_sdwa s[40:41], s33, v2 src0_sel:BYTE_0 src1_sel:DWORD
	s_and_b64 vcc, exec, s[40:41]
	s_cbranch_vccz .LBB110_45
; %bb.41:
	s_andn2_b64 vcc, exec, s[20:21]
	s_movk_i32 s36, 0x80
	s_cbranch_vccnz .LBB110_44
; %bb.42:
	s_or_b64 s[36:37], s[18:19], s[22:23]
	s_andn2_b64 vcc, exec, s[36:37]
	s_mov_b32 s36, 0
	s_cbranch_vccnz .LBB110_44
; %bb.43:
	s_and_b64 s[36:37], s[18:19], exec
	s_cselect_b32 s36, s59, s61
	s_or_b32 s36, s36, s53
.LBB110_44:
	v_mov_b32_e32 v2, s36
	s_mov_b64 s[36:37], 0
	global_store_byte v[8:9], v2, off
.LBB110_45:
	s_and_b64 vcc, exec, s[36:37]
	s_cbranch_vccz .LBB110_47
; %bb.46:
	s_and_b64 s[36:37], s[16:17], exec
	s_cselect_b32 s40, s58, s57
	s_and_b64 s[36:37], s[14:15], exec
	s_cselect_b32 s36, s60, s40
	s_or_b32 s36, s36, s53
	v_mov_b32_e32 v2, s36
	global_store_byte v[8:9], v2, off
.LBB110_47:
	s_mov_b64 s[36:37], 0
.LBB110_48:
	s_andn2_b64 vcc, exec, s[36:37]
	s_cbranch_vccnz .LBB110_50
; %bb.49:
	s_and_b64 s[36:37], s[12:13], exec
	s_cselect_b32 s40, s55, s54
	s_and_b64 s[36:37], s[6:7], exec
	s_cselect_b32 s36, s56, s40
	s_or_b32 s36, s36, s53
	v_mov_b32_e32 v2, s36
	global_store_byte v[8:9], v2, off
.LBB110_50:
	s_mov_b64 s[40:41], 0
	s_mov_b64 s[36:37], -1
.LBB110_51:
	s_andn2_b64 vcc, exec, s[40:41]
	s_cbranch_vccnz .LBB110_59
; %bb.52:
	v_mov_b32_e32 v2, 14
	v_cmp_gt_i16_sdwa s[42:43], s33, v2 src0_sel:BYTE_0 src1_sel:DWORD
	s_mov_b64 s[40:41], -1
	s_and_b64 vcc, exec, s[42:43]
	s_cbranch_vccz .LBB110_56
; %bb.53:
	v_mov_b32_e32 v2, 15
	v_cmp_eq_u16_sdwa s[40:41], s33, v2 src0_sel:BYTE_0 src1_sel:DWORD
	s_mov_b64 s[30:31], -1
	s_and_b64 vcc, exec, s[40:41]
	s_cbranch_vccz .LBB110_55
; %bb.54:
	v_mov_b32_e32 v2, s11
	global_store_short v[8:9], v2, off
	s_mov_b64 s[36:37], -1
	s_mov_b64 s[30:31], 0
.LBB110_55:
	s_mov_b64 s[40:41], 0
.LBB110_56:
	s_and_b64 vcc, exec, s[40:41]
	s_cbranch_vccz .LBB110_59
; %bb.57:
	v_mov_b32_e32 v2, 11
	v_cmp_eq_u16_sdwa s[40:41], s33, v2 src0_sel:BYTE_0 src1_sel:DWORD
	s_mov_b64 s[30:31], -1
	s_and_b64 vcc, exec, s[40:41]
	s_cbranch_vccz .LBB110_59
; %bb.58:
	s_mov_b64 s[36:37], -1
	s_mov_b64 s[30:31], 0
	global_store_byte v[8:9], v12, off
.LBB110_59:
	s_branch .LBB110_10
.LBB110_60:
	v_mov_b32_e32 v2, 5
	v_cmp_lt_i16_sdwa s[40:41], s33, v2 src0_sel:BYTE_0 src1_sel:DWORD
	s_mov_b64 s[36:37], -1
	s_and_b64 vcc, exec, s[40:41]
	s_cbranch_vccnz .LBB110_81
; %bb.61:
	v_mov_b32_e32 v2, 8
	v_cmp_lt_i16_sdwa s[40:41], s33, v2 src0_sel:BYTE_0 src1_sel:DWORD
	s_and_b64 vcc, exec, s[40:41]
	s_cbranch_vccnz .LBB110_71
; %bb.62:
	v_mov_b32_e32 v2, 9
	v_cmp_lt_i16_sdwa s[40:41], s33, v2 src0_sel:BYTE_0 src1_sel:DWORD
	s_and_b64 vcc, exec, s[40:41]
	s_cbranch_vccnz .LBB110_68
; %bb.63:
	v_cmp_gt_i16_sdwa s[40:41], s33, v2 src0_sel:BYTE_0 src1_sel:DWORD
	s_and_b64 vcc, exec, s[40:41]
	s_cbranch_vccz .LBB110_65
; %bb.64:
	v_mov_b32_e32 v2, 0
	v_mov_b32_e32 v3, v2
	global_store_dwordx4 v[8:9], v[0:3], off
	s_mov_b64 s[36:37], 0
.LBB110_65:
	s_andn2_b64 vcc, exec, s[36:37]
	s_cbranch_vccnz .LBB110_67
; %bb.66:
	v_mov_b32_e32 v2, s52
	v_mov_b32_e32 v3, 0
	global_store_dwordx2 v[8:9], v[2:3], off
.LBB110_67:
	s_mov_b64 s[36:37], 0
.LBB110_68:
	s_andn2_b64 vcc, exec, s[36:37]
	s_cbranch_vccnz .LBB110_70
; %bb.69:
	global_store_dword v[8:9], v11, off
.LBB110_70:
	s_mov_b64 s[36:37], 0
.LBB110_71:
	s_andn2_b64 vcc, exec, s[36:37]
	s_cbranch_vccnz .LBB110_80
; %bb.72:
	v_mov_b32_e32 v2, 6
	v_cmp_lt_i16_sdwa s[40:41], s33, v2 src0_sel:BYTE_0 src1_sel:DWORD
	s_mov_b64 s[36:37], -1
	s_and_b64 vcc, exec, s[40:41]
	s_cbranch_vccnz .LBB110_78
; %bb.73:
	v_cmp_gt_i16_sdwa s[40:41], s33, v2 src0_sel:BYTE_0 src1_sel:DWORD
	s_and_b64 vcc, exec, s[40:41]
	s_cbranch_vccz .LBB110_75
; %bb.74:
	global_store_dwordx2 v[8:9], v[0:1], off
	s_mov_b64 s[36:37], 0
.LBB110_75:
	s_andn2_b64 vcc, exec, s[36:37]
	s_cbranch_vccnz .LBB110_77
; %bb.76:
	v_mov_b32_e32 v2, s52
	global_store_dword v[8:9], v2, off
.LBB110_77:
	s_mov_b64 s[36:37], 0
.LBB110_78:
	s_andn2_b64 vcc, exec, s[36:37]
	s_cbranch_vccnz .LBB110_80
; %bb.79:
	global_store_short v[8:9], v11, off
.LBB110_80:
	s_mov_b64 s[36:37], 0
.LBB110_81:
	s_andn2_b64 vcc, exec, s[36:37]
	s_cbranch_vccnz .LBB110_97
; %bb.82:
	v_mov_b32_e32 v2, 2
	v_cmp_lt_i16_sdwa s[40:41], s33, v2 src0_sel:BYTE_0 src1_sel:DWORD
	s_mov_b64 s[36:37], -1
	s_and_b64 vcc, exec, s[40:41]
	s_cbranch_vccnz .LBB110_92
; %bb.83:
	v_mov_b32_e32 v2, 3
	v_cmp_lt_i16_sdwa s[40:41], s33, v2 src0_sel:BYTE_0 src1_sel:DWORD
	s_and_b64 vcc, exec, s[40:41]
	s_cbranch_vccnz .LBB110_89
; %bb.84:
	v_cmp_gt_i16_sdwa s[40:41], s33, v2 src0_sel:BYTE_0 src1_sel:DWORD
	s_and_b64 vcc, exec, s[40:41]
	s_cbranch_vccz .LBB110_86
; %bb.85:
	global_store_dwordx2 v[8:9], v[4:5], off
	s_mov_b64 s[36:37], 0
.LBB110_86:
	s_andn2_b64 vcc, exec, s[36:37]
	s_cbranch_vccnz .LBB110_88
; %bb.87:
	global_store_dword v[8:9], v10, off
.LBB110_88:
	s_mov_b64 s[36:37], 0
.LBB110_89:
	s_andn2_b64 vcc, exec, s[36:37]
	s_cbranch_vccnz .LBB110_91
; %bb.90:
	global_store_short v[8:9], v10, off
.LBB110_91:
	s_mov_b64 s[36:37], 0
.LBB110_92:
	s_andn2_b64 vcc, exec, s[36:37]
	s_cbranch_vccnz .LBB110_97
; %bb.93:
	v_mov_b32_e32 v2, 0
	v_cmp_gt_i16_sdwa s[40:41], s33, v2 src0_sel:BYTE_0 src1_sel:DWORD
	s_mov_b64 s[36:37], -1
	s_and_b64 vcc, exec, s[40:41]
	s_cbranch_vccz .LBB110_95
; %bb.94:
	global_store_byte v[8:9], v10, off
	s_mov_b64 s[36:37], 0
.LBB110_95:
	s_andn2_b64 vcc, exec, s[36:37]
	s_cbranch_vccnz .LBB110_97
; %bb.96:
	global_store_byte v[8:9], v4, off
.LBB110_97:
	s_branch .LBB110_11
.LBB110_98:
	s_mov_b64 s[36:37], 0
                                        ; implicit-def: $vgpr15
.LBB110_99:
	s_and_b64 s[30:31], s[30:31], exec
	s_orn2_b64 s[36:37], s[36:37], exec
.LBB110_100:
	s_or_b64 exec, exec, s[34:35]
	s_mov_b64 s[40:41], 0
                                        ; implicit-def: $vgpr16
                                        ; implicit-def: $vgpr8_vgpr9
	s_and_saveexec_b64 s[34:35], s[36:37]
	s_cbranch_execz .LBB110_109
; %bb.101:
	v_cmp_gt_i32_e32 vcc, s48, v15
	s_mov_b64 s[42:43], -1
	s_mov_b64 s[36:37], s[30:31]
	s_and_saveexec_b64 s[38:39], vcc
	s_cbranch_execz .LBB110_204
; %bb.102:
	v_mul_lo_u32 v2, v15, s10
	v_ashrrev_i32_e32 v3, 31, v2
	v_mov_b32_e32 v9, s9
	v_add_co_u32_e32 v8, vcc, s8, v2
	v_mov_b32_e32 v2, 11
	v_addc_co_u32_e32 v9, vcc, v9, v3, vcc
	v_cmp_lt_i16_sdwa s[36:37], s33, v2 src0_sel:BYTE_0 src1_sel:DWORD
	s_and_b64 vcc, exec, s[36:37]
	s_cbranch_vccnz .LBB110_112
; %bb.103:
	v_mov_b32_e32 v2, 25
	v_cmp_gt_i16_sdwa s[36:37], s33, v2 src0_sel:BYTE_0 src1_sel:DWORD
	s_and_b64 vcc, exec, s[36:37]
	s_cbranch_vccz .LBB110_115
; %bb.104:
	v_mov_b32_e32 v2, 28
	v_cmp_gt_i16_sdwa s[36:37], s33, v2 src0_sel:BYTE_0 src1_sel:DWORD
	s_and_b64 vcc, exec, s[36:37]
	s_cbranch_vccz .LBB110_116
	;; [unrolled: 5-line block ×4, first 2 shown]
; %bb.107:
	v_mov_b32_e32 v2, 46
	v_cmp_eq_u16_sdwa s[40:41], s33, v2 src0_sel:BYTE_0 src1_sel:DWORD
	s_mov_b64 s[42:43], 0
	s_mov_b64 s[36:37], -1
	s_and_b64 vcc, exec, s[40:41]
	s_mov_b64 s[40:41], 0
	s_cbranch_vccz .LBB110_119
; %bb.108:
	v_mov_b32_e32 v2, s64
	global_store_dword v[8:9], v2, off
	s_mov_b64 s[40:41], -1
	s_mov_b64 s[36:37], 0
	s_branch .LBB110_119
.LBB110_109:
	s_or_b64 exec, exec, s[34:35]
	s_mov_b64 s[0:1], 0
	s_and_saveexec_b64 s[6:7], s[30:31]
	s_cbranch_execnz .LBB110_364
.LBB110_110:
	s_or_b64 exec, exec, s[6:7]
	s_and_saveexec_b64 s[6:7], s[38:39]
	s_xor_b64 s[6:7], exec, s[6:7]
	s_cbranch_execz .LBB110_365
.LBB110_111:
	global_store_byte v[8:9], v12, off
	s_or_b64 exec, exec, s[6:7]
	s_and_saveexec_b64 s[6:7], s[40:41]
	s_xor_b64 s[6:7], exec, s[6:7]
	s_cbranch_execz .LBB110_403
	s_branch .LBB110_366
.LBB110_112:
	s_mov_b64 s[36:37], s[30:31]
	s_and_b64 vcc, exec, s[42:43]
	s_cbranch_vccnz .LBB110_164
.LBB110_113:
	s_andn2_b64 vcc, exec, s[40:41]
	s_cbranch_vccnz .LBB110_202
.LBB110_114:
	v_add_u32_e32 v15, 0x80, v15
	s_mov_b64 s[40:41], -1
	s_branch .LBB110_203
.LBB110_115:
	s_mov_b64 s[36:37], s[30:31]
	s_branch .LBB110_141
.LBB110_116:
	s_mov_b64 s[36:37], s[30:31]
	s_branch .LBB110_127
.LBB110_117:
	s_mov_b64 s[36:37], s[30:31]
	s_branch .LBB110_123
.LBB110_118:
	s_mov_b64 s[36:37], s[30:31]
.LBB110_119:
	s_and_b64 vcc, exec, s[42:43]
	s_cbranch_vccz .LBB110_122
; %bb.120:
	v_mov_b32_e32 v2, 44
	v_cmp_eq_u16_sdwa s[42:43], s33, v2 src0_sel:BYTE_0 src1_sel:DWORD
	s_mov_b64 s[36:37], -1
	s_and_b64 vcc, exec, s[42:43]
	s_cbranch_vccz .LBB110_122
; %bb.121:
	v_mov_b32_e32 v2, 0xff
	v_cndmask_b32_e64 v2, v14, v2, s[0:1]
	s_mov_b64 s[40:41], -1
	s_mov_b64 s[36:37], 0
	global_store_byte v[8:9], v2, off
.LBB110_122:
	s_mov_b64 s[42:43], 0
.LBB110_123:
	s_and_b64 vcc, exec, s[42:43]
	s_cbranch_vccz .LBB110_126
; %bb.124:
	v_mov_b32_e32 v2, 29
	v_cmp_eq_u16_sdwa s[42:43], s33, v2 src0_sel:BYTE_0 src1_sel:DWORD
	s_mov_b64 s[36:37], -1
	s_and_b64 vcc, exec, s[42:43]
	s_cbranch_vccz .LBB110_126
; %bb.125:
	global_store_dwordx2 v[8:9], v[6:7], off
	s_mov_b64 s[40:41], -1
	s_mov_b64 s[36:37], 0
.LBB110_126:
	s_mov_b64 s[42:43], 0
.LBB110_127:
	s_and_b64 vcc, exec, s[42:43]
	s_cbranch_vccz .LBB110_140
; %bb.128:
	v_mov_b32_e32 v2, 27
	v_cmp_lt_i16_sdwa s[42:43], s33, v2 src0_sel:BYTE_0 src1_sel:DWORD
	s_mov_b64 s[40:41], -1
	s_and_b64 vcc, exec, s[42:43]
	s_cbranch_vccnz .LBB110_134
; %bb.129:
	v_cmp_gt_i16_sdwa s[42:43], s33, v2 src0_sel:BYTE_0 src1_sel:DWORD
	s_and_b64 vcc, exec, s[42:43]
	s_cbranch_vccz .LBB110_131
; %bb.130:
	s_mov_b64 s[40:41], 0
	global_store_dword v[8:9], v13, off
.LBB110_131:
	s_andn2_b64 vcc, exec, s[40:41]
	s_cbranch_vccnz .LBB110_133
; %bb.132:
	global_store_short v[8:9], v13, off
.LBB110_133:
	s_mov_b64 s[40:41], 0
.LBB110_134:
	s_andn2_b64 vcc, exec, s[40:41]
	s_cbranch_vccnz .LBB110_139
; %bb.135:
	s_andn2_b64 vcc, exec, s[26:27]
	s_movk_i32 s40, 0x80
	s_cbranch_vccnz .LBB110_138
; %bb.136:
	s_or_b64 s[40:41], s[24:25], s[28:29]
	s_andn2_b64 vcc, exec, s[40:41]
	s_mov_b32 s40, 0
	s_cbranch_vccnz .LBB110_138
; %bb.137:
	s_and_b64 s[40:41], s[24:25], exec
	s_cselect_b32 s40, s62, s63
	s_or_b32 s40, s40, s53
.LBB110_138:
	v_mov_b32_e32 v2, s40
	global_store_byte v[8:9], v2, off
.LBB110_139:
	s_mov_b64 s[40:41], -1
.LBB110_140:
	s_mov_b64 s[42:43], 0
.LBB110_141:
	s_and_b64 vcc, exec, s[42:43]
	s_cbranch_vccz .LBB110_163
; %bb.142:
	v_mov_b32_e32 v2, 22
	v_cmp_gt_i16_sdwa s[44:45], s33, v2 src0_sel:BYTE_0 src1_sel:DWORD
	s_mov_b64 s[42:43], -1
	s_and_b64 vcc, exec, s[44:45]
	s_cbranch_vccz .LBB110_155
; %bb.143:
	v_mov_b32_e32 v2, 24
	v_cmp_lt_i16_sdwa s[42:43], s33, v2 src0_sel:BYTE_0 src1_sel:DWORD
	s_mov_b64 s[40:41], -1
	s_and_b64 vcc, exec, s[42:43]
	s_cbranch_vccnz .LBB110_152
; %bb.144:
	v_cmp_gt_i16_sdwa s[42:43], s33, v2 src0_sel:BYTE_0 src1_sel:DWORD
	s_and_b64 vcc, exec, s[42:43]
	s_cbranch_vccz .LBB110_149
; %bb.145:
	s_andn2_b64 vcc, exec, s[20:21]
	s_movk_i32 s40, 0x80
	s_cbranch_vccnz .LBB110_148
; %bb.146:
	s_or_b64 s[40:41], s[18:19], s[22:23]
	s_andn2_b64 vcc, exec, s[40:41]
	s_mov_b32 s40, 0
	s_cbranch_vccnz .LBB110_148
; %bb.147:
	s_and_b64 s[40:41], s[18:19], exec
	s_cselect_b32 s40, s59, s61
	s_or_b32 s40, s40, s53
.LBB110_148:
	v_mov_b32_e32 v2, s40
	s_mov_b64 s[40:41], 0
	global_store_byte v[8:9], v2, off
.LBB110_149:
	s_and_b64 vcc, exec, s[40:41]
	s_cbranch_vccz .LBB110_151
; %bb.150:
	s_and_b64 s[40:41], s[16:17], exec
	s_cselect_b32 s42, s58, s57
	s_and_b64 s[40:41], s[14:15], exec
	s_cselect_b32 s40, s60, s42
	s_or_b32 s40, s40, s53
	v_mov_b32_e32 v2, s40
	global_store_byte v[8:9], v2, off
.LBB110_151:
	s_mov_b64 s[40:41], 0
.LBB110_152:
	s_andn2_b64 vcc, exec, s[40:41]
	s_cbranch_vccnz .LBB110_154
; %bb.153:
	s_and_b64 s[40:41], s[12:13], exec
	s_cselect_b32 s42, s55, s54
	s_and_b64 s[40:41], s[6:7], exec
	s_cselect_b32 s40, s56, s42
	s_or_b32 s40, s40, s53
	v_mov_b32_e32 v2, s40
	global_store_byte v[8:9], v2, off
.LBB110_154:
	s_mov_b64 s[42:43], 0
	s_mov_b64 s[40:41], -1
.LBB110_155:
	s_andn2_b64 vcc, exec, s[42:43]
	s_cbranch_vccnz .LBB110_163
; %bb.156:
	v_mov_b32_e32 v2, 14
	v_cmp_gt_i16_sdwa s[44:45], s33, v2 src0_sel:BYTE_0 src1_sel:DWORD
	s_mov_b64 s[42:43], -1
	s_and_b64 vcc, exec, s[44:45]
	s_cbranch_vccz .LBB110_160
; %bb.157:
	v_mov_b32_e32 v2, 15
	v_cmp_eq_u16_sdwa s[42:43], s33, v2 src0_sel:BYTE_0 src1_sel:DWORD
	s_mov_b64 s[36:37], -1
	s_and_b64 vcc, exec, s[42:43]
	s_cbranch_vccz .LBB110_159
; %bb.158:
	v_mov_b32_e32 v2, s11
	global_store_short v[8:9], v2, off
	s_mov_b64 s[40:41], -1
	s_mov_b64 s[36:37], 0
.LBB110_159:
	s_mov_b64 s[42:43], 0
.LBB110_160:
	s_and_b64 vcc, exec, s[42:43]
	s_cbranch_vccz .LBB110_163
; %bb.161:
	v_mov_b32_e32 v2, 11
	v_cmp_eq_u16_sdwa s[42:43], s33, v2 src0_sel:BYTE_0 src1_sel:DWORD
	s_mov_b64 s[36:37], -1
	s_and_b64 vcc, exec, s[42:43]
	s_cbranch_vccz .LBB110_163
; %bb.162:
	s_mov_b64 s[40:41], -1
	s_mov_b64 s[36:37], 0
	global_store_byte v[8:9], v12, off
.LBB110_163:
	s_branch .LBB110_113
.LBB110_164:
	v_mov_b32_e32 v2, 5
	v_cmp_lt_i16_sdwa s[42:43], s33, v2 src0_sel:BYTE_0 src1_sel:DWORD
	s_mov_b64 s[40:41], -1
	s_and_b64 vcc, exec, s[42:43]
	s_cbranch_vccnz .LBB110_185
; %bb.165:
	v_mov_b32_e32 v2, 8
	v_cmp_lt_i16_sdwa s[42:43], s33, v2 src0_sel:BYTE_0 src1_sel:DWORD
	s_and_b64 vcc, exec, s[42:43]
	s_cbranch_vccnz .LBB110_175
; %bb.166:
	v_mov_b32_e32 v2, 9
	v_cmp_lt_i16_sdwa s[42:43], s33, v2 src0_sel:BYTE_0 src1_sel:DWORD
	s_and_b64 vcc, exec, s[42:43]
	s_cbranch_vccnz .LBB110_172
; %bb.167:
	v_cmp_gt_i16_sdwa s[42:43], s33, v2 src0_sel:BYTE_0 src1_sel:DWORD
	s_and_b64 vcc, exec, s[42:43]
	s_cbranch_vccz .LBB110_169
; %bb.168:
	v_mov_b32_e32 v2, 0
	v_mov_b32_e32 v3, v2
	s_mov_b64 s[40:41], 0
	global_store_dwordx4 v[8:9], v[0:3], off
.LBB110_169:
	s_andn2_b64 vcc, exec, s[40:41]
	s_cbranch_vccnz .LBB110_171
; %bb.170:
	v_mov_b32_e32 v2, s52
	v_mov_b32_e32 v3, 0
	global_store_dwordx2 v[8:9], v[2:3], off
.LBB110_171:
	s_mov_b64 s[40:41], 0
.LBB110_172:
	s_andn2_b64 vcc, exec, s[40:41]
	s_cbranch_vccnz .LBB110_174
; %bb.173:
	global_store_dword v[8:9], v11, off
.LBB110_174:
	s_mov_b64 s[40:41], 0
.LBB110_175:
	s_andn2_b64 vcc, exec, s[40:41]
	s_cbranch_vccnz .LBB110_184
; %bb.176:
	v_mov_b32_e32 v2, 6
	v_cmp_lt_i16_sdwa s[42:43], s33, v2 src0_sel:BYTE_0 src1_sel:DWORD
	s_mov_b64 s[40:41], -1
	s_and_b64 vcc, exec, s[42:43]
	s_cbranch_vccnz .LBB110_182
; %bb.177:
	v_cmp_gt_i16_sdwa s[42:43], s33, v2 src0_sel:BYTE_0 src1_sel:DWORD
	s_and_b64 vcc, exec, s[42:43]
	s_cbranch_vccz .LBB110_179
; %bb.178:
	s_mov_b64 s[40:41], 0
	global_store_dwordx2 v[8:9], v[0:1], off
.LBB110_179:
	s_andn2_b64 vcc, exec, s[40:41]
	s_cbranch_vccnz .LBB110_181
; %bb.180:
	v_mov_b32_e32 v2, s52
	global_store_dword v[8:9], v2, off
.LBB110_181:
	s_mov_b64 s[40:41], 0
.LBB110_182:
	s_andn2_b64 vcc, exec, s[40:41]
	s_cbranch_vccnz .LBB110_184
; %bb.183:
	global_store_short v[8:9], v11, off
.LBB110_184:
	s_mov_b64 s[40:41], 0
.LBB110_185:
	s_andn2_b64 vcc, exec, s[40:41]
	s_cbranch_vccnz .LBB110_201
; %bb.186:
	v_mov_b32_e32 v2, 2
	v_cmp_lt_i16_sdwa s[42:43], s33, v2 src0_sel:BYTE_0 src1_sel:DWORD
	s_mov_b64 s[40:41], -1
	s_and_b64 vcc, exec, s[42:43]
	s_cbranch_vccnz .LBB110_196
; %bb.187:
	v_mov_b32_e32 v2, 3
	v_cmp_lt_i16_sdwa s[42:43], s33, v2 src0_sel:BYTE_0 src1_sel:DWORD
	s_and_b64 vcc, exec, s[42:43]
	s_cbranch_vccnz .LBB110_193
; %bb.188:
	v_cmp_gt_i16_sdwa s[42:43], s33, v2 src0_sel:BYTE_0 src1_sel:DWORD
	s_and_b64 vcc, exec, s[42:43]
	s_cbranch_vccz .LBB110_190
; %bb.189:
	s_mov_b64 s[40:41], 0
	global_store_dwordx2 v[8:9], v[4:5], off
.LBB110_190:
	s_andn2_b64 vcc, exec, s[40:41]
	s_cbranch_vccnz .LBB110_192
; %bb.191:
	global_store_dword v[8:9], v10, off
.LBB110_192:
	s_mov_b64 s[40:41], 0
.LBB110_193:
	s_andn2_b64 vcc, exec, s[40:41]
	s_cbranch_vccnz .LBB110_195
; %bb.194:
	global_store_short v[8:9], v10, off
.LBB110_195:
	s_mov_b64 s[40:41], 0
.LBB110_196:
	s_andn2_b64 vcc, exec, s[40:41]
	s_cbranch_vccnz .LBB110_201
; %bb.197:
	v_mov_b32_e32 v2, 0
	v_cmp_gt_i16_sdwa s[42:43], s33, v2 src0_sel:BYTE_0 src1_sel:DWORD
	s_mov_b64 s[40:41], -1
	s_and_b64 vcc, exec, s[42:43]
	s_cbranch_vccz .LBB110_199
; %bb.198:
	s_mov_b64 s[40:41], 0
	global_store_byte v[8:9], v10, off
.LBB110_199:
	s_andn2_b64 vcc, exec, s[40:41]
	s_cbranch_vccnz .LBB110_201
; %bb.200:
	global_store_byte v[8:9], v4, off
.LBB110_201:
	s_branch .LBB110_114
.LBB110_202:
	s_mov_b64 s[40:41], 0
                                        ; implicit-def: $vgpr15
.LBB110_203:
	s_andn2_b64 s[42:43], s[30:31], exec
	s_and_b64 s[36:37], s[36:37], exec
	s_or_b64 s[36:37], s[42:43], s[36:37]
	s_orn2_b64 s[42:43], s[40:41], exec
.LBB110_204:
	s_or_b64 exec, exec, s[38:39]
	s_mov_b64 s[44:45], 0
	s_mov_b64 s[40:41], 0
                                        ; implicit-def: $vgpr16
                                        ; implicit-def: $vgpr8_vgpr9
	s_and_saveexec_b64 s[38:39], s[42:43]
	s_cbranch_execz .LBB110_363
; %bb.205:
	v_cmp_gt_i32_e32 vcc, s48, v15
	s_mov_b64 s[46:47], -1
	s_mov_b64 s[42:43], s[36:37]
	s_and_saveexec_b64 s[40:41], vcc
	s_cbranch_execz .LBB110_306
; %bb.206:
	v_mul_lo_u32 v2, v15, s10
	v_ashrrev_i32_e32 v3, 31, v2
	v_mov_b32_e32 v9, s9
	v_add_co_u32_e32 v8, vcc, s8, v2
	v_mov_b32_e32 v2, 11
	v_addc_co_u32_e32 v9, vcc, v9, v3, vcc
	v_cmp_lt_i16_sdwa s[42:43], s33, v2 src0_sel:BYTE_0 src1_sel:DWORD
	s_and_b64 vcc, exec, s[42:43]
	s_cbranch_vccnz .LBB110_213
; %bb.207:
	v_mov_b32_e32 v2, 25
	v_cmp_gt_i16_sdwa s[42:43], s33, v2 src0_sel:BYTE_0 src1_sel:DWORD
	s_and_b64 vcc, exec, s[42:43]
	s_cbranch_vccz .LBB110_214
; %bb.208:
	v_mov_b32_e32 v2, 28
	v_cmp_gt_i16_sdwa s[42:43], s33, v2 src0_sel:BYTE_0 src1_sel:DWORD
	s_and_b64 vcc, exec, s[42:43]
	s_cbranch_vccz .LBB110_215
	;; [unrolled: 5-line block ×4, first 2 shown]
; %bb.211:
	v_mov_b32_e32 v2, 46
	v_cmp_eq_u16_sdwa s[44:45], s33, v2 src0_sel:BYTE_0 src1_sel:DWORD
	s_mov_b64 s[46:47], 0
	s_mov_b64 s[42:43], -1
	s_and_b64 vcc, exec, s[44:45]
	s_mov_b64 s[44:45], 0
	s_cbranch_vccz .LBB110_218
; %bb.212:
	v_mov_b32_e32 v2, s64
	global_store_dword v[8:9], v2, off
	s_mov_b64 s[44:45], -1
	s_mov_b64 s[42:43], 0
	s_branch .LBB110_218
.LBB110_213:
	s_mov_b64 s[42:43], s[36:37]
	s_branch .LBB110_263
.LBB110_214:
	s_mov_b64 s[42:43], s[36:37]
	s_branch .LBB110_240
.LBB110_215:
	s_mov_b64 s[42:43], s[36:37]
	s_branch .LBB110_226
.LBB110_216:
	s_mov_b64 s[42:43], s[36:37]
	s_branch .LBB110_222
.LBB110_217:
	s_mov_b64 s[42:43], s[36:37]
.LBB110_218:
	s_and_b64 vcc, exec, s[46:47]
	s_cbranch_vccz .LBB110_221
; %bb.219:
	v_mov_b32_e32 v2, 44
	v_cmp_eq_u16_sdwa s[46:47], s33, v2 src0_sel:BYTE_0 src1_sel:DWORD
	s_mov_b64 s[42:43], -1
	s_and_b64 vcc, exec, s[46:47]
	s_cbranch_vccz .LBB110_221
; %bb.220:
	v_mov_b32_e32 v2, 0xff
	v_cndmask_b32_e64 v2, v14, v2, s[0:1]
	s_mov_b64 s[44:45], -1
	s_mov_b64 s[42:43], 0
	global_store_byte v[8:9], v2, off
.LBB110_221:
	s_mov_b64 s[46:47], 0
.LBB110_222:
	s_and_b64 vcc, exec, s[46:47]
	s_cbranch_vccz .LBB110_225
; %bb.223:
	v_mov_b32_e32 v2, 29
	v_cmp_eq_u16_sdwa s[46:47], s33, v2 src0_sel:BYTE_0 src1_sel:DWORD
	s_mov_b64 s[42:43], -1
	s_and_b64 vcc, exec, s[46:47]
	s_cbranch_vccz .LBB110_225
; %bb.224:
	global_store_dwordx2 v[8:9], v[6:7], off
	s_mov_b64 s[44:45], -1
	s_mov_b64 s[42:43], 0
.LBB110_225:
	s_mov_b64 s[46:47], 0
.LBB110_226:
	s_and_b64 vcc, exec, s[46:47]
	s_cbranch_vccz .LBB110_239
; %bb.227:
	v_mov_b32_e32 v2, 27
	v_cmp_lt_i16_sdwa s[46:47], s33, v2 src0_sel:BYTE_0 src1_sel:DWORD
	s_mov_b64 s[44:45], -1
	s_and_b64 vcc, exec, s[46:47]
	s_cbranch_vccnz .LBB110_233
; %bb.228:
	v_cmp_gt_i16_sdwa s[46:47], s33, v2 src0_sel:BYTE_0 src1_sel:DWORD
	s_and_b64 vcc, exec, s[46:47]
	s_cbranch_vccz .LBB110_230
; %bb.229:
	s_mov_b64 s[44:45], 0
	global_store_dword v[8:9], v13, off
.LBB110_230:
	s_andn2_b64 vcc, exec, s[44:45]
	s_cbranch_vccnz .LBB110_232
; %bb.231:
	global_store_short v[8:9], v13, off
.LBB110_232:
	s_mov_b64 s[44:45], 0
.LBB110_233:
	s_andn2_b64 vcc, exec, s[44:45]
	s_cbranch_vccnz .LBB110_238
; %bb.234:
	s_andn2_b64 vcc, exec, s[26:27]
	s_movk_i32 s44, 0x80
	s_cbranch_vccnz .LBB110_237
; %bb.235:
	s_or_b64 s[44:45], s[24:25], s[28:29]
	s_andn2_b64 vcc, exec, s[44:45]
	s_mov_b32 s44, 0
	s_cbranch_vccnz .LBB110_237
; %bb.236:
	s_and_b64 s[44:45], s[24:25], exec
	s_cselect_b32 s44, s62, s63
	s_or_b32 s44, s44, s53
.LBB110_237:
	v_mov_b32_e32 v2, s44
	global_store_byte v[8:9], v2, off
.LBB110_238:
	s_mov_b64 s[44:45], -1
.LBB110_239:
	s_mov_b64 s[46:47], 0
.LBB110_240:
	s_and_b64 vcc, exec, s[46:47]
	s_cbranch_vccz .LBB110_262
; %bb.241:
	v_mov_b32_e32 v2, 22
	v_cmp_gt_i16_sdwa s[50:51], s33, v2 src0_sel:BYTE_0 src1_sel:DWORD
	s_mov_b64 s[46:47], -1
	s_and_b64 vcc, exec, s[50:51]
	s_cbranch_vccz .LBB110_254
; %bb.242:
	v_mov_b32_e32 v2, 24
	v_cmp_lt_i16_sdwa s[46:47], s33, v2 src0_sel:BYTE_0 src1_sel:DWORD
	s_mov_b64 s[44:45], -1
	s_and_b64 vcc, exec, s[46:47]
	s_cbranch_vccnz .LBB110_251
; %bb.243:
	v_cmp_gt_i16_sdwa s[46:47], s33, v2 src0_sel:BYTE_0 src1_sel:DWORD
	s_and_b64 vcc, exec, s[46:47]
	s_cbranch_vccz .LBB110_248
; %bb.244:
	s_andn2_b64 vcc, exec, s[20:21]
	s_movk_i32 s44, 0x80
	s_cbranch_vccnz .LBB110_247
; %bb.245:
	s_or_b64 s[44:45], s[18:19], s[22:23]
	s_andn2_b64 vcc, exec, s[44:45]
	s_mov_b32 s44, 0
	s_cbranch_vccnz .LBB110_247
; %bb.246:
	s_and_b64 s[44:45], s[18:19], exec
	s_cselect_b32 s44, s59, s61
	s_or_b32 s44, s44, s53
.LBB110_247:
	v_mov_b32_e32 v2, s44
	s_mov_b64 s[44:45], 0
	global_store_byte v[8:9], v2, off
.LBB110_248:
	s_and_b64 vcc, exec, s[44:45]
	s_cbranch_vccz .LBB110_250
; %bb.249:
	s_and_b64 s[44:45], s[16:17], exec
	s_cselect_b32 s46, s58, s57
	s_and_b64 s[44:45], s[14:15], exec
	s_cselect_b32 s44, s60, s46
	s_or_b32 s44, s44, s53
	v_mov_b32_e32 v2, s44
	global_store_byte v[8:9], v2, off
.LBB110_250:
	s_mov_b64 s[44:45], 0
.LBB110_251:
	s_andn2_b64 vcc, exec, s[44:45]
	s_cbranch_vccnz .LBB110_253
; %bb.252:
	s_and_b64 s[44:45], s[12:13], exec
	s_cselect_b32 s46, s55, s54
	s_and_b64 s[44:45], s[6:7], exec
	s_cselect_b32 s44, s56, s46
	s_or_b32 s44, s44, s53
	v_mov_b32_e32 v2, s44
	global_store_byte v[8:9], v2, off
.LBB110_253:
	s_mov_b64 s[46:47], 0
	s_mov_b64 s[44:45], -1
.LBB110_254:
	s_andn2_b64 vcc, exec, s[46:47]
	s_cbranch_vccnz .LBB110_262
; %bb.255:
	v_mov_b32_e32 v2, 14
	v_cmp_gt_i16_sdwa s[50:51], s33, v2 src0_sel:BYTE_0 src1_sel:DWORD
	s_mov_b64 s[46:47], -1
	s_and_b64 vcc, exec, s[50:51]
	s_cbranch_vccz .LBB110_259
; %bb.256:
	v_mov_b32_e32 v2, 15
	v_cmp_eq_u16_sdwa s[46:47], s33, v2 src0_sel:BYTE_0 src1_sel:DWORD
	s_mov_b64 s[42:43], -1
	s_and_b64 vcc, exec, s[46:47]
	s_cbranch_vccz .LBB110_258
; %bb.257:
	v_mov_b32_e32 v2, s11
	global_store_short v[8:9], v2, off
	s_mov_b64 s[44:45], -1
	s_mov_b64 s[42:43], 0
.LBB110_258:
	s_mov_b64 s[46:47], 0
.LBB110_259:
	s_and_b64 vcc, exec, s[46:47]
	s_cbranch_vccz .LBB110_262
; %bb.260:
	v_mov_b32_e32 v2, 11
	v_cmp_eq_u16_sdwa s[46:47], s33, v2 src0_sel:BYTE_0 src1_sel:DWORD
	s_mov_b64 s[42:43], -1
	s_and_b64 vcc, exec, s[46:47]
	s_cbranch_vccz .LBB110_262
; %bb.261:
	s_mov_b64 s[44:45], -1
	s_mov_b64 s[42:43], 0
	global_store_byte v[8:9], v12, off
.LBB110_262:
	s_mov_b64 s[46:47], 0
.LBB110_263:
	s_and_b64 vcc, exec, s[46:47]
	s_cbranch_vccz .LBB110_302
; %bb.264:
	v_mov_b32_e32 v2, 5
	v_cmp_lt_i16_sdwa s[46:47], s33, v2 src0_sel:BYTE_0 src1_sel:DWORD
	s_mov_b64 s[44:45], -1
	s_and_b64 vcc, exec, s[46:47]
	s_cbranch_vccnz .LBB110_285
; %bb.265:
	v_mov_b32_e32 v2, 8
	v_cmp_lt_i16_sdwa s[46:47], s33, v2 src0_sel:BYTE_0 src1_sel:DWORD
	s_and_b64 vcc, exec, s[46:47]
	s_cbranch_vccnz .LBB110_275
; %bb.266:
	v_mov_b32_e32 v2, 9
	v_cmp_lt_i16_sdwa s[46:47], s33, v2 src0_sel:BYTE_0 src1_sel:DWORD
	s_and_b64 vcc, exec, s[46:47]
	s_cbranch_vccnz .LBB110_272
; %bb.267:
	v_cmp_gt_i16_sdwa s[46:47], s33, v2 src0_sel:BYTE_0 src1_sel:DWORD
	s_and_b64 vcc, exec, s[46:47]
	s_cbranch_vccz .LBB110_269
; %bb.268:
	v_mov_b32_e32 v2, 0
	v_mov_b32_e32 v3, v2
	s_mov_b64 s[44:45], 0
	global_store_dwordx4 v[8:9], v[0:3], off
.LBB110_269:
	s_andn2_b64 vcc, exec, s[44:45]
	s_cbranch_vccnz .LBB110_271
; %bb.270:
	v_mov_b32_e32 v2, s52
	v_mov_b32_e32 v3, 0
	global_store_dwordx2 v[8:9], v[2:3], off
.LBB110_271:
	s_mov_b64 s[44:45], 0
.LBB110_272:
	s_andn2_b64 vcc, exec, s[44:45]
	s_cbranch_vccnz .LBB110_274
; %bb.273:
	global_store_dword v[8:9], v11, off
.LBB110_274:
	s_mov_b64 s[44:45], 0
.LBB110_275:
	s_andn2_b64 vcc, exec, s[44:45]
	s_cbranch_vccnz .LBB110_284
; %bb.276:
	v_mov_b32_e32 v2, 6
	v_cmp_lt_i16_sdwa s[46:47], s33, v2 src0_sel:BYTE_0 src1_sel:DWORD
	s_mov_b64 s[44:45], -1
	s_and_b64 vcc, exec, s[46:47]
	s_cbranch_vccnz .LBB110_282
; %bb.277:
	v_cmp_gt_i16_sdwa s[46:47], s33, v2 src0_sel:BYTE_0 src1_sel:DWORD
	s_and_b64 vcc, exec, s[46:47]
	s_cbranch_vccz .LBB110_279
; %bb.278:
	s_mov_b64 s[44:45], 0
	global_store_dwordx2 v[8:9], v[0:1], off
.LBB110_279:
	s_andn2_b64 vcc, exec, s[44:45]
	s_cbranch_vccnz .LBB110_281
; %bb.280:
	v_mov_b32_e32 v2, s52
	global_store_dword v[8:9], v2, off
.LBB110_281:
	s_mov_b64 s[44:45], 0
.LBB110_282:
	s_andn2_b64 vcc, exec, s[44:45]
	s_cbranch_vccnz .LBB110_284
; %bb.283:
	global_store_short v[8:9], v11, off
.LBB110_284:
	s_mov_b64 s[44:45], 0
.LBB110_285:
	s_andn2_b64 vcc, exec, s[44:45]
	s_cbranch_vccnz .LBB110_301
; %bb.286:
	v_mov_b32_e32 v2, 2
	v_cmp_lt_i16_sdwa s[46:47], s33, v2 src0_sel:BYTE_0 src1_sel:DWORD
	s_mov_b64 s[44:45], -1
	s_and_b64 vcc, exec, s[46:47]
	s_cbranch_vccnz .LBB110_296
; %bb.287:
	v_mov_b32_e32 v2, 3
	v_cmp_lt_i16_sdwa s[46:47], s33, v2 src0_sel:BYTE_0 src1_sel:DWORD
	s_and_b64 vcc, exec, s[46:47]
	s_cbranch_vccnz .LBB110_293
; %bb.288:
	v_cmp_gt_i16_sdwa s[46:47], s33, v2 src0_sel:BYTE_0 src1_sel:DWORD
	s_and_b64 vcc, exec, s[46:47]
	s_cbranch_vccz .LBB110_290
; %bb.289:
	s_mov_b64 s[44:45], 0
	global_store_dwordx2 v[8:9], v[4:5], off
.LBB110_290:
	s_andn2_b64 vcc, exec, s[44:45]
	s_cbranch_vccnz .LBB110_292
; %bb.291:
	global_store_dword v[8:9], v10, off
.LBB110_292:
	s_mov_b64 s[44:45], 0
.LBB110_293:
	s_andn2_b64 vcc, exec, s[44:45]
	s_cbranch_vccnz .LBB110_295
; %bb.294:
	global_store_short v[8:9], v10, off
.LBB110_295:
	s_mov_b64 s[44:45], 0
.LBB110_296:
	s_andn2_b64 vcc, exec, s[44:45]
	s_cbranch_vccnz .LBB110_301
; %bb.297:
	v_mov_b32_e32 v2, 0
	v_cmp_gt_i16_sdwa s[46:47], s33, v2 src0_sel:BYTE_0 src1_sel:DWORD
	s_mov_b64 s[44:45], -1
	s_and_b64 vcc, exec, s[46:47]
	s_cbranch_vccz .LBB110_299
; %bb.298:
	s_mov_b64 s[44:45], 0
	global_store_byte v[8:9], v10, off
.LBB110_299:
	s_andn2_b64 vcc, exec, s[44:45]
	s_cbranch_vccnz .LBB110_301
; %bb.300:
	global_store_byte v[8:9], v4, off
.LBB110_301:
	s_mov_b64 s[44:45], -1
.LBB110_302:
	s_andn2_b64 vcc, exec, s[44:45]
	s_cbranch_vccnz .LBB110_304
; %bb.303:
	v_add_u32_e32 v15, 0x80, v15
	s_mov_b64 s[44:45], -1
	s_branch .LBB110_305
.LBB110_304:
	s_mov_b64 s[44:45], 0
                                        ; implicit-def: $vgpr15
.LBB110_305:
	s_andn2_b64 s[46:47], s[36:37], exec
	s_and_b64 s[42:43], s[42:43], exec
	s_or_b64 s[42:43], s[46:47], s[42:43]
	s_orn2_b64 s[46:47], s[44:45], exec
.LBB110_306:
	s_or_b64 exec, exec, s[40:41]
	s_mov_b64 s[44:45], 0
	s_mov_b64 s[50:51], 0
                                        ; implicit-def: $vgpr16
                                        ; implicit-def: $vgpr8_vgpr9
	s_and_saveexec_b64 s[40:41], s[46:47]
	s_cbranch_execz .LBB110_362
; %bb.307:
	v_cmp_gt_i32_e32 vcc, s48, v15
	s_mov_b64 s[48:49], 0
	s_mov_b64 s[46:47], s[42:43]
                                        ; implicit-def: $vgpr16
                                        ; implicit-def: $vgpr8_vgpr9
	s_and_saveexec_b64 s[44:45], vcc
	s_cbranch_execz .LBB110_361
; %bb.308:
	v_mul_lo_u32 v2, v15, s10
	v_ashrrev_i32_e32 v3, 31, v2
	v_mov_b32_e32 v9, s9
	v_add_co_u32_e32 v8, vcc, s8, v2
	v_mov_b32_e32 v2, 0xff
	v_addc_co_u32_e32 v9, vcc, v9, v3, vcc
	v_and_b32_e32 v16, s33, v2
	v_cmp_gt_i16_e32 vcc, 11, v16
	s_cbranch_vccnz .LBB110_358
; %bb.309:
	v_cmp_lt_i16_e32 vcc, 25, v16
	s_mov_b64 s[48:49], -1
	s_mov_b64 s[46:47], s[42:43]
	s_cbranch_vccz .LBB110_337
; %bb.310:
	v_cmp_lt_i16_e32 vcc, 28, v16
	s_mov_b64 s[46:47], s[42:43]
	s_cbranch_vccz .LBB110_324
; %bb.311:
	v_cmp_lt_i16_e32 vcc, 43, v16
	;; [unrolled: 4-line block ×3, first 2 shown]
	s_mov_b64 s[46:47], s[42:43]
	s_cbranch_vccz .LBB110_316
; %bb.313:
	v_cmp_eq_u16_e32 vcc, 46, v16
	s_mov_b64 s[46:47], -1
	s_cbranch_vccz .LBB110_315
; %bb.314:
	v_mov_b32_e32 v2, s64
	global_store_dword v[8:9], v2, off
	s_mov_b64 s[46:47], 0
.LBB110_315:
	s_mov_b64 s[48:49], 0
.LBB110_316:
	s_and_b64 vcc, exec, s[48:49]
	s_cbranch_vccz .LBB110_319
; %bb.317:
	v_cmp_eq_u16_e32 vcc, 44, v16
	s_mov_b64 s[46:47], -1
	s_cbranch_vccz .LBB110_319
; %bb.318:
	v_mov_b32_e32 v2, 0xff
	v_cndmask_b32_e64 v2, v14, v2, s[0:1]
	global_store_byte v[8:9], v2, off
	s_mov_b64 s[46:47], 0
.LBB110_319:
	s_mov_b64 s[48:49], 0
.LBB110_320:
	s_and_b64 vcc, exec, s[48:49]
	s_cbranch_vccz .LBB110_323
; %bb.321:
	v_cmp_eq_u16_e32 vcc, 29, v16
	s_mov_b64 s[46:47], -1
	s_cbranch_vccz .LBB110_323
; %bb.322:
	global_store_dwordx2 v[8:9], v[6:7], off
	s_mov_b64 s[46:47], 0
.LBB110_323:
	s_mov_b64 s[48:49], 0
.LBB110_324:
	s_and_b64 vcc, exec, s[48:49]
	s_cbranch_vccz .LBB110_336
; %bb.325:
	v_cmp_gt_i16_e32 vcc, 27, v16
	s_mov_b64 s[0:1], -1
	s_cbranch_vccnz .LBB110_331
; %bb.326:
	v_cmp_lt_i16_e32 vcc, 27, v16
	s_cbranch_vccz .LBB110_328
; %bb.327:
	s_mov_b64 s[0:1], 0
	global_store_dword v[8:9], v13, off
.LBB110_328:
	s_andn2_b64 vcc, exec, s[0:1]
	s_cbranch_vccnz .LBB110_330
; %bb.329:
	global_store_short v[8:9], v13, off
.LBB110_330:
	s_mov_b64 s[0:1], 0
.LBB110_331:
	s_andn2_b64 vcc, exec, s[0:1]
	s_cbranch_vccnz .LBB110_336
; %bb.332:
	s_andn2_b64 vcc, exec, s[26:27]
	s_movk_i32 s0, 0x80
	s_cbranch_vccnz .LBB110_335
; %bb.333:
	s_or_b64 s[0:1], s[24:25], s[28:29]
	s_andn2_b64 vcc, exec, s[0:1]
	s_mov_b32 s0, 0
	s_cbranch_vccnz .LBB110_335
; %bb.334:
	s_and_b64 s[0:1], s[24:25], exec
	s_cselect_b32 s0, s62, s63
	s_or_b32 s0, s0, s53
.LBB110_335:
	v_mov_b32_e32 v2, s0
	global_store_byte v[8:9], v2, off
.LBB110_336:
	s_mov_b64 s[48:49], 0
.LBB110_337:
	s_mov_b64 s[0:1], 0
	s_and_b64 vcc, exec, s[48:49]
	s_cbranch_vccz .LBB110_359
; %bb.338:
	v_cmp_lt_i16_e32 vcc, 22, v16
	s_mov_b64 s[24:25], -1
	s_cbranch_vccz .LBB110_351
; %bb.339:
	v_cmp_gt_i16_e32 vcc, 24, v16
	s_cbranch_vccnz .LBB110_348
; %bb.340:
	v_cmp_lt_i16_e32 vcc, 24, v16
	s_cbranch_vccz .LBB110_345
; %bb.341:
	s_andn2_b64 vcc, exec, s[20:21]
	s_movk_i32 s20, 0x80
	s_cbranch_vccnz .LBB110_344
; %bb.342:
	s_or_b64 s[20:21], s[18:19], s[22:23]
	s_andn2_b64 vcc, exec, s[20:21]
	s_mov_b32 s20, 0
	s_cbranch_vccnz .LBB110_344
; %bb.343:
	s_and_b64 s[18:19], s[18:19], exec
	s_cselect_b32 s18, s59, s61
	s_or_b32 s20, s18, s53
.LBB110_344:
	v_mov_b32_e32 v2, s20
	s_mov_b64 s[24:25], 0
	global_store_byte v[8:9], v2, off
.LBB110_345:
	s_and_b64 vcc, exec, s[24:25]
	s_cbranch_vccz .LBB110_347
; %bb.346:
	s_and_b64 s[16:17], s[16:17], exec
	s_cselect_b32 s16, s58, s57
	s_and_b64 s[14:15], s[14:15], exec
	s_cselect_b32 s14, s60, s16
	s_or_b32 s14, s14, s53
	v_mov_b32_e32 v2, s14
	global_store_byte v[8:9], v2, off
.LBB110_347:
	s_mov_b64 s[24:25], 0
.LBB110_348:
	s_andn2_b64 vcc, exec, s[24:25]
	s_cbranch_vccnz .LBB110_350
; %bb.349:
	s_and_b64 s[12:13], s[12:13], exec
	s_cselect_b32 s12, s55, s54
	s_and_b64 s[6:7], s[6:7], exec
	s_cselect_b32 s6, s56, s12
	s_or_b32 s6, s6, s53
	v_mov_b32_e32 v2, s6
	global_store_byte v[8:9], v2, off
.LBB110_350:
	s_mov_b64 s[24:25], 0
.LBB110_351:
	s_andn2_b64 vcc, exec, s[24:25]
	s_mov_b64 s[6:7], 0
	s_cbranch_vccnz .LBB110_360
; %bb.352:
	v_cmp_lt_i16_e32 vcc, 14, v16
	s_mov_b64 s[12:13], -1
	s_cbranch_vccz .LBB110_356
; %bb.353:
	v_cmp_eq_u16_e32 vcc, 15, v16
	s_mov_b64 s[46:47], -1
	s_cbranch_vccz .LBB110_355
; %bb.354:
	v_mov_b32_e32 v2, s11
	global_store_short v[8:9], v2, off
	s_mov_b64 s[46:47], 0
.LBB110_355:
	s_mov_b64 s[12:13], 0
.LBB110_356:
	s_and_b64 vcc, exec, s[12:13]
	s_cbranch_vccz .LBB110_360
; %bb.357:
	v_cmp_ne_u16_e32 vcc, 11, v16
	s_andn2_b64 s[12:13], s[46:47], exec
	s_and_b64 s[14:15], vcc, exec
	s_mov_b64 s[6:7], -1
	s_or_b64 s[46:47], s[12:13], s[14:15]
	s_branch .LBB110_360
.LBB110_358:
	s_mov_b64 s[6:7], 0
	s_mov_b64 s[0:1], -1
	s_mov_b64 s[46:47], s[42:43]
	s_branch .LBB110_360
.LBB110_359:
	s_mov_b64 s[6:7], 0
.LBB110_360:
	s_and_b64 s[50:51], s[0:1], exec
	s_and_b64 s[48:49], s[6:7], exec
	s_andn2_b64 s[0:1], s[42:43], exec
	s_and_b64 s[6:7], s[46:47], exec
	s_or_b64 s[46:47], s[0:1], s[6:7]
.LBB110_361:
	s_or_b64 exec, exec, s[44:45]
	s_andn2_b64 s[0:1], s[42:43], exec
	s_and_b64 s[6:7], s[46:47], exec
	s_and_b64 s[50:51], s[50:51], exec
	;; [unrolled: 1-line block ×3, first 2 shown]
	s_or_b64 s[42:43], s[0:1], s[6:7]
.LBB110_362:
	s_or_b64 exec, exec, s[40:41]
	s_andn2_b64 s[0:1], s[36:37], exec
	s_and_b64 s[6:7], s[42:43], exec
	s_and_b64 s[40:41], s[50:51], exec
	s_and_b64 s[44:45], s[44:45], exec
	s_or_b64 s[36:37], s[0:1], s[6:7]
.LBB110_363:
	s_or_b64 exec, exec, s[38:39]
	s_andn2_b64 s[0:1], s[30:31], exec
	s_and_b64 s[6:7], s[36:37], exec
	s_and_b64 s[40:41], s[40:41], exec
	;; [unrolled: 1-line block ×3, first 2 shown]
	s_or_b64 s[30:31], s[0:1], s[6:7]
	s_or_b64 exec, exec, s[34:35]
	s_mov_b64 s[0:1], 0
	s_and_saveexec_b64 s[6:7], s[30:31]
	s_cbranch_execz .LBB110_110
.LBB110_364:
	s_mov_b64 s[0:1], exec
	s_andn2_b64 s[38:39], s[38:39], exec
	s_trap 2
	s_or_b64 exec, exec, s[6:7]
	s_and_saveexec_b64 s[6:7], s[38:39]
	s_xor_b64 s[6:7], exec, s[6:7]
	s_cbranch_execnz .LBB110_111
.LBB110_365:
	s_or_b64 exec, exec, s[6:7]
	s_and_saveexec_b64 s[6:7], s[40:41]
	s_xor_b64 s[6:7], exec, s[6:7]
	s_cbranch_execz .LBB110_403
.LBB110_366:
	v_cmp_gt_i16_e32 vcc, 5, v16
	s_mov_b64 s[12:13], -1
	s_cbranch_vccnz .LBB110_387
; %bb.367:
	v_cmp_gt_i16_e32 vcc, 8, v16
	s_cbranch_vccnz .LBB110_377
; %bb.368:
	v_cmp_gt_i16_e32 vcc, 9, v16
	s_cbranch_vccnz .LBB110_374
; %bb.369:
	v_cmp_lt_i16_e32 vcc, 9, v16
	s_cbranch_vccz .LBB110_371
; %bb.370:
	v_mov_b32_e32 v2, 0
	v_mov_b32_e32 v3, v2
	s_mov_b64 s[12:13], 0
	global_store_dwordx4 v[8:9], v[0:3], off
.LBB110_371:
	s_andn2_b64 vcc, exec, s[12:13]
	s_cbranch_vccnz .LBB110_373
; %bb.372:
	v_mov_b32_e32 v2, s52
	v_mov_b32_e32 v3, 0
	global_store_dwordx2 v[8:9], v[2:3], off
.LBB110_373:
	s_mov_b64 s[12:13], 0
.LBB110_374:
	s_andn2_b64 vcc, exec, s[12:13]
	s_cbranch_vccnz .LBB110_376
; %bb.375:
	global_store_dword v[8:9], v11, off
.LBB110_376:
	s_mov_b64 s[12:13], 0
.LBB110_377:
	s_andn2_b64 vcc, exec, s[12:13]
	s_cbranch_vccnz .LBB110_386
; %bb.378:
	v_cmp_gt_i16_e32 vcc, 6, v16
	s_mov_b64 s[12:13], -1
	s_cbranch_vccnz .LBB110_384
; %bb.379:
	v_cmp_lt_i16_e32 vcc, 6, v16
	s_cbranch_vccz .LBB110_381
; %bb.380:
	s_mov_b64 s[12:13], 0
	global_store_dwordx2 v[8:9], v[0:1], off
.LBB110_381:
	s_andn2_b64 vcc, exec, s[12:13]
	s_cbranch_vccnz .LBB110_383
; %bb.382:
	v_mov_b32_e32 v0, s52
	global_store_dword v[8:9], v0, off
.LBB110_383:
	s_mov_b64 s[12:13], 0
.LBB110_384:
	s_andn2_b64 vcc, exec, s[12:13]
	s_cbranch_vccnz .LBB110_386
; %bb.385:
	global_store_short v[8:9], v11, off
.LBB110_386:
	s_mov_b64 s[12:13], 0
.LBB110_387:
	s_andn2_b64 vcc, exec, s[12:13]
	s_cbranch_vccnz .LBB110_403
; %bb.388:
	v_cmp_gt_i16_e32 vcc, 2, v16
	s_mov_b64 s[12:13], -1
	s_cbranch_vccnz .LBB110_398
; %bb.389:
	v_cmp_gt_i16_e32 vcc, 3, v16
	s_cbranch_vccnz .LBB110_395
; %bb.390:
	v_cmp_lt_i16_e32 vcc, 3, v16
	s_cbranch_vccz .LBB110_392
; %bb.391:
	s_mov_b64 s[12:13], 0
	global_store_dwordx2 v[8:9], v[4:5], off
.LBB110_392:
	s_andn2_b64 vcc, exec, s[12:13]
	s_cbranch_vccnz .LBB110_394
; %bb.393:
	global_store_dword v[8:9], v10, off
.LBB110_394:
	s_mov_b64 s[12:13], 0
.LBB110_395:
	s_andn2_b64 vcc, exec, s[12:13]
	s_cbranch_vccnz .LBB110_397
; %bb.396:
	global_store_short v[8:9], v10, off
.LBB110_397:
	s_mov_b64 s[12:13], 0
.LBB110_398:
	s_andn2_b64 vcc, exec, s[12:13]
	s_cbranch_vccnz .LBB110_403
; %bb.399:
	v_cmp_lt_i16_e32 vcc, 0, v16
	s_mov_b64 s[12:13], -1
	s_cbranch_vccz .LBB110_401
; %bb.400:
	s_mov_b64 s[12:13], 0
	global_store_byte v[8:9], v10, off
.LBB110_401:
	s_andn2_b64 vcc, exec, s[12:13]
	s_cbranch_vccnz .LBB110_403
; %bb.402:
	global_store_byte v[8:9], v4, off
.LBB110_403:
	s_or_b64 exec, exec, s[6:7]
	s_and_b64 s[0:1], s[0:1], exec
                                        ; implicit-def: $vgpr15
.LBB110_404:
	s_or_saveexec_b64 s[2:3], s[2:3]
	s_mov_b64 s[12:13], 0
                                        ; implicit-def: $vgpr2
                                        ; implicit-def: $vgpr0_vgpr1
	s_xor_b64 exec, exec, s[2:3]
	s_cbranch_execz .LBB110_412
; %bb.405:
	v_mul_lo_u32 v2, s10, v15
	v_ashrrev_i32_e32 v1, 31, v2
	v_mov_b32_e32 v3, s9
	v_add_co_u32_e32 v0, vcc, s8, v2
	v_addc_co_u32_e32 v1, vcc, v3, v1, vcc
	v_mov_b32_e32 v3, 11
	v_cmp_lt_i16_sdwa s[4:5], s33, v3 src0_sel:BYTE_0 src1_sel:DWORD
	s_and_b64 vcc, exec, s[4:5]
	s_cbranch_vccnz .LBB110_415
; %bb.406:
	v_mov_b32_e32 v3, 25
	v_cmp_gt_i16_sdwa s[4:5], s33, v3 src0_sel:BYTE_0 src1_sel:DWORD
	s_mov_b64 s[6:7], -1
	s_and_b64 vcc, exec, s[4:5]
	s_mov_b64 s[14:15], 0
	s_mov_b64 s[4:5], 0
	s_cbranch_vccz .LBB110_448
; %bb.407:
	v_mov_b32_e32 v3, 28
	v_cmp_gt_i16_sdwa s[4:5], s33, v3 src0_sel:BYTE_0 src1_sel:DWORD
	s_and_b64 vcc, exec, s[4:5]
	s_cbranch_vccz .LBB110_417
; %bb.408:
	v_mov_b32_e32 v3, 43
	v_cmp_gt_i16_sdwa s[4:5], s33, v3 src0_sel:BYTE_0 src1_sel:DWORD
	s_and_b64 vcc, exec, s[4:5]
	;; [unrolled: 5-line block ×3, first 2 shown]
	s_cbranch_vccz .LBB110_419
; %bb.410:
	v_mov_b32_e32 v3, 46
	v_cmp_eq_u16_sdwa s[14:15], s33, v3 src0_sel:BYTE_0 src1_sel:DWORD
	s_mov_b64 s[4:5], -1
	s_mov_b64 s[6:7], 0
	s_and_b64 vcc, exec, s[14:15]
	s_mov_b64 s[14:15], 0
	s_cbranch_vccz .LBB110_420
; %bb.411:
	s_and_b32 s4, 0xffff, s11
	v_mov_b32_e32 v3, s4
	global_store_dword v[0:1], v3, off
	s_mov_b64 s[4:5], 0
	s_mov_b64 s[14:15], -1
	s_branch .LBB110_420
.LBB110_412:
	s_or_b64 exec, exec, s[2:3]
	s_and_saveexec_b64 s[2:3], s[0:1]
	s_cbranch_execz .LBB110_842
.LBB110_413:
	; divergent unreachable
	s_or_b64 exec, exec, s[2:3]
	s_and_saveexec_b64 s[0:1], s[4:5]
	s_xor_b64 s[0:1], exec, s[0:1]
	s_cbranch_execnz .LBB110_843
.LBB110_414:
	s_or_b64 exec, exec, s[0:1]
	s_and_saveexec_b64 s[0:1], s[12:13]
	s_cbranch_execnz .LBB110_844
	s_branch .LBB110_881
.LBB110_415:
	s_mov_b64 s[14:15], 0
	s_mov_b64 s[6:7], s[0:1]
	s_cbranch_execnz .LBB110_498
.LBB110_416:
	s_andn2_b64 vcc, exec, s[14:15]
	s_cbranch_vccz .LBB110_536
	s_branch .LBB110_840
.LBB110_417:
	s_mov_b64 s[4:5], 0
	s_branch .LBB110_429
.LBB110_418:
	s_mov_b64 s[4:5], 0
	s_and_b64 vcc, exec, s[6:7]
	s_cbranch_vccnz .LBB110_426
	s_branch .LBB110_428
.LBB110_419:
	s_mov_b64 s[4:5], 0
.LBB110_420:
	s_and_b64 vcc, exec, s[6:7]
	s_cbranch_vccz .LBB110_425
; %bb.421:
	v_mov_b32_e32 v3, 44
	v_cmp_eq_u16_sdwa s[6:7], s33, v3 src0_sel:BYTE_0 src1_sel:DWORD
	s_mov_b64 s[4:5], -1
	s_and_b64 vcc, exec, s[6:7]
	s_cbranch_vccz .LBB110_425
; %bb.422:
	s_and_b32 s5, 0xffff, s11
	s_bfe_u32 s4, s5, 0x80007
	s_cmpk_eq_i32 s4, 0xff
	v_mov_b32_e32 v3, 0xff
	s_cbranch_scc1 .LBB110_424
; %bb.423:
	s_lshr_b32 s14, s5, 7
	s_lshl_b32 s15, s5, 16
	s_bitcmp1_b32 s5, 6
	s_cselect_b64 s[6:7], -1, 0
	s_and_b32 s5, s15, 0x3f0000
	s_or_b32 s4, s4, s5
	s_cmp_lg_u32 s4, 0
	s_cselect_b64 s[4:5], -1, 0
	s_and_b64 s[4:5], s[6:7], s[4:5]
	v_cndmask_b32_e64 v3, 0, 1, s[4:5]
	v_add_u32_e32 v3, s14, v3
.LBB110_424:
	s_mov_b64 s[4:5], 0
	s_mov_b64 s[14:15], -1
	global_store_byte v[0:1], v3, off
.LBB110_425:
	s_branch .LBB110_428
.LBB110_426:
	v_mov_b32_e32 v3, 29
	v_cmp_eq_u16_sdwa s[6:7], s33, v3 src0_sel:BYTE_0 src1_sel:DWORD
	s_mov_b64 s[4:5], -1
	s_and_b64 vcc, exec, s[6:7]
	s_cbranch_vccz .LBB110_428
; %bb.427:
	s_lshl_b32 s4, s11, 16
	v_trunc_f32_e32 v3, s4
	v_mul_f32_e32 v4, 0x2f800000, v3
	v_floor_f32_e32 v4, v4
	v_fmac_f32_e32 v3, 0xcf800000, v4
	v_cvt_u32_f32_e32 v5, v4
	v_cvt_u32_f32_e32 v4, v3
	s_mov_b64 s[4:5], 0
	s_mov_b64 s[14:15], -1
	s_mov_b64 s[6:7], 0
	global_store_dwordx2 v[0:1], v[4:5], off
	s_branch .LBB110_429
.LBB110_428:
	s_mov_b64 s[6:7], 0
.LBB110_429:
	s_and_b64 vcc, exec, s[6:7]
	s_cbranch_vccz .LBB110_447
; %bb.430:
	v_mov_b32_e32 v3, 27
	v_cmp_lt_i16_sdwa s[14:15], s33, v3 src0_sel:BYTE_0 src1_sel:DWORD
	s_mov_b64 s[6:7], -1
	s_and_b64 vcc, exec, s[14:15]
	s_cbranch_vccnz .LBB110_436
; %bb.431:
	v_cmp_gt_i16_sdwa s[14:15], s33, v3 src0_sel:BYTE_0 src1_sel:DWORD
	s_and_b64 vcc, exec, s[14:15]
	s_cbranch_vccz .LBB110_433
; %bb.432:
	s_lshl_b32 s6, s11, 16
	v_cvt_u32_f32_e32 v3, s6
	s_mov_b64 s[6:7], 0
	global_store_dword v[0:1], v3, off
.LBB110_433:
	s_andn2_b64 vcc, exec, s[6:7]
	s_cbranch_vccnz .LBB110_435
; %bb.434:
	s_lshl_b32 s6, s11, 16
	v_cvt_u32_f32_e32 v3, s6
	global_store_short v[0:1], v3, off
.LBB110_435:
	s_mov_b64 s[6:7], 0
.LBB110_436:
	s_andn2_b64 vcc, exec, s[6:7]
	s_cbranch_vccnz .LBB110_446
; %bb.437:
	s_lshl_b32 s17, s11, 16
	s_and_b32 s6, s17, 0x7fffffff
	s_cmp_gt_u32 s6, 0x437fffff
	v_mov_b32_e32 v4, 0x80
	s_cbranch_scc1 .LBB110_445
; %bb.438:
	s_and_b32 s16, 0xffff, s11
	s_cmp_gt_u32 s6, 0x3bffffff
	s_cbranch_scc0 .LBB110_440
; %bb.439:
	s_bfe_u32 s6, s16, 0x10004
	s_add_i32 s6, s17, s6
	s_add_i32 s6, s6, 0x487ffff
	s_lshr_b32 s18, s6, 20
	s_mov_b64 s[14:15], 0
	s_mov_b64 s[6:7], -1
	s_branch .LBB110_441
.LBB110_440:
	s_mov_b64 s[14:15], -1
	s_mov_b64 s[6:7], 0
                                        ; implicit-def: $sgpr18
.LBB110_441:
	s_andn2_b64 vcc, exec, s[14:15]
	v_mov_b32_e32 v3, s18
                                        ; implicit-def: $sgpr14
	s_cbranch_vccnz .LBB110_443
; %bb.442:
	v_mov_b32_e32 v3, 0x46000000
	v_add_f32_e64 v3, |s17|, v3
	v_and_b32_e32 v3, 0xff, v3
	s_mov_b32 s14, 0
	v_cmp_ne_u32_e64 s[6:7], 0, v3
.LBB110_443:
	s_andn2_b64 vcc, exec, s[6:7]
	v_mov_b32_e32 v4, s14
	s_cbranch_vccnz .LBB110_445
; %bb.444:
	s_lshr_b32 s6, s16, 8
	s_and_b32 s6, s6, 0x80
	v_or_b32_e32 v4, s6, v3
.LBB110_445:
	global_store_byte v[0:1], v4, off
.LBB110_446:
	s_mov_b64 s[14:15], -1
.LBB110_447:
	s_mov_b64 s[6:7], 0
.LBB110_448:
	s_and_b64 vcc, exec, s[6:7]
	s_cbranch_vccz .LBB110_494
; %bb.449:
	v_mov_b32_e32 v3, 22
	v_cmp_gt_i16_sdwa s[12:13], s33, v3 src0_sel:BYTE_0 src1_sel:DWORD
	s_mov_b64 s[6:7], -1
	s_and_b64 vcc, exec, s[12:13]
	s_cbranch_vccz .LBB110_487
; %bb.450:
	v_mov_b32_e32 v3, 24
	v_cmp_lt_i16_sdwa s[12:13], s33, v3 src0_sel:BYTE_0 src1_sel:DWORD
	s_and_b64 vcc, exec, s[12:13]
	s_cbranch_vccnz .LBB110_474
; %bb.451:
	v_cmp_gt_i16_sdwa s[12:13], s33, v3 src0_sel:BYTE_0 src1_sel:DWORD
	s_and_b64 vcc, exec, s[12:13]
	s_cbranch_vccz .LBB110_461
; %bb.452:
	s_lshl_b32 s15, s11, 16
	s_and_b32 s6, s15, 0x7fffffff
	s_cmp_gt_u32 s6, 0x477fffff
	v_mov_b32_e32 v4, 0x80
	s_cbranch_scc1 .LBB110_460
; %bb.453:
	s_and_b32 s14, 0xffff, s11
	s_cmp_gt_u32 s6, 0x37ffffff
	s_cbranch_scc0 .LBB110_455
; %bb.454:
	s_bfe_u32 s6, s14, 0x10005
	s_add_i32 s6, s15, s6
	s_add_i32 s6, s6, 0x88fffff
	s_lshr_b32 s16, s6, 21
	s_mov_b64 s[12:13], 0
	s_mov_b64 s[6:7], -1
	s_branch .LBB110_456
.LBB110_455:
	s_mov_b64 s[12:13], -1
	s_mov_b64 s[6:7], 0
                                        ; implicit-def: $sgpr16
.LBB110_456:
	s_andn2_b64 vcc, exec, s[12:13]
	v_mov_b32_e32 v3, s16
                                        ; implicit-def: $sgpr12
	s_cbranch_vccnz .LBB110_458
; %bb.457:
	v_mov_b32_e32 v3, 0x42800000
	v_add_f32_e64 v3, |s15|, v3
	v_and_b32_e32 v3, 0xff, v3
	s_mov_b32 s12, 0
	v_cmp_ne_u32_e64 s[6:7], 0, v3
.LBB110_458:
	s_andn2_b64 vcc, exec, s[6:7]
	v_mov_b32_e32 v4, s12
	s_cbranch_vccnz .LBB110_460
; %bb.459:
	s_lshr_b32 s6, s14, 8
	s_and_b32 s6, s6, 0x80
	v_or_b32_e32 v4, s6, v3
.LBB110_460:
	s_mov_b64 s[6:7], 0
	global_store_byte v[0:1], v4, off
.LBB110_461:
	s_and_b64 vcc, exec, s[6:7]
	s_cbranch_vccz .LBB110_473
; %bb.462:
	s_lshl_b32 s14, s11, 16
	s_and_b32 s12, 0xffff, s11
	s_and_b32 s13, s14, 0x7fffffff
	s_cmp_lt_u32 s13, 0x43f00000
	s_cbranch_scc0 .LBB110_465
; %bb.463:
	s_cmp_gt_u32 s13, 0x3c7fffff
	s_cbranch_scc0 .LBB110_466
; %bb.464:
	s_bfe_u32 s6, s12, 0x10004
	s_add_i32 s6, s14, s6
	s_add_i32 s6, s6, 0x407ffff
	s_lshr_b32 s7, s6, 20
	s_and_b32 s6, s6, 0xff00000
	s_cmp_lg_u32 s6, 0x7f00000
	s_cselect_b32 s15, s7, 0x7e
	s_mov_b64 s[6:7], 0
	s_branch .LBB110_467
.LBB110_465:
	s_mov_b64 s[6:7], -1
                                        ; implicit-def: $vgpr3
	s_branch .LBB110_470
.LBB110_466:
	s_mov_b64 s[6:7], -1
                                        ; implicit-def: $sgpr15
.LBB110_467:
	s_andn2_b64 vcc, exec, s[6:7]
	v_mov_b32_e32 v3, s15
	s_cbranch_vccnz .LBB110_469
; %bb.468:
	v_mov_b32_e32 v3, 0x46800000
	v_add_f32_e64 v3, |s14|, v3
.LBB110_469:
	s_mov_b64 s[6:7], 0
.LBB110_470:
	s_andn2_b64 vcc, exec, s[6:7]
	s_cbranch_vccnz .LBB110_472
; %bb.471:
	s_cmp_gt_u32 s13, 0x7f800000
	s_movk_i32 s6, 0x7f
	s_cselect_b32 s6, s6, 0x7e
	v_mov_b32_e32 v3, s6
.LBB110_472:
	s_lshr_b32 s6, s12, 8
	s_and_b32 s6, s6, 0x80
	v_or_b32_e32 v3, s6, v3
	global_store_byte v[0:1], v3, off
.LBB110_473:
	s_mov_b64 s[6:7], 0
.LBB110_474:
	s_andn2_b64 vcc, exec, s[6:7]
	s_cbranch_vccnz .LBB110_486
; %bb.475:
	s_lshl_b32 s14, s11, 16
	s_and_b32 s12, 0xffff, s11
	s_and_b32 s13, s14, 0x7fffffff
	s_cmp_lt_u32 s13, 0x47800000
	s_cbranch_scc0 .LBB110_478
; %bb.476:
	s_cmp_gt_u32 s13, 0x387fffff
	s_cbranch_scc0 .LBB110_479
; %bb.477:
	s_bfe_u32 s6, s12, 0x10005
	s_add_i32 s6, s14, s6
	s_add_i32 s6, s6, 0x80fffff
	s_lshr_b32 s15, s6, 21
	s_mov_b64 s[6:7], 0
	s_branch .LBB110_480
.LBB110_478:
	s_mov_b64 s[6:7], -1
                                        ; implicit-def: $vgpr3
	s_branch .LBB110_483
.LBB110_479:
	s_mov_b64 s[6:7], -1
                                        ; implicit-def: $sgpr15
.LBB110_480:
	s_andn2_b64 vcc, exec, s[6:7]
	v_mov_b32_e32 v3, s15
	s_cbranch_vccnz .LBB110_482
; %bb.481:
	v_mov_b32_e32 v3, 0x43000000
	v_add_f32_e64 v3, |s14|, v3
.LBB110_482:
	s_mov_b64 s[6:7], 0
.LBB110_483:
	s_andn2_b64 vcc, exec, s[6:7]
	s_cbranch_vccnz .LBB110_485
; %bb.484:
	s_cmp_gt_u32 s13, 0x7f800000
	s_movk_i32 s6, 0x7f
	s_cselect_b32 s6, s6, 0x7c
	v_mov_b32_e32 v3, s6
.LBB110_485:
	s_lshr_b32 s6, s12, 8
	s_and_b32 s6, s6, 0x80
	v_or_b32_e32 v3, s6, v3
	global_store_byte v[0:1], v3, off
.LBB110_486:
	s_mov_b64 s[6:7], 0
	s_mov_b64 s[14:15], -1
.LBB110_487:
	s_andn2_b64 vcc, exec, s[6:7]
	s_mov_b64 s[12:13], 0
	s_cbranch_vccnz .LBB110_494
; %bb.488:
	v_mov_b32_e32 v3, 14
	v_cmp_gt_i16_sdwa s[12:13], s33, v3 src0_sel:BYTE_0 src1_sel:DWORD
	s_mov_b64 s[6:7], -1
	s_and_b64 vcc, exec, s[12:13]
	s_cbranch_vccz .LBB110_492
; %bb.489:
	v_mov_b32_e32 v3, 15
	v_cmp_eq_u16_sdwa s[6:7], s33, v3 src0_sel:BYTE_0 src1_sel:DWORD
	s_mov_b64 s[4:5], -1
	s_and_b64 vcc, exec, s[6:7]
	s_cbranch_vccz .LBB110_491
; %bb.490:
	v_mov_b32_e32 v3, s11
	global_store_short v[0:1], v3, off
	s_mov_b64 s[4:5], 0
	s_mov_b64 s[14:15], -1
.LBB110_491:
	s_mov_b64 s[6:7], 0
.LBB110_492:
	s_mov_b64 s[12:13], 0
	s_and_b64 vcc, exec, s[6:7]
	s_cbranch_vccz .LBB110_494
; %bb.493:
	v_mov_b32_e32 v3, 11
	v_cmp_ne_u16_sdwa s[4:5], s33, v3 src0_sel:BYTE_0 src1_sel:DWORD
	s_mov_b64 s[12:13], -1
.LBB110_494:
	s_and_b64 vcc, exec, s[4:5]
	s_mov_b64 s[6:7], s[0:1]
	s_cbranch_vccnz .LBB110_547
; %bb.495:
	s_andn2_b64 vcc, exec, s[12:13]
	s_cbranch_vccnz .LBB110_497
.LBB110_496:
	v_mov_b32_e32 v3, 0x7fff
	v_and_b32_e32 v3, s11, v3
	v_cmp_ne_u16_e32 vcc, 0, v3
	v_cndmask_b32_e64 v3, 0, 1, vcc
	s_mov_b64 s[14:15], -1
	global_store_byte v[0:1], v3, off
.LBB110_497:
	s_branch .LBB110_416
.LBB110_498:
	v_mov_b32_e32 v3, 5
	v_cmp_lt_i16_sdwa s[12:13], s33, v3 src0_sel:BYTE_0 src1_sel:DWORD
	s_mov_b64 s[4:5], -1
	s_and_b64 vcc, exec, s[12:13]
	s_cbranch_vccnz .LBB110_519
; %bb.499:
	v_mov_b32_e32 v3, 8
	v_cmp_lt_i16_sdwa s[12:13], s33, v3 src0_sel:BYTE_0 src1_sel:DWORD
	s_and_b64 vcc, exec, s[12:13]
	s_cbranch_vccnz .LBB110_509
; %bb.500:
	v_mov_b32_e32 v3, 9
	v_cmp_lt_i16_sdwa s[12:13], s33, v3 src0_sel:BYTE_0 src1_sel:DWORD
	s_and_b64 vcc, exec, s[12:13]
	s_cbranch_vccnz .LBB110_506
; %bb.501:
	v_cmp_gt_i16_sdwa s[12:13], s33, v3 src0_sel:BYTE_0 src1_sel:DWORD
	s_and_b64 vcc, exec, s[12:13]
	s_cbranch_vccz .LBB110_503
; %bb.502:
	s_lshl_b32 s4, s11, 16
	v_mov_b32_e32 v6, 0
	v_cvt_f64_f32_e32 v[4:5], s4
	v_mov_b32_e32 v7, v6
	global_store_dwordx4 v[0:1], v[4:7], off
	s_mov_b64 s[4:5], 0
.LBB110_503:
	s_andn2_b64 vcc, exec, s[4:5]
	s_cbranch_vccnz .LBB110_505
; %bb.504:
	s_lshl_b32 s4, s11, 16
	v_mov_b32_e32 v4, s4
	v_mov_b32_e32 v5, 0
	global_store_dwordx2 v[0:1], v[4:5], off
.LBB110_505:
	s_mov_b64 s[4:5], 0
.LBB110_506:
	s_andn2_b64 vcc, exec, s[4:5]
	s_cbranch_vccnz .LBB110_508
; %bb.507:
	s_lshl_b32 s4, s11, 16
	v_cvt_f16_f32_e32 v3, s4
	global_store_dword v[0:1], v3, off
.LBB110_508:
	s_mov_b64 s[4:5], 0
.LBB110_509:
	s_andn2_b64 vcc, exec, s[4:5]
	s_cbranch_vccnz .LBB110_518
; %bb.510:
	v_mov_b32_e32 v3, 6
	v_cmp_lt_i16_sdwa s[12:13], s33, v3 src0_sel:BYTE_0 src1_sel:DWORD
	s_mov_b64 s[4:5], -1
	s_and_b64 vcc, exec, s[12:13]
	s_cbranch_vccnz .LBB110_516
; %bb.511:
	v_cmp_gt_i16_sdwa s[12:13], s33, v3 src0_sel:BYTE_0 src1_sel:DWORD
	s_and_b64 vcc, exec, s[12:13]
	s_cbranch_vccz .LBB110_513
; %bb.512:
	s_lshl_b32 s4, s11, 16
	v_cvt_f64_f32_e32 v[4:5], s4
	global_store_dwordx2 v[0:1], v[4:5], off
	s_mov_b64 s[4:5], 0
.LBB110_513:
	s_andn2_b64 vcc, exec, s[4:5]
	s_cbranch_vccnz .LBB110_515
; %bb.514:
	s_lshl_b32 s4, s11, 16
	v_mov_b32_e32 v3, s4
	global_store_dword v[0:1], v3, off
.LBB110_515:
	s_mov_b64 s[4:5], 0
.LBB110_516:
	s_andn2_b64 vcc, exec, s[4:5]
	s_cbranch_vccnz .LBB110_518
; %bb.517:
	s_lshl_b32 s4, s11, 16
	v_cvt_f16_f32_e32 v3, s4
	global_store_short v[0:1], v3, off
.LBB110_518:
	s_mov_b64 s[4:5], 0
.LBB110_519:
	s_andn2_b64 vcc, exec, s[4:5]
	s_cbranch_vccnz .LBB110_535
; %bb.520:
	v_mov_b32_e32 v3, 2
	v_cmp_lt_i16_sdwa s[12:13], s33, v3 src0_sel:BYTE_0 src1_sel:DWORD
	s_mov_b64 s[4:5], -1
	s_and_b64 vcc, exec, s[12:13]
	s_cbranch_vccnz .LBB110_530
; %bb.521:
	v_mov_b32_e32 v3, 3
	v_cmp_lt_i16_sdwa s[12:13], s33, v3 src0_sel:BYTE_0 src1_sel:DWORD
	s_and_b64 vcc, exec, s[12:13]
	s_cbranch_vccnz .LBB110_527
; %bb.522:
	v_cmp_gt_i16_sdwa s[12:13], s33, v3 src0_sel:BYTE_0 src1_sel:DWORD
	s_and_b64 vcc, exec, s[12:13]
	s_cbranch_vccz .LBB110_524
; %bb.523:
	s_lshl_b32 s4, s11, 16
	v_trunc_f32_e32 v3, s4
	s_mov_b32 s4, 0x2f800000
	v_mul_f32_e64 v4, |v3|, s4
	v_floor_f32_e32 v4, v4
	s_mov_b32 s4, 0xcf800000
	v_fma_f32 v5, v4, s4, |v3|
	v_cvt_u32_f32_e32 v5, v5
	v_cvt_u32_f32_e32 v4, v4
	v_ashrrev_i32_e32 v3, 31, v3
	s_mov_b64 s[4:5], 0
	v_xor_b32_e32 v5, v5, v3
	v_xor_b32_e32 v6, v4, v3
	v_sub_co_u32_e32 v4, vcc, v5, v3
	v_subb_co_u32_e32 v5, vcc, v6, v3, vcc
	global_store_dwordx2 v[0:1], v[4:5], off
.LBB110_524:
	s_andn2_b64 vcc, exec, s[4:5]
	s_cbranch_vccnz .LBB110_526
; %bb.525:
	s_lshl_b32 s4, s11, 16
	v_cvt_i32_f32_e32 v3, s4
	global_store_dword v[0:1], v3, off
.LBB110_526:
	s_mov_b64 s[4:5], 0
.LBB110_527:
	s_andn2_b64 vcc, exec, s[4:5]
	s_cbranch_vccnz .LBB110_529
; %bb.528:
	s_lshl_b32 s4, s11, 16
	v_cvt_i32_f32_e32 v3, s4
	global_store_short v[0:1], v3, off
.LBB110_529:
	s_mov_b64 s[4:5], 0
.LBB110_530:
	s_andn2_b64 vcc, exec, s[4:5]
	s_cbranch_vccnz .LBB110_535
; %bb.531:
	v_mov_b32_e32 v3, 0
	v_cmp_gt_i16_sdwa s[12:13], s33, v3 src0_sel:BYTE_0 src1_sel:DWORD
	s_mov_b64 s[4:5], -1
	s_and_b64 vcc, exec, s[12:13]
	s_cbranch_vccz .LBB110_533
; %bb.532:
	s_lshl_b32 s4, s11, 16
	v_cvt_i32_f32_e32 v3, s4
	s_mov_b64 s[4:5], 0
	global_store_byte v[0:1], v3, off
.LBB110_533:
	s_andn2_b64 vcc, exec, s[4:5]
	s_cbranch_vccnz .LBB110_535
; %bb.534:
	s_lshl_b32 s4, s11, 16
	v_trunc_f32_e32 v3, s4
	s_mov_b32 s4, 0x2f800000
	v_mul_f32_e64 v4, |v3|, s4
	v_floor_f32_e32 v4, v4
	s_mov_b32 s4, 0xcf800000
	v_fma_f32 v4, v4, s4, |v3|
	v_cvt_u32_f32_e32 v4, v4
	v_ashrrev_i32_e32 v3, 31, v3
	v_xor_b32_e32 v4, v4, v3
	v_sub_u32_e32 v3, v4, v3
	global_store_byte v[0:1], v3, off
.LBB110_535:
.LBB110_536:
	s_lshl_b32 s10, s10, 7
	v_add_u32_e32 v2, s10, v2
	v_ashrrev_i32_e32 v1, 31, v2
	v_mov_b32_e32 v3, s9
	v_add_co_u32_e32 v0, vcc, s8, v2
	v_addc_co_u32_e32 v1, vcc, v3, v1, vcc
	v_mov_b32_e32 v3, 11
	v_cmp_lt_i16_sdwa s[4:5], s33, v3 src0_sel:BYTE_0 src1_sel:DWORD
	s_and_b64 vcc, exec, s[4:5]
	s_cbranch_vccnz .LBB110_543
; %bb.537:
	v_mov_b32_e32 v3, 25
	v_cmp_gt_i16_sdwa s[4:5], s33, v3 src0_sel:BYTE_0 src1_sel:DWORD
	s_mov_b64 s[16:17], -1
	s_mov_b64 s[12:13], 0
	s_and_b64 vcc, exec, s[4:5]
	s_mov_b64 s[14:15], 0
	s_mov_b64 s[4:5], 0
	s_cbranch_vccz .LBB110_578
; %bb.538:
	v_mov_b32_e32 v3, 28
	v_cmp_gt_i16_sdwa s[4:5], s33, v3 src0_sel:BYTE_0 src1_sel:DWORD
	s_and_b64 vcc, exec, s[4:5]
	s_cbranch_vccz .LBB110_545
; %bb.539:
	v_mov_b32_e32 v3, 43
	v_cmp_gt_i16_sdwa s[4:5], s33, v3 src0_sel:BYTE_0 src1_sel:DWORD
	s_and_b64 vcc, exec, s[4:5]
	;; [unrolled: 5-line block ×3, first 2 shown]
	s_cbranch_vccz .LBB110_548
; %bb.541:
	v_mov_b32_e32 v3, 46
	v_cmp_eq_u16_sdwa s[14:15], s33, v3 src0_sel:BYTE_0 src1_sel:DWORD
	s_mov_b64 s[4:5], -1
	s_mov_b64 s[16:17], 0
	s_and_b64 vcc, exec, s[14:15]
	s_mov_b64 s[14:15], 0
	s_cbranch_vccz .LBB110_549
; %bb.542:
	s_and_b32 s4, 0xffff, s11
	v_mov_b32_e32 v3, s4
	global_store_dword v[0:1], v3, off
	s_mov_b64 s[4:5], 0
	s_mov_b64 s[14:15], -1
	s_branch .LBB110_549
.LBB110_543:
	s_mov_b64 s[14:15], 0
	s_cbranch_execnz .LBB110_628
.LBB110_544:
	s_andn2_b64 vcc, exec, s[14:15]
	s_cbranch_vccz .LBB110_666
	s_branch .LBB110_840
.LBB110_545:
	s_mov_b64 s[4:5], 0
	s_branch .LBB110_559
.LBB110_546:
	s_mov_b64 s[4:5], 0
	s_branch .LBB110_555
.LBB110_547:
	s_or_b64 s[6:7], s[0:1], exec
	s_trap 2
	s_cbranch_execz .LBB110_496
	s_branch .LBB110_497
.LBB110_548:
	s_mov_b64 s[4:5], 0
.LBB110_549:
	s_and_b64 vcc, exec, s[16:17]
	s_cbranch_vccz .LBB110_554
; %bb.550:
	v_mov_b32_e32 v3, 44
	v_cmp_eq_u16_sdwa s[16:17], s33, v3 src0_sel:BYTE_0 src1_sel:DWORD
	s_mov_b64 s[4:5], -1
	s_and_b64 vcc, exec, s[16:17]
	s_cbranch_vccz .LBB110_554
; %bb.551:
	s_and_b32 s5, 0xffff, s11
	s_bfe_u32 s4, s5, 0x80007
	s_cmpk_eq_i32 s4, 0xff
	v_mov_b32_e32 v3, 0xff
	s_cbranch_scc1 .LBB110_553
; %bb.552:
	s_lshr_b32 s16, s5, 7
	s_lshl_b32 s17, s5, 16
	s_bitcmp1_b32 s5, 6
	s_cselect_b64 s[14:15], -1, 0
	s_and_b32 s5, s17, 0x3f0000
	s_or_b32 s4, s4, s5
	s_cmp_lg_u32 s4, 0
	s_cselect_b64 s[4:5], -1, 0
	s_and_b64 s[4:5], s[14:15], s[4:5]
	v_cndmask_b32_e64 v3, 0, 1, s[4:5]
	v_add_u32_e32 v3, s16, v3
.LBB110_553:
	s_mov_b64 s[4:5], 0
	s_mov_b64 s[14:15], -1
	global_store_byte v[0:1], v3, off
.LBB110_554:
	s_mov_b64 s[16:17], 0
.LBB110_555:
	s_and_b64 vcc, exec, s[16:17]
	s_cbranch_vccz .LBB110_558
; %bb.556:
	v_mov_b32_e32 v3, 29
	v_cmp_eq_u16_sdwa s[16:17], s33, v3 src0_sel:BYTE_0 src1_sel:DWORD
	s_mov_b64 s[4:5], -1
	s_and_b64 vcc, exec, s[16:17]
	s_cbranch_vccz .LBB110_558
; %bb.557:
	s_lshl_b32 s4, s11, 16
	v_trunc_f32_e32 v3, s4
	v_mul_f32_e32 v4, 0x2f800000, v3
	v_floor_f32_e32 v4, v4
	v_fmac_f32_e32 v3, 0xcf800000, v4
	v_cvt_u32_f32_e32 v5, v4
	v_cvt_u32_f32_e32 v4, v3
	s_mov_b64 s[4:5], 0
	s_mov_b64 s[14:15], -1
	s_mov_b64 s[16:17], 0
	global_store_dwordx2 v[0:1], v[4:5], off
	s_branch .LBB110_559
.LBB110_558:
	s_mov_b64 s[16:17], 0
.LBB110_559:
	s_and_b64 vcc, exec, s[16:17]
	s_cbranch_vccz .LBB110_577
; %bb.560:
	v_mov_b32_e32 v3, 27
	v_cmp_lt_i16_sdwa s[16:17], s33, v3 src0_sel:BYTE_0 src1_sel:DWORD
	s_mov_b64 s[14:15], -1
	s_and_b64 vcc, exec, s[16:17]
	s_cbranch_vccnz .LBB110_566
; %bb.561:
	v_cmp_gt_i16_sdwa s[16:17], s33, v3 src0_sel:BYTE_0 src1_sel:DWORD
	s_and_b64 vcc, exec, s[16:17]
	s_cbranch_vccz .LBB110_563
; %bb.562:
	s_lshl_b32 s14, s11, 16
	v_cvt_u32_f32_e32 v3, s14
	s_mov_b64 s[14:15], 0
	global_store_dword v[0:1], v3, off
.LBB110_563:
	s_andn2_b64 vcc, exec, s[14:15]
	s_cbranch_vccnz .LBB110_565
; %bb.564:
	s_lshl_b32 s14, s11, 16
	v_cvt_u32_f32_e32 v3, s14
	global_store_short v[0:1], v3, off
.LBB110_565:
	s_mov_b64 s[14:15], 0
.LBB110_566:
	s_andn2_b64 vcc, exec, s[14:15]
	s_cbranch_vccnz .LBB110_576
; %bb.567:
	s_lshl_b32 s19, s11, 16
	s_and_b32 s14, s19, 0x7fffffff
	s_cmp_gt_u32 s14, 0x437fffff
	v_mov_b32_e32 v4, 0x80
	s_cbranch_scc1 .LBB110_575
; %bb.568:
	s_and_b32 s18, 0xffff, s11
	s_cmp_gt_u32 s14, 0x3bffffff
	s_cbranch_scc0 .LBB110_570
; %bb.569:
	s_bfe_u32 s14, s18, 0x10004
	s_add_i32 s14, s19, s14
	s_add_i32 s14, s14, 0x487ffff
	s_lshr_b32 s20, s14, 20
	s_mov_b64 s[16:17], 0
	s_mov_b64 s[14:15], -1
	s_branch .LBB110_571
.LBB110_570:
	s_mov_b64 s[16:17], -1
	s_mov_b64 s[14:15], 0
                                        ; implicit-def: $sgpr20
.LBB110_571:
	s_andn2_b64 vcc, exec, s[16:17]
	v_mov_b32_e32 v3, s20
                                        ; implicit-def: $sgpr16
	s_cbranch_vccnz .LBB110_573
; %bb.572:
	v_mov_b32_e32 v3, 0x46000000
	v_add_f32_e64 v3, |s19|, v3
	v_and_b32_e32 v3, 0xff, v3
	s_mov_b32 s16, 0
	v_cmp_ne_u32_e64 s[14:15], 0, v3
.LBB110_573:
	s_andn2_b64 vcc, exec, s[14:15]
	v_mov_b32_e32 v4, s16
	s_cbranch_vccnz .LBB110_575
; %bb.574:
	s_lshr_b32 s14, s18, 8
	s_and_b32 s14, s14, 0x80
	v_or_b32_e32 v4, s14, v3
.LBB110_575:
	global_store_byte v[0:1], v4, off
.LBB110_576:
	s_mov_b64 s[14:15], -1
.LBB110_577:
	s_mov_b64 s[16:17], 0
.LBB110_578:
	s_and_b64 vcc, exec, s[16:17]
	s_cbranch_vccz .LBB110_624
; %bb.579:
	v_mov_b32_e32 v3, 22
	v_cmp_gt_i16_sdwa s[16:17], s33, v3 src0_sel:BYTE_0 src1_sel:DWORD
	s_mov_b64 s[12:13], -1
	s_and_b64 vcc, exec, s[16:17]
	s_cbranch_vccz .LBB110_617
; %bb.580:
	v_mov_b32_e32 v3, 24
	v_cmp_lt_i16_sdwa s[14:15], s33, v3 src0_sel:BYTE_0 src1_sel:DWORD
	s_and_b64 vcc, exec, s[14:15]
	s_cbranch_vccnz .LBB110_604
; %bb.581:
	v_cmp_gt_i16_sdwa s[14:15], s33, v3 src0_sel:BYTE_0 src1_sel:DWORD
	s_and_b64 vcc, exec, s[14:15]
	s_cbranch_vccz .LBB110_591
; %bb.582:
	s_lshl_b32 s17, s11, 16
	s_and_b32 s12, s17, 0x7fffffff
	s_cmp_gt_u32 s12, 0x477fffff
	v_mov_b32_e32 v4, 0x80
	s_cbranch_scc1 .LBB110_590
; %bb.583:
	s_and_b32 s16, 0xffff, s11
	s_cmp_gt_u32 s12, 0x37ffffff
	s_cbranch_scc0 .LBB110_585
; %bb.584:
	s_bfe_u32 s12, s16, 0x10005
	s_add_i32 s12, s17, s12
	s_add_i32 s12, s12, 0x88fffff
	s_lshr_b32 s18, s12, 21
	s_mov_b64 s[14:15], 0
	s_mov_b64 s[12:13], -1
	s_branch .LBB110_586
.LBB110_585:
	s_mov_b64 s[14:15], -1
	s_mov_b64 s[12:13], 0
                                        ; implicit-def: $sgpr18
.LBB110_586:
	s_andn2_b64 vcc, exec, s[14:15]
	v_mov_b32_e32 v3, s18
                                        ; implicit-def: $sgpr14
	s_cbranch_vccnz .LBB110_588
; %bb.587:
	v_mov_b32_e32 v3, 0x42800000
	v_add_f32_e64 v3, |s17|, v3
	v_and_b32_e32 v3, 0xff, v3
	s_mov_b32 s14, 0
	v_cmp_ne_u32_e64 s[12:13], 0, v3
.LBB110_588:
	s_andn2_b64 vcc, exec, s[12:13]
	v_mov_b32_e32 v4, s14
	s_cbranch_vccnz .LBB110_590
; %bb.589:
	s_lshr_b32 s12, s16, 8
	s_and_b32 s12, s12, 0x80
	v_or_b32_e32 v4, s12, v3
.LBB110_590:
	s_mov_b64 s[12:13], 0
	global_store_byte v[0:1], v4, off
.LBB110_591:
	s_and_b64 vcc, exec, s[12:13]
	s_cbranch_vccz .LBB110_603
; %bb.592:
	s_lshl_b32 s16, s11, 16
	s_and_b32 s14, 0xffff, s11
	s_and_b32 s15, s16, 0x7fffffff
	s_cmp_lt_u32 s15, 0x43f00000
	s_cbranch_scc0 .LBB110_595
; %bb.593:
	s_cmp_gt_u32 s15, 0x3c7fffff
	s_cbranch_scc0 .LBB110_596
; %bb.594:
	s_bfe_u32 s12, s14, 0x10004
	s_add_i32 s12, s16, s12
	s_add_i32 s12, s12, 0x407ffff
	s_lshr_b32 s13, s12, 20
	s_and_b32 s12, s12, 0xff00000
	s_cmp_lg_u32 s12, 0x7f00000
	s_cselect_b32 s17, s13, 0x7e
	s_mov_b64 s[12:13], 0
	s_branch .LBB110_597
.LBB110_595:
	s_mov_b64 s[12:13], -1
                                        ; implicit-def: $vgpr3
	s_branch .LBB110_600
.LBB110_596:
	s_mov_b64 s[12:13], -1
                                        ; implicit-def: $sgpr17
.LBB110_597:
	s_andn2_b64 vcc, exec, s[12:13]
	v_mov_b32_e32 v3, s17
	s_cbranch_vccnz .LBB110_599
; %bb.598:
	v_mov_b32_e32 v3, 0x46800000
	v_add_f32_e64 v3, |s16|, v3
.LBB110_599:
	s_mov_b64 s[12:13], 0
.LBB110_600:
	s_andn2_b64 vcc, exec, s[12:13]
	s_cbranch_vccnz .LBB110_602
; %bb.601:
	s_cmp_gt_u32 s15, 0x7f800000
	s_movk_i32 s12, 0x7f
	s_cselect_b32 s12, s12, 0x7e
	v_mov_b32_e32 v3, s12
.LBB110_602:
	s_lshr_b32 s12, s14, 8
	s_and_b32 s12, s12, 0x80
	v_or_b32_e32 v3, s12, v3
	global_store_byte v[0:1], v3, off
.LBB110_603:
	s_mov_b64 s[12:13], 0
.LBB110_604:
	s_andn2_b64 vcc, exec, s[12:13]
	s_cbranch_vccnz .LBB110_616
; %bb.605:
	s_lshl_b32 s16, s11, 16
	s_and_b32 s14, 0xffff, s11
	s_and_b32 s15, s16, 0x7fffffff
	s_cmp_lt_u32 s15, 0x47800000
	s_cbranch_scc0 .LBB110_608
; %bb.606:
	s_cmp_gt_u32 s15, 0x387fffff
	s_cbranch_scc0 .LBB110_609
; %bb.607:
	s_bfe_u32 s12, s14, 0x10005
	s_add_i32 s12, s16, s12
	s_add_i32 s12, s12, 0x80fffff
	s_lshr_b32 s17, s12, 21
	s_mov_b64 s[12:13], 0
	s_branch .LBB110_610
.LBB110_608:
	s_mov_b64 s[12:13], -1
                                        ; implicit-def: $vgpr3
	s_branch .LBB110_613
.LBB110_609:
	s_mov_b64 s[12:13], -1
                                        ; implicit-def: $sgpr17
.LBB110_610:
	s_andn2_b64 vcc, exec, s[12:13]
	v_mov_b32_e32 v3, s17
	s_cbranch_vccnz .LBB110_612
; %bb.611:
	v_mov_b32_e32 v3, 0x43000000
	v_add_f32_e64 v3, |s16|, v3
.LBB110_612:
	s_mov_b64 s[12:13], 0
.LBB110_613:
	s_andn2_b64 vcc, exec, s[12:13]
	s_cbranch_vccnz .LBB110_615
; %bb.614:
	s_cmp_gt_u32 s15, 0x7f800000
	s_movk_i32 s12, 0x7f
	s_cselect_b32 s12, s12, 0x7c
	v_mov_b32_e32 v3, s12
.LBB110_615:
	s_lshr_b32 s12, s14, 8
	s_and_b32 s12, s12, 0x80
	v_or_b32_e32 v3, s12, v3
	global_store_byte v[0:1], v3, off
.LBB110_616:
	s_mov_b64 s[12:13], 0
	s_mov_b64 s[14:15], -1
.LBB110_617:
	s_andn2_b64 vcc, exec, s[12:13]
	s_mov_b64 s[12:13], 0
	s_cbranch_vccnz .LBB110_624
; %bb.618:
	v_mov_b32_e32 v3, 14
	v_cmp_gt_i16_sdwa s[12:13], s33, v3 src0_sel:BYTE_0 src1_sel:DWORD
	s_mov_b64 s[16:17], -1
	s_and_b64 vcc, exec, s[12:13]
	s_cbranch_vccz .LBB110_622
; %bb.619:
	v_mov_b32_e32 v3, 15
	v_cmp_eq_u16_sdwa s[12:13], s33, v3 src0_sel:BYTE_0 src1_sel:DWORD
	s_mov_b64 s[4:5], -1
	s_and_b64 vcc, exec, s[12:13]
	s_cbranch_vccz .LBB110_621
; %bb.620:
	v_mov_b32_e32 v3, s11
	global_store_short v[0:1], v3, off
	s_mov_b64 s[4:5], 0
	s_mov_b64 s[14:15], -1
.LBB110_621:
	s_mov_b64 s[16:17], 0
.LBB110_622:
	s_mov_b64 s[12:13], 0
	s_and_b64 vcc, exec, s[16:17]
	s_cbranch_vccz .LBB110_624
; %bb.623:
	v_mov_b32_e32 v3, 11
	v_cmp_ne_u16_sdwa s[4:5], s33, v3 src0_sel:BYTE_0 src1_sel:DWORD
	s_mov_b64 s[12:13], -1
.LBB110_624:
	s_and_b64 vcc, exec, s[4:5]
	s_cbranch_vccnz .LBB110_707
; %bb.625:
	s_andn2_b64 vcc, exec, s[12:13]
	s_cbranch_vccnz .LBB110_627
.LBB110_626:
	v_mov_b32_e32 v3, 0x7fff
	v_and_b32_e32 v3, s11, v3
	v_cmp_ne_u16_e32 vcc, 0, v3
	v_cndmask_b32_e64 v3, 0, 1, vcc
	s_mov_b64 s[14:15], -1
	global_store_byte v[0:1], v3, off
.LBB110_627:
	s_branch .LBB110_544
.LBB110_628:
	v_mov_b32_e32 v3, 5
	v_cmp_lt_i16_sdwa s[12:13], s33, v3 src0_sel:BYTE_0 src1_sel:DWORD
	s_mov_b64 s[4:5], -1
	s_and_b64 vcc, exec, s[12:13]
	s_cbranch_vccnz .LBB110_649
; %bb.629:
	v_mov_b32_e32 v3, 8
	v_cmp_lt_i16_sdwa s[12:13], s33, v3 src0_sel:BYTE_0 src1_sel:DWORD
	s_and_b64 vcc, exec, s[12:13]
	s_cbranch_vccnz .LBB110_639
; %bb.630:
	v_mov_b32_e32 v3, 9
	v_cmp_lt_i16_sdwa s[12:13], s33, v3 src0_sel:BYTE_0 src1_sel:DWORD
	s_and_b64 vcc, exec, s[12:13]
	s_cbranch_vccnz .LBB110_636
; %bb.631:
	v_cmp_gt_i16_sdwa s[12:13], s33, v3 src0_sel:BYTE_0 src1_sel:DWORD
	s_and_b64 vcc, exec, s[12:13]
	s_cbranch_vccz .LBB110_633
; %bb.632:
	s_lshl_b32 s4, s11, 16
	v_mov_b32_e32 v6, 0
	v_cvt_f64_f32_e32 v[4:5], s4
	v_mov_b32_e32 v7, v6
	global_store_dwordx4 v[0:1], v[4:7], off
	s_mov_b64 s[4:5], 0
.LBB110_633:
	s_andn2_b64 vcc, exec, s[4:5]
	s_cbranch_vccnz .LBB110_635
; %bb.634:
	s_lshl_b32 s4, s11, 16
	v_mov_b32_e32 v4, s4
	v_mov_b32_e32 v5, 0
	global_store_dwordx2 v[0:1], v[4:5], off
.LBB110_635:
	s_mov_b64 s[4:5], 0
.LBB110_636:
	s_andn2_b64 vcc, exec, s[4:5]
	s_cbranch_vccnz .LBB110_638
; %bb.637:
	s_lshl_b32 s4, s11, 16
	v_cvt_f16_f32_e32 v3, s4
	global_store_dword v[0:1], v3, off
.LBB110_638:
	s_mov_b64 s[4:5], 0
.LBB110_639:
	s_andn2_b64 vcc, exec, s[4:5]
	s_cbranch_vccnz .LBB110_648
; %bb.640:
	v_mov_b32_e32 v3, 6
	v_cmp_lt_i16_sdwa s[12:13], s33, v3 src0_sel:BYTE_0 src1_sel:DWORD
	s_mov_b64 s[4:5], -1
	s_and_b64 vcc, exec, s[12:13]
	s_cbranch_vccnz .LBB110_646
; %bb.641:
	v_cmp_gt_i16_sdwa s[12:13], s33, v3 src0_sel:BYTE_0 src1_sel:DWORD
	s_and_b64 vcc, exec, s[12:13]
	s_cbranch_vccz .LBB110_643
; %bb.642:
	s_lshl_b32 s4, s11, 16
	v_cvt_f64_f32_e32 v[4:5], s4
	global_store_dwordx2 v[0:1], v[4:5], off
	s_mov_b64 s[4:5], 0
.LBB110_643:
	s_andn2_b64 vcc, exec, s[4:5]
	s_cbranch_vccnz .LBB110_645
; %bb.644:
	s_lshl_b32 s4, s11, 16
	v_mov_b32_e32 v3, s4
	global_store_dword v[0:1], v3, off
.LBB110_645:
	s_mov_b64 s[4:5], 0
.LBB110_646:
	s_andn2_b64 vcc, exec, s[4:5]
	s_cbranch_vccnz .LBB110_648
; %bb.647:
	s_lshl_b32 s4, s11, 16
	v_cvt_f16_f32_e32 v3, s4
	global_store_short v[0:1], v3, off
.LBB110_648:
	s_mov_b64 s[4:5], 0
.LBB110_649:
	s_andn2_b64 vcc, exec, s[4:5]
	s_cbranch_vccnz .LBB110_665
; %bb.650:
	v_mov_b32_e32 v3, 2
	v_cmp_lt_i16_sdwa s[12:13], s33, v3 src0_sel:BYTE_0 src1_sel:DWORD
	s_mov_b64 s[4:5], -1
	s_and_b64 vcc, exec, s[12:13]
	s_cbranch_vccnz .LBB110_660
; %bb.651:
	v_mov_b32_e32 v3, 3
	v_cmp_lt_i16_sdwa s[12:13], s33, v3 src0_sel:BYTE_0 src1_sel:DWORD
	s_and_b64 vcc, exec, s[12:13]
	s_cbranch_vccnz .LBB110_657
; %bb.652:
	v_cmp_gt_i16_sdwa s[12:13], s33, v3 src0_sel:BYTE_0 src1_sel:DWORD
	s_and_b64 vcc, exec, s[12:13]
	s_cbranch_vccz .LBB110_654
; %bb.653:
	s_lshl_b32 s4, s11, 16
	v_trunc_f32_e32 v3, s4
	s_mov_b32 s4, 0x2f800000
	v_mul_f32_e64 v4, |v3|, s4
	v_floor_f32_e32 v4, v4
	s_mov_b32 s4, 0xcf800000
	v_fma_f32 v5, v4, s4, |v3|
	v_cvt_u32_f32_e32 v5, v5
	v_cvt_u32_f32_e32 v4, v4
	v_ashrrev_i32_e32 v3, 31, v3
	s_mov_b64 s[4:5], 0
	v_xor_b32_e32 v5, v5, v3
	v_xor_b32_e32 v6, v4, v3
	v_sub_co_u32_e32 v4, vcc, v5, v3
	v_subb_co_u32_e32 v5, vcc, v6, v3, vcc
	global_store_dwordx2 v[0:1], v[4:5], off
.LBB110_654:
	s_andn2_b64 vcc, exec, s[4:5]
	s_cbranch_vccnz .LBB110_656
; %bb.655:
	s_lshl_b32 s4, s11, 16
	v_cvt_i32_f32_e32 v3, s4
	global_store_dword v[0:1], v3, off
.LBB110_656:
	s_mov_b64 s[4:5], 0
.LBB110_657:
	s_andn2_b64 vcc, exec, s[4:5]
	s_cbranch_vccnz .LBB110_659
; %bb.658:
	s_lshl_b32 s4, s11, 16
	v_cvt_i32_f32_e32 v3, s4
	global_store_short v[0:1], v3, off
.LBB110_659:
	s_mov_b64 s[4:5], 0
.LBB110_660:
	s_andn2_b64 vcc, exec, s[4:5]
	s_cbranch_vccnz .LBB110_665
; %bb.661:
	v_mov_b32_e32 v3, 0
	v_cmp_gt_i16_sdwa s[12:13], s33, v3 src0_sel:BYTE_0 src1_sel:DWORD
	s_mov_b64 s[4:5], -1
	s_and_b64 vcc, exec, s[12:13]
	s_cbranch_vccz .LBB110_663
; %bb.662:
	s_lshl_b32 s4, s11, 16
	v_cvt_i32_f32_e32 v3, s4
	s_mov_b64 s[4:5], 0
	global_store_byte v[0:1], v3, off
.LBB110_663:
	s_andn2_b64 vcc, exec, s[4:5]
	s_cbranch_vccnz .LBB110_665
; %bb.664:
	s_lshl_b32 s4, s11, 16
	v_trunc_f32_e32 v3, s4
	s_mov_b32 s4, 0x2f800000
	v_mul_f32_e64 v4, |v3|, s4
	v_floor_f32_e32 v4, v4
	s_mov_b32 s4, 0xcf800000
	v_fma_f32 v4, v4, s4, |v3|
	v_cvt_u32_f32_e32 v4, v4
	v_ashrrev_i32_e32 v3, 31, v3
	v_xor_b32_e32 v4, v4, v3
	v_sub_u32_e32 v3, v4, v3
	global_store_byte v[0:1], v3, off
.LBB110_665:
.LBB110_666:
	v_add_u32_e32 v2, s10, v2
	v_ashrrev_i32_e32 v1, 31, v2
	v_mov_b32_e32 v3, s9
	v_add_co_u32_e32 v0, vcc, s8, v2
	v_addc_co_u32_e32 v1, vcc, v3, v1, vcc
	v_mov_b32_e32 v3, 11
	v_cmp_lt_i16_sdwa s[4:5], s33, v3 src0_sel:BYTE_0 src1_sel:DWORD
	s_and_b64 vcc, exec, s[4:5]
	s_cbranch_vccnz .LBB110_673
; %bb.667:
	v_mov_b32_e32 v3, 25
	v_cmp_gt_i16_sdwa s[4:5], s33, v3 src0_sel:BYTE_0 src1_sel:DWORD
	s_mov_b64 s[16:17], -1
	s_mov_b64 s[12:13], 0
	s_and_b64 vcc, exec, s[4:5]
	s_mov_b64 s[14:15], 0
	s_mov_b64 s[4:5], 0
	s_cbranch_vccz .LBB110_738
; %bb.668:
	v_mov_b32_e32 v3, 28
	v_cmp_gt_i16_sdwa s[4:5], s33, v3 src0_sel:BYTE_0 src1_sel:DWORD
	s_and_b64 vcc, exec, s[4:5]
	s_cbranch_vccz .LBB110_705
; %bb.669:
	v_mov_b32_e32 v3, 43
	v_cmp_gt_i16_sdwa s[4:5], s33, v3 src0_sel:BYTE_0 src1_sel:DWORD
	s_and_b64 vcc, exec, s[4:5]
	;; [unrolled: 5-line block ×3, first 2 shown]
	s_cbranch_vccz .LBB110_708
; %bb.671:
	v_mov_b32_e32 v3, 46
	v_cmp_eq_u16_sdwa s[14:15], s33, v3 src0_sel:BYTE_0 src1_sel:DWORD
	s_mov_b64 s[4:5], -1
	s_mov_b64 s[16:17], 0
	s_and_b64 vcc, exec, s[14:15]
	s_mov_b64 s[14:15], 0
	s_cbranch_vccz .LBB110_709
; %bb.672:
	s_and_b32 s4, 0xffff, s11
	v_mov_b32_e32 v3, s4
	global_store_dword v[0:1], v3, off
	s_mov_b64 s[4:5], 0
	s_mov_b64 s[14:15], -1
	s_branch .LBB110_709
.LBB110_673:
	s_mov_b64 s[14:15], 0
	s_cbranch_execnz .LBB110_802
.LBB110_674:
	s_andn2_b64 vcc, exec, s[14:15]
	s_cbranch_vccnz .LBB110_840
.LBB110_675:
	v_add_u32_e32 v0, s10, v2
	v_ashrrev_i32_e32 v1, 31, v0
	v_mov_b32_e32 v2, s9
	v_add_co_u32_e32 v0, vcc, s8, v0
	v_addc_co_u32_e32 v1, vcc, v2, v1, vcc
	v_mov_b32_e32 v2, 0xff
	v_and_b32_e32 v2, s33, v2
	v_cmp_gt_i16_e32 vcc, 11, v2
	s_cbranch_vccnz .LBB110_704
; %bb.676:
	v_cmp_lt_i16_e32 vcc, 25, v2
	s_mov_b64 s[12:13], -1
	s_mov_b64 s[8:9], 0
	s_mov_b64 s[4:5], 0
	s_cbranch_vccz .LBB110_752
; %bb.677:
	v_cmp_lt_i16_e32 vcc, 28, v2
	s_cbranch_vccz .LBB110_693
; %bb.678:
	v_cmp_lt_i16_e32 vcc, 43, v2
	;; [unrolled: 3-line block ×3, first 2 shown]
	s_cbranch_vccz .LBB110_683
; %bb.680:
	v_cmp_eq_u16_e32 vcc, 46, v2
	s_mov_b64 s[4:5], -1
	s_cbranch_vccz .LBB110_682
; %bb.681:
	s_and_b32 s4, 0xffff, s11
	v_mov_b32_e32 v3, s4
	global_store_dword v[0:1], v3, off
	s_mov_b64 s[4:5], 0
.LBB110_682:
	s_mov_b64 s[12:13], 0
.LBB110_683:
	s_and_b64 vcc, exec, s[12:13]
	s_cbranch_vccz .LBB110_688
; %bb.684:
	v_cmp_eq_u16_e32 vcc, 44, v2
	s_mov_b64 s[4:5], -1
	s_cbranch_vccz .LBB110_688
; %bb.685:
	s_and_b32 s5, 0xffff, s11
	s_bfe_u32 s4, s5, 0x80007
	s_cmpk_eq_i32 s4, 0xff
	v_mov_b32_e32 v3, 0xff
	s_cbranch_scc1 .LBB110_687
; %bb.686:
	s_lshr_b32 s10, s5, 7
	s_lshl_b32 s14, s5, 16
	s_bitcmp1_b32 s5, 6
	s_cselect_b64 s[12:13], -1, 0
	s_and_b32 s5, s14, 0x3f0000
	s_or_b32 s4, s4, s5
	s_cmp_lg_u32 s4, 0
	s_cselect_b64 s[4:5], -1, 0
	s_and_b64 s[4:5], s[12:13], s[4:5]
	v_cndmask_b32_e64 v3, 0, 1, s[4:5]
	v_add_u32_e32 v3, s10, v3
.LBB110_687:
	s_mov_b64 s[4:5], 0
	global_store_byte v[0:1], v3, off
.LBB110_688:
	s_mov_b64 s[12:13], 0
.LBB110_689:
	s_and_b64 vcc, exec, s[12:13]
	s_cbranch_vccz .LBB110_692
; %bb.690:
	v_cmp_eq_u16_e32 vcc, 29, v2
	s_mov_b64 s[4:5], -1
	s_cbranch_vccz .LBB110_692
; %bb.691:
	s_lshl_b32 s4, s11, 16
	v_trunc_f32_e32 v3, s4
	v_mul_f32_e32 v4, 0x2f800000, v3
	v_floor_f32_e32 v4, v4
	v_fmac_f32_e32 v3, 0xcf800000, v4
	v_cvt_u32_f32_e32 v5, v4
	v_cvt_u32_f32_e32 v4, v3
	s_mov_b64 s[4:5], 0
	global_store_dwordx2 v[0:1], v[4:5], off
.LBB110_692:
	s_mov_b64 s[12:13], 0
.LBB110_693:
	s_and_b64 vcc, exec, s[12:13]
	s_cbranch_vccz .LBB110_751
; %bb.694:
	v_cmp_gt_i16_e32 vcc, 27, v2
	s_mov_b64 s[12:13], -1
	s_cbranch_vccnz .LBB110_700
; %bb.695:
	v_cmp_lt_i16_e32 vcc, 27, v2
	s_cbranch_vccz .LBB110_697
; %bb.696:
	s_lshl_b32 s10, s11, 16
	v_cvt_u32_f32_e32 v3, s10
	s_mov_b64 s[12:13], 0
	global_store_dword v[0:1], v3, off
.LBB110_697:
	s_andn2_b64 vcc, exec, s[12:13]
	s_cbranch_vccnz .LBB110_699
; %bb.698:
	s_lshl_b32 s10, s11, 16
	v_cvt_u32_f32_e32 v3, s10
	global_store_short v[0:1], v3, off
.LBB110_699:
	s_mov_b64 s[12:13], 0
.LBB110_700:
	s_andn2_b64 vcc, exec, s[12:13]
	s_cbranch_vccnz .LBB110_751
; %bb.701:
	s_lshl_b32 s16, s11, 16
	s_and_b32 s12, s16, 0x7fffffff
	s_cmp_gt_u32 s12, 0x437fffff
	v_mov_b32_e32 v4, 0x80
	s_cbranch_scc1 .LBB110_750
; %bb.702:
	s_and_b32 s10, 0xffff, s11
	s_cmp_gt_u32 s12, 0x3bffffff
	s_cbranch_scc0 .LBB110_745
; %bb.703:
	s_bfe_u32 s12, s10, 0x10004
	s_add_i32 s12, s16, s12
	s_add_i32 s12, s12, 0x487ffff
	s_lshr_b32 s17, s12, 20
	s_mov_b64 s[14:15], 0
	s_mov_b64 s[12:13], -1
	s_branch .LBB110_746
.LBB110_704:
	s_mov_b64 s[8:9], 0
	s_mov_b64 s[4:5], -1
	s_branch .LBB110_841
.LBB110_705:
	s_mov_b64 s[4:5], 0
	s_branch .LBB110_719
.LBB110_706:
	s_mov_b64 s[4:5], 0
	s_branch .LBB110_715
.LBB110_707:
	s_trap 2
	s_or_b64 s[6:7], s[6:7], exec
	s_cbranch_execz .LBB110_626
	s_branch .LBB110_627
.LBB110_708:
	s_mov_b64 s[4:5], 0
.LBB110_709:
	s_and_b64 vcc, exec, s[16:17]
	s_cbranch_vccz .LBB110_714
; %bb.710:
	v_mov_b32_e32 v3, 44
	v_cmp_eq_u16_sdwa s[16:17], s33, v3 src0_sel:BYTE_0 src1_sel:DWORD
	s_mov_b64 s[4:5], -1
	s_and_b64 vcc, exec, s[16:17]
	s_cbranch_vccz .LBB110_714
; %bb.711:
	s_and_b32 s5, 0xffff, s11
	s_bfe_u32 s4, s5, 0x80007
	s_cmpk_eq_i32 s4, 0xff
	v_mov_b32_e32 v3, 0xff
	s_cbranch_scc1 .LBB110_713
; %bb.712:
	s_lshr_b32 s16, s5, 7
	s_lshl_b32 s17, s5, 16
	s_bitcmp1_b32 s5, 6
	s_cselect_b64 s[14:15], -1, 0
	s_and_b32 s5, s17, 0x3f0000
	s_or_b32 s4, s4, s5
	s_cmp_lg_u32 s4, 0
	s_cselect_b64 s[4:5], -1, 0
	s_and_b64 s[4:5], s[14:15], s[4:5]
	v_cndmask_b32_e64 v3, 0, 1, s[4:5]
	v_add_u32_e32 v3, s16, v3
.LBB110_713:
	s_mov_b64 s[4:5], 0
	s_mov_b64 s[14:15], -1
	global_store_byte v[0:1], v3, off
.LBB110_714:
	s_mov_b64 s[16:17], 0
.LBB110_715:
	s_and_b64 vcc, exec, s[16:17]
	s_cbranch_vccz .LBB110_718
; %bb.716:
	v_mov_b32_e32 v3, 29
	v_cmp_eq_u16_sdwa s[16:17], s33, v3 src0_sel:BYTE_0 src1_sel:DWORD
	s_mov_b64 s[4:5], -1
	s_and_b64 vcc, exec, s[16:17]
	s_cbranch_vccz .LBB110_718
; %bb.717:
	s_lshl_b32 s4, s11, 16
	v_trunc_f32_e32 v3, s4
	v_mul_f32_e32 v4, 0x2f800000, v3
	v_floor_f32_e32 v4, v4
	v_fmac_f32_e32 v3, 0xcf800000, v4
	v_cvt_u32_f32_e32 v5, v4
	v_cvt_u32_f32_e32 v4, v3
	s_mov_b64 s[4:5], 0
	s_mov_b64 s[14:15], -1
	s_mov_b64 s[16:17], 0
	global_store_dwordx2 v[0:1], v[4:5], off
	s_branch .LBB110_719
.LBB110_718:
	s_mov_b64 s[16:17], 0
.LBB110_719:
	s_and_b64 vcc, exec, s[16:17]
	s_cbranch_vccz .LBB110_737
; %bb.720:
	v_mov_b32_e32 v3, 27
	v_cmp_lt_i16_sdwa s[16:17], s33, v3 src0_sel:BYTE_0 src1_sel:DWORD
	s_mov_b64 s[14:15], -1
	s_and_b64 vcc, exec, s[16:17]
	s_cbranch_vccnz .LBB110_726
; %bb.721:
	v_cmp_gt_i16_sdwa s[16:17], s33, v3 src0_sel:BYTE_0 src1_sel:DWORD
	s_and_b64 vcc, exec, s[16:17]
	s_cbranch_vccz .LBB110_723
; %bb.722:
	s_lshl_b32 s14, s11, 16
	v_cvt_u32_f32_e32 v3, s14
	s_mov_b64 s[14:15], 0
	global_store_dword v[0:1], v3, off
.LBB110_723:
	s_andn2_b64 vcc, exec, s[14:15]
	s_cbranch_vccnz .LBB110_725
; %bb.724:
	s_lshl_b32 s14, s11, 16
	v_cvt_u32_f32_e32 v3, s14
	global_store_short v[0:1], v3, off
.LBB110_725:
	s_mov_b64 s[14:15], 0
.LBB110_726:
	s_andn2_b64 vcc, exec, s[14:15]
	s_cbranch_vccnz .LBB110_736
; %bb.727:
	s_lshl_b32 s19, s11, 16
	s_and_b32 s14, s19, 0x7fffffff
	s_cmp_gt_u32 s14, 0x437fffff
	v_mov_b32_e32 v4, 0x80
	s_cbranch_scc1 .LBB110_735
; %bb.728:
	s_and_b32 s18, 0xffff, s11
	s_cmp_gt_u32 s14, 0x3bffffff
	s_cbranch_scc0 .LBB110_730
; %bb.729:
	s_bfe_u32 s14, s18, 0x10004
	s_add_i32 s14, s19, s14
	s_add_i32 s14, s14, 0x487ffff
	s_lshr_b32 s20, s14, 20
	s_mov_b64 s[16:17], 0
	s_mov_b64 s[14:15], -1
	s_branch .LBB110_731
.LBB110_730:
	s_mov_b64 s[16:17], -1
	s_mov_b64 s[14:15], 0
                                        ; implicit-def: $sgpr20
.LBB110_731:
	s_andn2_b64 vcc, exec, s[16:17]
	v_mov_b32_e32 v3, s20
                                        ; implicit-def: $sgpr16
	s_cbranch_vccnz .LBB110_733
; %bb.732:
	v_mov_b32_e32 v3, 0x46000000
	v_add_f32_e64 v3, |s19|, v3
	v_and_b32_e32 v3, 0xff, v3
	s_mov_b32 s16, 0
	v_cmp_ne_u32_e64 s[14:15], 0, v3
.LBB110_733:
	s_andn2_b64 vcc, exec, s[14:15]
	v_mov_b32_e32 v4, s16
	s_cbranch_vccnz .LBB110_735
; %bb.734:
	s_lshr_b32 s14, s18, 8
	s_and_b32 s14, s14, 0x80
	v_or_b32_e32 v4, s14, v3
.LBB110_735:
	global_store_byte v[0:1], v4, off
.LBB110_736:
	s_mov_b64 s[14:15], -1
.LBB110_737:
	s_mov_b64 s[16:17], 0
.LBB110_738:
	s_and_b64 vcc, exec, s[16:17]
	s_cbranch_vccz .LBB110_798
; %bb.739:
	v_mov_b32_e32 v3, 22
	v_cmp_gt_i16_sdwa s[16:17], s33, v3 src0_sel:BYTE_0 src1_sel:DWORD
	s_mov_b64 s[12:13], -1
	s_and_b64 vcc, exec, s[16:17]
	s_cbranch_vccz .LBB110_791
; %bb.740:
	v_mov_b32_e32 v3, 24
	v_cmp_lt_i16_sdwa s[14:15], s33, v3 src0_sel:BYTE_0 src1_sel:DWORD
	s_and_b64 vcc, exec, s[14:15]
	s_cbranch_vccnz .LBB110_778
; %bb.741:
	v_cmp_gt_i16_sdwa s[14:15], s33, v3 src0_sel:BYTE_0 src1_sel:DWORD
	s_and_b64 vcc, exec, s[14:15]
	s_cbranch_vccz .LBB110_765
; %bb.742:
	s_lshl_b32 s17, s11, 16
	s_and_b32 s12, s17, 0x7fffffff
	s_cmp_gt_u32 s12, 0x477fffff
	v_mov_b32_e32 v4, 0x80
	s_cbranch_scc1 .LBB110_764
; %bb.743:
	s_and_b32 s16, 0xffff, s11
	s_cmp_gt_u32 s12, 0x37ffffff
	s_cbranch_scc0 .LBB110_759
; %bb.744:
	s_bfe_u32 s12, s16, 0x10005
	s_add_i32 s12, s17, s12
	s_add_i32 s12, s12, 0x88fffff
	s_lshr_b32 s18, s12, 21
	s_mov_b64 s[14:15], 0
	s_mov_b64 s[12:13], -1
	s_branch .LBB110_760
.LBB110_745:
	s_mov_b64 s[14:15], -1
	s_mov_b64 s[12:13], 0
                                        ; implicit-def: $sgpr17
.LBB110_746:
	s_andn2_b64 vcc, exec, s[14:15]
	v_mov_b32_e32 v3, s17
                                        ; implicit-def: $sgpr14
	s_cbranch_vccnz .LBB110_748
; %bb.747:
	v_mov_b32_e32 v3, 0x46000000
	v_add_f32_e64 v3, |s16|, v3
	v_and_b32_e32 v3, 0xff, v3
	s_mov_b32 s14, 0
	v_cmp_ne_u32_e64 s[12:13], 0, v3
.LBB110_748:
	s_andn2_b64 vcc, exec, s[12:13]
	v_mov_b32_e32 v4, s14
	s_cbranch_vccnz .LBB110_750
; %bb.749:
	s_lshr_b32 s10, s10, 8
	s_and_b32 s10, s10, 0x80
	v_or_b32_e32 v4, s10, v3
.LBB110_750:
	global_store_byte v[0:1], v4, off
.LBB110_751:
	s_mov_b64 s[12:13], 0
.LBB110_752:
	s_and_b64 vcc, exec, s[12:13]
	s_cbranch_vccz .LBB110_922
; %bb.753:
	v_cmp_lt_i16_e32 vcc, 22, v2
	s_mov_b64 s[8:9], -1
	s_cbranch_vccz .LBB110_915
; %bb.754:
	v_cmp_gt_i16_e32 vcc, 24, v2
	s_cbranch_vccnz .LBB110_902
; %bb.755:
	v_cmp_lt_i16_e32 vcc, 24, v2
	s_cbranch_vccz .LBB110_889
; %bb.756:
	s_lshl_b32 s14, s11, 16
	s_and_b32 s8, s14, 0x7fffffff
	s_cmp_gt_u32 s8, 0x477fffff
	v_mov_b32_e32 v4, 0x80
	s_cbranch_scc1 .LBB110_888
; %bb.757:
	s_and_b32 s10, 0xffff, s11
	s_cmp_gt_u32 s8, 0x37ffffff
	s_cbranch_scc0 .LBB110_883
; %bb.758:
	s_bfe_u32 s8, s10, 0x10005
	s_add_i32 s8, s14, s8
	s_add_i32 s8, s8, 0x88fffff
	s_lshr_b32 s15, s8, 21
	s_mov_b64 s[12:13], 0
	s_mov_b64 s[8:9], -1
	s_branch .LBB110_884
.LBB110_759:
	s_mov_b64 s[14:15], -1
	s_mov_b64 s[12:13], 0
                                        ; implicit-def: $sgpr18
.LBB110_760:
	s_andn2_b64 vcc, exec, s[14:15]
	v_mov_b32_e32 v3, s18
                                        ; implicit-def: $sgpr14
	s_cbranch_vccnz .LBB110_762
; %bb.761:
	v_mov_b32_e32 v3, 0x42800000
	v_add_f32_e64 v3, |s17|, v3
	v_and_b32_e32 v3, 0xff, v3
	s_mov_b32 s14, 0
	v_cmp_ne_u32_e64 s[12:13], 0, v3
.LBB110_762:
	s_andn2_b64 vcc, exec, s[12:13]
	v_mov_b32_e32 v4, s14
	s_cbranch_vccnz .LBB110_764
; %bb.763:
	s_lshr_b32 s12, s16, 8
	s_and_b32 s12, s12, 0x80
	v_or_b32_e32 v4, s12, v3
.LBB110_764:
	s_mov_b64 s[12:13], 0
	global_store_byte v[0:1], v4, off
.LBB110_765:
	s_and_b64 vcc, exec, s[12:13]
	s_cbranch_vccz .LBB110_777
; %bb.766:
	s_lshl_b32 s16, s11, 16
	s_and_b32 s14, 0xffff, s11
	s_and_b32 s15, s16, 0x7fffffff
	s_cmp_lt_u32 s15, 0x43f00000
	s_cbranch_scc0 .LBB110_769
; %bb.767:
	s_cmp_gt_u32 s15, 0x3c7fffff
	s_cbranch_scc0 .LBB110_770
; %bb.768:
	s_bfe_u32 s12, s14, 0x10004
	s_add_i32 s12, s16, s12
	s_add_i32 s12, s12, 0x407ffff
	s_lshr_b32 s13, s12, 20
	s_and_b32 s12, s12, 0xff00000
	s_cmp_lg_u32 s12, 0x7f00000
	s_cselect_b32 s17, s13, 0x7e
	s_mov_b64 s[12:13], 0
	s_branch .LBB110_771
.LBB110_769:
	s_mov_b64 s[12:13], -1
                                        ; implicit-def: $vgpr3
	s_branch .LBB110_774
.LBB110_770:
	s_mov_b64 s[12:13], -1
                                        ; implicit-def: $sgpr17
.LBB110_771:
	s_andn2_b64 vcc, exec, s[12:13]
	v_mov_b32_e32 v3, s17
	s_cbranch_vccnz .LBB110_773
; %bb.772:
	v_mov_b32_e32 v3, 0x46800000
	v_add_f32_e64 v3, |s16|, v3
.LBB110_773:
	s_mov_b64 s[12:13], 0
.LBB110_774:
	s_andn2_b64 vcc, exec, s[12:13]
	s_cbranch_vccnz .LBB110_776
; %bb.775:
	s_cmp_gt_u32 s15, 0x7f800000
	s_movk_i32 s12, 0x7f
	s_cselect_b32 s12, s12, 0x7e
	v_mov_b32_e32 v3, s12
.LBB110_776:
	s_lshr_b32 s12, s14, 8
	s_and_b32 s12, s12, 0x80
	v_or_b32_e32 v3, s12, v3
	global_store_byte v[0:1], v3, off
.LBB110_777:
	s_mov_b64 s[12:13], 0
.LBB110_778:
	s_andn2_b64 vcc, exec, s[12:13]
	s_cbranch_vccnz .LBB110_790
; %bb.779:
	s_lshl_b32 s16, s11, 16
	s_and_b32 s14, 0xffff, s11
	s_and_b32 s15, s16, 0x7fffffff
	s_cmp_lt_u32 s15, 0x47800000
	s_cbranch_scc0 .LBB110_782
; %bb.780:
	s_cmp_gt_u32 s15, 0x387fffff
	s_cbranch_scc0 .LBB110_783
; %bb.781:
	s_bfe_u32 s12, s14, 0x10005
	s_add_i32 s12, s16, s12
	s_add_i32 s12, s12, 0x80fffff
	s_lshr_b32 s17, s12, 21
	s_mov_b64 s[12:13], 0
	s_branch .LBB110_784
.LBB110_782:
	s_mov_b64 s[12:13], -1
                                        ; implicit-def: $vgpr3
	s_branch .LBB110_787
.LBB110_783:
	s_mov_b64 s[12:13], -1
                                        ; implicit-def: $sgpr17
.LBB110_784:
	s_andn2_b64 vcc, exec, s[12:13]
	v_mov_b32_e32 v3, s17
	s_cbranch_vccnz .LBB110_786
; %bb.785:
	v_mov_b32_e32 v3, 0x43000000
	v_add_f32_e64 v3, |s16|, v3
.LBB110_786:
	s_mov_b64 s[12:13], 0
.LBB110_787:
	s_andn2_b64 vcc, exec, s[12:13]
	s_cbranch_vccnz .LBB110_789
; %bb.788:
	s_cmp_gt_u32 s15, 0x7f800000
	s_movk_i32 s12, 0x7f
	s_cselect_b32 s12, s12, 0x7c
	v_mov_b32_e32 v3, s12
.LBB110_789:
	s_lshr_b32 s12, s14, 8
	s_and_b32 s12, s12, 0x80
	v_or_b32_e32 v3, s12, v3
	global_store_byte v[0:1], v3, off
.LBB110_790:
	s_mov_b64 s[12:13], 0
	s_mov_b64 s[14:15], -1
.LBB110_791:
	s_andn2_b64 vcc, exec, s[12:13]
	s_mov_b64 s[12:13], 0
	s_cbranch_vccnz .LBB110_798
; %bb.792:
	v_mov_b32_e32 v3, 14
	v_cmp_gt_i16_sdwa s[12:13], s33, v3 src0_sel:BYTE_0 src1_sel:DWORD
	s_mov_b64 s[16:17], -1
	s_and_b64 vcc, exec, s[12:13]
	s_cbranch_vccz .LBB110_796
; %bb.793:
	v_mov_b32_e32 v3, 15
	v_cmp_eq_u16_sdwa s[12:13], s33, v3 src0_sel:BYTE_0 src1_sel:DWORD
	s_mov_b64 s[4:5], -1
	s_and_b64 vcc, exec, s[12:13]
	s_cbranch_vccz .LBB110_795
; %bb.794:
	v_mov_b32_e32 v3, s11
	global_store_short v[0:1], v3, off
	s_mov_b64 s[4:5], 0
	s_mov_b64 s[14:15], -1
.LBB110_795:
	s_mov_b64 s[16:17], 0
.LBB110_796:
	s_mov_b64 s[12:13], 0
	s_and_b64 vcc, exec, s[16:17]
	s_cbranch_vccz .LBB110_798
; %bb.797:
	v_mov_b32_e32 v3, 11
	v_cmp_ne_u16_sdwa s[4:5], s33, v3 src0_sel:BYTE_0 src1_sel:DWORD
	s_mov_b64 s[12:13], -1
.LBB110_798:
	s_and_b64 vcc, exec, s[4:5]
	s_cbranch_vccnz .LBB110_882
; %bb.799:
	s_andn2_b64 vcc, exec, s[12:13]
	s_cbranch_vccnz .LBB110_801
.LBB110_800:
	v_mov_b32_e32 v3, 0x7fff
	v_and_b32_e32 v3, s11, v3
	v_cmp_ne_u16_e32 vcc, 0, v3
	v_cndmask_b32_e64 v3, 0, 1, vcc
	s_mov_b64 s[14:15], -1
	global_store_byte v[0:1], v3, off
.LBB110_801:
	s_branch .LBB110_674
.LBB110_802:
	v_mov_b32_e32 v3, 5
	v_cmp_lt_i16_sdwa s[12:13], s33, v3 src0_sel:BYTE_0 src1_sel:DWORD
	s_mov_b64 s[4:5], -1
	s_and_b64 vcc, exec, s[12:13]
	s_cbranch_vccnz .LBB110_823
; %bb.803:
	v_mov_b32_e32 v3, 8
	v_cmp_lt_i16_sdwa s[12:13], s33, v3 src0_sel:BYTE_0 src1_sel:DWORD
	s_and_b64 vcc, exec, s[12:13]
	s_cbranch_vccnz .LBB110_813
; %bb.804:
	v_mov_b32_e32 v3, 9
	v_cmp_lt_i16_sdwa s[12:13], s33, v3 src0_sel:BYTE_0 src1_sel:DWORD
	s_and_b64 vcc, exec, s[12:13]
	s_cbranch_vccnz .LBB110_810
; %bb.805:
	v_cmp_gt_i16_sdwa s[12:13], s33, v3 src0_sel:BYTE_0 src1_sel:DWORD
	s_and_b64 vcc, exec, s[12:13]
	s_cbranch_vccz .LBB110_807
; %bb.806:
	s_lshl_b32 s4, s11, 16
	v_mov_b32_e32 v6, 0
	v_cvt_f64_f32_e32 v[4:5], s4
	v_mov_b32_e32 v7, v6
	global_store_dwordx4 v[0:1], v[4:7], off
	s_mov_b64 s[4:5], 0
.LBB110_807:
	s_andn2_b64 vcc, exec, s[4:5]
	s_cbranch_vccnz .LBB110_809
; %bb.808:
	s_lshl_b32 s4, s11, 16
	v_mov_b32_e32 v4, s4
	v_mov_b32_e32 v5, 0
	global_store_dwordx2 v[0:1], v[4:5], off
.LBB110_809:
	s_mov_b64 s[4:5], 0
.LBB110_810:
	s_andn2_b64 vcc, exec, s[4:5]
	s_cbranch_vccnz .LBB110_812
; %bb.811:
	s_lshl_b32 s4, s11, 16
	v_cvt_f16_f32_e32 v3, s4
	global_store_dword v[0:1], v3, off
.LBB110_812:
	s_mov_b64 s[4:5], 0
.LBB110_813:
	s_andn2_b64 vcc, exec, s[4:5]
	s_cbranch_vccnz .LBB110_822
; %bb.814:
	v_mov_b32_e32 v3, 6
	v_cmp_lt_i16_sdwa s[12:13], s33, v3 src0_sel:BYTE_0 src1_sel:DWORD
	s_mov_b64 s[4:5], -1
	s_and_b64 vcc, exec, s[12:13]
	s_cbranch_vccnz .LBB110_820
; %bb.815:
	v_cmp_gt_i16_sdwa s[12:13], s33, v3 src0_sel:BYTE_0 src1_sel:DWORD
	s_and_b64 vcc, exec, s[12:13]
	s_cbranch_vccz .LBB110_817
; %bb.816:
	s_lshl_b32 s4, s11, 16
	v_cvt_f64_f32_e32 v[4:5], s4
	global_store_dwordx2 v[0:1], v[4:5], off
	s_mov_b64 s[4:5], 0
.LBB110_817:
	s_andn2_b64 vcc, exec, s[4:5]
	s_cbranch_vccnz .LBB110_819
; %bb.818:
	s_lshl_b32 s4, s11, 16
	v_mov_b32_e32 v3, s4
	global_store_dword v[0:1], v3, off
.LBB110_819:
	s_mov_b64 s[4:5], 0
.LBB110_820:
	s_andn2_b64 vcc, exec, s[4:5]
	s_cbranch_vccnz .LBB110_822
; %bb.821:
	s_lshl_b32 s4, s11, 16
	v_cvt_f16_f32_e32 v3, s4
	global_store_short v[0:1], v3, off
.LBB110_822:
	s_mov_b64 s[4:5], 0
.LBB110_823:
	s_andn2_b64 vcc, exec, s[4:5]
	s_cbranch_vccnz .LBB110_839
; %bb.824:
	v_mov_b32_e32 v3, 2
	v_cmp_lt_i16_sdwa s[12:13], s33, v3 src0_sel:BYTE_0 src1_sel:DWORD
	s_mov_b64 s[4:5], -1
	s_and_b64 vcc, exec, s[12:13]
	s_cbranch_vccnz .LBB110_834
; %bb.825:
	v_mov_b32_e32 v3, 3
	v_cmp_lt_i16_sdwa s[12:13], s33, v3 src0_sel:BYTE_0 src1_sel:DWORD
	s_and_b64 vcc, exec, s[12:13]
	s_cbranch_vccnz .LBB110_831
; %bb.826:
	v_cmp_gt_i16_sdwa s[12:13], s33, v3 src0_sel:BYTE_0 src1_sel:DWORD
	s_and_b64 vcc, exec, s[12:13]
	s_cbranch_vccz .LBB110_828
; %bb.827:
	s_lshl_b32 s4, s11, 16
	v_trunc_f32_e32 v3, s4
	s_mov_b32 s4, 0x2f800000
	v_mul_f32_e64 v4, |v3|, s4
	v_floor_f32_e32 v4, v4
	s_mov_b32 s4, 0xcf800000
	v_fma_f32 v5, v4, s4, |v3|
	v_cvt_u32_f32_e32 v5, v5
	v_cvt_u32_f32_e32 v4, v4
	v_ashrrev_i32_e32 v3, 31, v3
	s_mov_b64 s[4:5], 0
	v_xor_b32_e32 v5, v5, v3
	v_xor_b32_e32 v6, v4, v3
	v_sub_co_u32_e32 v4, vcc, v5, v3
	v_subb_co_u32_e32 v5, vcc, v6, v3, vcc
	global_store_dwordx2 v[0:1], v[4:5], off
.LBB110_828:
	s_andn2_b64 vcc, exec, s[4:5]
	s_cbranch_vccnz .LBB110_830
; %bb.829:
	s_lshl_b32 s4, s11, 16
	v_cvt_i32_f32_e32 v3, s4
	global_store_dword v[0:1], v3, off
.LBB110_830:
	s_mov_b64 s[4:5], 0
.LBB110_831:
	s_andn2_b64 vcc, exec, s[4:5]
	s_cbranch_vccnz .LBB110_833
; %bb.832:
	s_lshl_b32 s4, s11, 16
	v_cvt_i32_f32_e32 v3, s4
	global_store_short v[0:1], v3, off
.LBB110_833:
	s_mov_b64 s[4:5], 0
.LBB110_834:
	s_andn2_b64 vcc, exec, s[4:5]
	s_cbranch_vccnz .LBB110_839
; %bb.835:
	v_mov_b32_e32 v3, 0
	v_cmp_gt_i16_sdwa s[12:13], s33, v3 src0_sel:BYTE_0 src1_sel:DWORD
	s_mov_b64 s[4:5], -1
	s_and_b64 vcc, exec, s[12:13]
	s_cbranch_vccz .LBB110_837
; %bb.836:
	s_lshl_b32 s4, s11, 16
	v_cvt_i32_f32_e32 v3, s4
	s_mov_b64 s[4:5], 0
	global_store_byte v[0:1], v3, off
.LBB110_837:
	s_andn2_b64 vcc, exec, s[4:5]
	s_cbranch_vccnz .LBB110_839
; %bb.838:
	s_lshl_b32 s4, s11, 16
	v_trunc_f32_e32 v3, s4
	s_mov_b32 s4, 0x2f800000
	v_mul_f32_e64 v4, |v3|, s4
	v_floor_f32_e32 v4, v4
	s_mov_b32 s4, 0xcf800000
	v_fma_f32 v4, v4, s4, |v3|
	v_cvt_u32_f32_e32 v4, v4
	v_ashrrev_i32_e32 v3, 31, v3
	v_xor_b32_e32 v4, v4, v3
	v_sub_u32_e32 v3, v4, v3
	global_store_byte v[0:1], v3, off
.LBB110_839:
	s_branch .LBB110_675
.LBB110_840:
	s_mov_b64 s[4:5], 0
	s_mov_b64 s[8:9], 0
                                        ; implicit-def: $vgpr2
                                        ; implicit-def: $vgpr0_vgpr1
.LBB110_841:
	s_andn2_b64 s[0:1], s[0:1], exec
	s_and_b64 s[6:7], s[6:7], exec
	s_and_b64 s[12:13], s[4:5], exec
	;; [unrolled: 1-line block ×3, first 2 shown]
	s_or_b64 s[0:1], s[0:1], s[6:7]
	s_or_b64 exec, exec, s[2:3]
	s_and_saveexec_b64 s[2:3], s[0:1]
	s_cbranch_execnz .LBB110_413
.LBB110_842:
	s_or_b64 exec, exec, s[2:3]
	s_and_saveexec_b64 s[0:1], s[4:5]
	s_xor_b64 s[0:1], exec, s[0:1]
	s_cbranch_execz .LBB110_414
.LBB110_843:
	v_mov_b32_e32 v3, 0x7fff
	v_and_b32_e32 v3, s11, v3
	v_cmp_ne_u16_e32 vcc, 0, v3
	v_cndmask_b32_e64 v3, 0, 1, vcc
	global_store_byte v[0:1], v3, off
	s_or_b64 exec, exec, s[0:1]
	s_and_saveexec_b64 s[0:1], s[12:13]
	s_cbranch_execz .LBB110_881
.LBB110_844:
	v_cmp_gt_i16_e32 vcc, 5, v2
	s_mov_b64 s[0:1], -1
	s_cbranch_vccnz .LBB110_865
; %bb.845:
	v_cmp_gt_i16_e32 vcc, 8, v2
	s_cbranch_vccnz .LBB110_855
; %bb.846:
	v_cmp_gt_i16_e32 vcc, 9, v2
	s_cbranch_vccnz .LBB110_852
; %bb.847:
	v_cmp_lt_i16_e32 vcc, 9, v2
	s_cbranch_vccz .LBB110_849
; %bb.848:
	s_lshl_b32 s0, s11, 16
	v_mov_b32_e32 v6, 0
	v_cvt_f64_f32_e32 v[4:5], s0
	v_mov_b32_e32 v7, v6
	global_store_dwordx4 v[0:1], v[4:7], off
	s_mov_b64 s[0:1], 0
.LBB110_849:
	s_andn2_b64 vcc, exec, s[0:1]
	s_cbranch_vccnz .LBB110_851
; %bb.850:
	s_lshl_b32 s0, s11, 16
	v_mov_b32_e32 v4, s0
	v_mov_b32_e32 v5, 0
	global_store_dwordx2 v[0:1], v[4:5], off
.LBB110_851:
	s_mov_b64 s[0:1], 0
.LBB110_852:
	s_andn2_b64 vcc, exec, s[0:1]
	s_cbranch_vccnz .LBB110_854
; %bb.853:
	s_lshl_b32 s0, s11, 16
	v_cvt_f16_f32_e32 v3, s0
	global_store_dword v[0:1], v3, off
.LBB110_854:
	s_mov_b64 s[0:1], 0
.LBB110_855:
	s_andn2_b64 vcc, exec, s[0:1]
	s_cbranch_vccnz .LBB110_864
; %bb.856:
	v_cmp_gt_i16_e32 vcc, 6, v2
	s_mov_b64 s[0:1], -1
	s_cbranch_vccnz .LBB110_862
; %bb.857:
	v_cmp_lt_i16_e32 vcc, 6, v2
	s_cbranch_vccz .LBB110_859
; %bb.858:
	s_lshl_b32 s0, s11, 16
	v_cvt_f64_f32_e32 v[4:5], s0
	global_store_dwordx2 v[0:1], v[4:5], off
	s_mov_b64 s[0:1], 0
.LBB110_859:
	s_andn2_b64 vcc, exec, s[0:1]
	s_cbranch_vccnz .LBB110_861
; %bb.860:
	s_lshl_b32 s0, s11, 16
	v_mov_b32_e32 v3, s0
	global_store_dword v[0:1], v3, off
.LBB110_861:
	s_mov_b64 s[0:1], 0
.LBB110_862:
	s_andn2_b64 vcc, exec, s[0:1]
	s_cbranch_vccnz .LBB110_864
; %bb.863:
	s_lshl_b32 s0, s11, 16
	v_cvt_f16_f32_e32 v3, s0
	global_store_short v[0:1], v3, off
.LBB110_864:
	s_mov_b64 s[0:1], 0
.LBB110_865:
	s_andn2_b64 vcc, exec, s[0:1]
	s_cbranch_vccnz .LBB110_881
; %bb.866:
	v_cmp_gt_i16_e32 vcc, 2, v2
	s_mov_b64 s[0:1], -1
	s_cbranch_vccnz .LBB110_876
; %bb.867:
	v_cmp_gt_i16_e32 vcc, 3, v2
	s_cbranch_vccnz .LBB110_873
; %bb.868:
	v_cmp_lt_i16_e32 vcc, 3, v2
	s_cbranch_vccz .LBB110_870
; %bb.869:
	s_lshl_b32 s0, s11, 16
	v_trunc_f32_e32 v3, s0
	s_mov_b32 s0, 0x2f800000
	v_mul_f32_e64 v4, |v3|, s0
	v_floor_f32_e32 v4, v4
	s_mov_b32 s0, 0xcf800000
	v_fma_f32 v5, v4, s0, |v3|
	v_cvt_u32_f32_e32 v5, v5
	v_cvt_u32_f32_e32 v4, v4
	v_ashrrev_i32_e32 v3, 31, v3
	s_mov_b64 s[0:1], 0
	v_xor_b32_e32 v5, v5, v3
	v_xor_b32_e32 v6, v4, v3
	v_sub_co_u32_e32 v4, vcc, v5, v3
	v_subb_co_u32_e32 v5, vcc, v6, v3, vcc
	global_store_dwordx2 v[0:1], v[4:5], off
.LBB110_870:
	s_andn2_b64 vcc, exec, s[0:1]
	s_cbranch_vccnz .LBB110_872
; %bb.871:
	s_lshl_b32 s0, s11, 16
	v_cvt_i32_f32_e32 v3, s0
	global_store_dword v[0:1], v3, off
.LBB110_872:
	s_mov_b64 s[0:1], 0
.LBB110_873:
	s_andn2_b64 vcc, exec, s[0:1]
	s_cbranch_vccnz .LBB110_875
; %bb.874:
	s_lshl_b32 s0, s11, 16
	v_cvt_i32_f32_e32 v3, s0
	global_store_short v[0:1], v3, off
.LBB110_875:
	s_mov_b64 s[0:1], 0
.LBB110_876:
	s_andn2_b64 vcc, exec, s[0:1]
	s_cbranch_vccnz .LBB110_881
; %bb.877:
	v_cmp_lt_i16_e32 vcc, 0, v2
	s_mov_b64 s[0:1], -1
	s_cbranch_vccz .LBB110_879
; %bb.878:
	s_lshl_b32 s0, s11, 16
	v_cvt_i32_f32_e32 v2, s0
	s_mov_b64 s[0:1], 0
	global_store_byte v[0:1], v2, off
.LBB110_879:
	s_andn2_b64 vcc, exec, s[0:1]
	s_cbranch_vccnz .LBB110_881
; %bb.880:
	s_lshl_b32 s0, s11, 16
	v_trunc_f32_e32 v2, s0
	s_mov_b32 s0, 0x2f800000
	v_mul_f32_e64 v3, |v2|, s0
	v_floor_f32_e32 v3, v3
	s_mov_b32 s0, 0xcf800000
	v_fma_f32 v3, v3, s0, |v2|
	v_cvt_u32_f32_e32 v3, v3
	v_ashrrev_i32_e32 v2, 31, v2
	v_xor_b32_e32 v3, v3, v2
	v_sub_u32_e32 v2, v3, v2
	global_store_byte v[0:1], v2, off
	s_endpgm
.LBB110_881:
	s_endpgm
.LBB110_882:
	s_trap 2
	s_or_b64 s[6:7], s[6:7], exec
	s_cbranch_execz .LBB110_800
	s_branch .LBB110_801
.LBB110_883:
	s_mov_b64 s[12:13], -1
	s_mov_b64 s[8:9], 0
                                        ; implicit-def: $sgpr15
.LBB110_884:
	s_andn2_b64 vcc, exec, s[12:13]
	v_mov_b32_e32 v3, s15
                                        ; implicit-def: $sgpr12
	s_cbranch_vccnz .LBB110_886
; %bb.885:
	v_mov_b32_e32 v3, 0x42800000
	v_add_f32_e64 v3, |s14|, v3
	v_and_b32_e32 v3, 0xff, v3
	s_mov_b32 s12, 0
	v_cmp_ne_u32_e64 s[8:9], 0, v3
.LBB110_886:
	s_andn2_b64 vcc, exec, s[8:9]
	v_mov_b32_e32 v4, s12
	s_cbranch_vccnz .LBB110_888
; %bb.887:
	s_lshr_b32 s8, s10, 8
	s_and_b32 s8, s8, 0x80
	v_or_b32_e32 v4, s8, v3
.LBB110_888:
	s_mov_b64 s[8:9], 0
	global_store_byte v[0:1], v4, off
.LBB110_889:
	s_and_b64 vcc, exec, s[8:9]
	s_cbranch_vccz .LBB110_901
; %bb.890:
	s_lshl_b32 s13, s11, 16
	s_and_b32 s10, 0xffff, s11
	s_and_b32 s12, s13, 0x7fffffff
	s_cmp_lt_u32 s12, 0x43f00000
	s_cbranch_scc0 .LBB110_893
; %bb.891:
	s_cmp_gt_u32 s12, 0x3c7fffff
	s_cbranch_scc0 .LBB110_894
; %bb.892:
	s_bfe_u32 s8, s10, 0x10004
	s_add_i32 s8, s13, s8
	s_add_i32 s8, s8, 0x407ffff
	s_lshr_b32 s9, s8, 20
	s_and_b32 s8, s8, 0xff00000
	s_cmp_lg_u32 s8, 0x7f00000
	s_cselect_b32 s14, s9, 0x7e
	s_mov_b64 s[8:9], 0
	s_branch .LBB110_895
.LBB110_893:
	s_mov_b64 s[8:9], -1
                                        ; implicit-def: $vgpr3
	s_branch .LBB110_898
.LBB110_894:
	s_mov_b64 s[8:9], -1
                                        ; implicit-def: $sgpr14
.LBB110_895:
	s_andn2_b64 vcc, exec, s[8:9]
	v_mov_b32_e32 v3, s14
	s_cbranch_vccnz .LBB110_897
; %bb.896:
	v_mov_b32_e32 v3, 0x46800000
	v_add_f32_e64 v3, |s13|, v3
.LBB110_897:
	s_mov_b64 s[8:9], 0
.LBB110_898:
	s_andn2_b64 vcc, exec, s[8:9]
	s_cbranch_vccnz .LBB110_900
; %bb.899:
	s_cmp_gt_u32 s12, 0x7f800000
	s_movk_i32 s8, 0x7f
	s_cselect_b32 s8, s8, 0x7e
	v_mov_b32_e32 v3, s8
.LBB110_900:
	s_lshr_b32 s8, s10, 8
	s_and_b32 s8, s8, 0x80
	v_or_b32_e32 v3, s8, v3
	global_store_byte v[0:1], v3, off
.LBB110_901:
	s_mov_b64 s[8:9], 0
.LBB110_902:
	s_andn2_b64 vcc, exec, s[8:9]
	s_cbranch_vccnz .LBB110_914
; %bb.903:
	s_lshl_b32 s13, s11, 16
	s_and_b32 s10, 0xffff, s11
	s_and_b32 s12, s13, 0x7fffffff
	s_cmp_lt_u32 s12, 0x47800000
	s_cbranch_scc0 .LBB110_906
; %bb.904:
	s_cmp_gt_u32 s12, 0x387fffff
	s_cbranch_scc0 .LBB110_907
; %bb.905:
	s_bfe_u32 s8, s10, 0x10005
	s_add_i32 s8, s13, s8
	s_add_i32 s8, s8, 0x80fffff
	s_lshr_b32 s14, s8, 21
	s_mov_b64 s[8:9], 0
	s_branch .LBB110_908
.LBB110_906:
	s_mov_b64 s[8:9], -1
                                        ; implicit-def: $vgpr3
	s_branch .LBB110_911
.LBB110_907:
	s_mov_b64 s[8:9], -1
                                        ; implicit-def: $sgpr14
.LBB110_908:
	s_andn2_b64 vcc, exec, s[8:9]
	v_mov_b32_e32 v3, s14
	s_cbranch_vccnz .LBB110_910
; %bb.909:
	v_mov_b32_e32 v3, 0x43000000
	v_add_f32_e64 v3, |s13|, v3
.LBB110_910:
	s_mov_b64 s[8:9], 0
.LBB110_911:
	s_andn2_b64 vcc, exec, s[8:9]
	s_cbranch_vccnz .LBB110_913
; %bb.912:
	s_cmp_gt_u32 s12, 0x7f800000
	s_movk_i32 s8, 0x7f
	s_cselect_b32 s8, s8, 0x7c
	v_mov_b32_e32 v3, s8
.LBB110_913:
	s_lshr_b32 s8, s10, 8
	s_and_b32 s8, s8, 0x80
	v_or_b32_e32 v3, s8, v3
	global_store_byte v[0:1], v3, off
.LBB110_914:
	s_mov_b64 s[8:9], 0
.LBB110_915:
	s_andn2_b64 vcc, exec, s[8:9]
	s_mov_b64 s[8:9], 0
	s_cbranch_vccnz .LBB110_922
; %bb.916:
	v_cmp_lt_i16_e32 vcc, 14, v2
	s_mov_b64 s[12:13], -1
	s_cbranch_vccz .LBB110_920
; %bb.917:
	v_cmp_eq_u16_e32 vcc, 15, v2
	s_mov_b64 s[4:5], -1
	s_cbranch_vccz .LBB110_919
; %bb.918:
	v_mov_b32_e32 v3, s11
	global_store_short v[0:1], v3, off
	s_mov_b64 s[4:5], 0
.LBB110_919:
	s_mov_b64 s[12:13], 0
.LBB110_920:
	s_and_b64 vcc, exec, s[12:13]
	s_cbranch_vccz .LBB110_922
; %bb.921:
	v_cmp_ne_u16_e64 s[4:5], 11, v2
	s_mov_b64 s[8:9], -1
.LBB110_922:
	s_and_b64 vcc, exec, s[4:5]
	s_cbranch_vccnz .LBB110_924
.LBB110_923:
	s_mov_b64 s[4:5], 0
	s_branch .LBB110_841
.LBB110_924:
	s_mov_b64 s[8:9], 0
	s_or_b64 s[6:7], s[6:7], exec
	s_trap 2
	s_branch .LBB110_923
	.section	.rodata,"a",@progbits
	.p2align	6, 0x0
	.amdhsa_kernel _ZN2at6native32elementwise_kernel_manual_unrollILi128ELi4EZNS0_15gpu_kernel_implINS0_11FillFunctorIN3c108BFloat16EEEEEvRNS_18TensorIteratorBaseERKT_EUlibE_EEviT1_
		.amdhsa_group_segment_fixed_size 0
		.amdhsa_private_segment_fixed_size 0
		.amdhsa_kernarg_size 24
		.amdhsa_user_sgpr_count 6
		.amdhsa_user_sgpr_private_segment_buffer 1
		.amdhsa_user_sgpr_dispatch_ptr 0
		.amdhsa_user_sgpr_queue_ptr 0
		.amdhsa_user_sgpr_kernarg_segment_ptr 1
		.amdhsa_user_sgpr_dispatch_id 0
		.amdhsa_user_sgpr_flat_scratch_init 0
		.amdhsa_user_sgpr_kernarg_preload_length 0
		.amdhsa_user_sgpr_kernarg_preload_offset 0
		.amdhsa_user_sgpr_private_segment_size 0
		.amdhsa_uses_dynamic_stack 0
		.amdhsa_system_sgpr_private_segment_wavefront_offset 0
		.amdhsa_system_sgpr_workgroup_id_x 1
		.amdhsa_system_sgpr_workgroup_id_y 0
		.amdhsa_system_sgpr_workgroup_id_z 0
		.amdhsa_system_sgpr_workgroup_info 0
		.amdhsa_system_vgpr_workitem_id 0
		.amdhsa_next_free_vgpr 17
		.amdhsa_next_free_sgpr 65
		.amdhsa_accum_offset 20
		.amdhsa_reserve_vcc 1
		.amdhsa_reserve_flat_scratch 0
		.amdhsa_float_round_mode_32 0
		.amdhsa_float_round_mode_16_64 0
		.amdhsa_float_denorm_mode_32 3
		.amdhsa_float_denorm_mode_16_64 3
		.amdhsa_dx10_clamp 1
		.amdhsa_ieee_mode 1
		.amdhsa_fp16_overflow 0
		.amdhsa_tg_split 0
		.amdhsa_exception_fp_ieee_invalid_op 0
		.amdhsa_exception_fp_denorm_src 0
		.amdhsa_exception_fp_ieee_div_zero 0
		.amdhsa_exception_fp_ieee_overflow 0
		.amdhsa_exception_fp_ieee_underflow 0
		.amdhsa_exception_fp_ieee_inexact 0
		.amdhsa_exception_int_div_zero 0
	.end_amdhsa_kernel
	.section	.text._ZN2at6native32elementwise_kernel_manual_unrollILi128ELi4EZNS0_15gpu_kernel_implINS0_11FillFunctorIN3c108BFloat16EEEEEvRNS_18TensorIteratorBaseERKT_EUlibE_EEviT1_,"axG",@progbits,_ZN2at6native32elementwise_kernel_manual_unrollILi128ELi4EZNS0_15gpu_kernel_implINS0_11FillFunctorIN3c108BFloat16EEEEEvRNS_18TensorIteratorBaseERKT_EUlibE_EEviT1_,comdat
.Lfunc_end110:
	.size	_ZN2at6native32elementwise_kernel_manual_unrollILi128ELi4EZNS0_15gpu_kernel_implINS0_11FillFunctorIN3c108BFloat16EEEEEvRNS_18TensorIteratorBaseERKT_EUlibE_EEviT1_, .Lfunc_end110-_ZN2at6native32elementwise_kernel_manual_unrollILi128ELi4EZNS0_15gpu_kernel_implINS0_11FillFunctorIN3c108BFloat16EEEEEvRNS_18TensorIteratorBaseERKT_EUlibE_EEviT1_
                                        ; -- End function
	.section	.AMDGPU.csdata,"",@progbits
; Kernel info:
; codeLenInByte = 14652
; NumSgprs: 69
; NumVgprs: 17
; NumAgprs: 0
; TotalNumVgprs: 17
; ScratchSize: 0
; MemoryBound: 0
; FloatMode: 240
; IeeeMode: 1
; LDSByteSize: 0 bytes/workgroup (compile time only)
; SGPRBlocks: 8
; VGPRBlocks: 2
; NumSGPRsForWavesPerEU: 69
; NumVGPRsForWavesPerEU: 17
; AccumOffset: 20
; Occupancy: 8
; WaveLimiterHint : 0
; COMPUTE_PGM_RSRC2:SCRATCH_EN: 0
; COMPUTE_PGM_RSRC2:USER_SGPR: 6
; COMPUTE_PGM_RSRC2:TRAP_HANDLER: 0
; COMPUTE_PGM_RSRC2:TGID_X_EN: 1
; COMPUTE_PGM_RSRC2:TGID_Y_EN: 0
; COMPUTE_PGM_RSRC2:TGID_Z_EN: 0
; COMPUTE_PGM_RSRC2:TIDIG_COMP_CNT: 0
; COMPUTE_PGM_RSRC3_GFX90A:ACCUM_OFFSET: 4
; COMPUTE_PGM_RSRC3_GFX90A:TG_SPLIT: 0
	.section	.text._ZN2at6native32elementwise_kernel_manual_unrollILi128ELi4EZNS0_15gpu_kernel_implINS0_11FillFunctorIN3c108BFloat16EEEEEvRNS_18TensorIteratorBaseERKT_EUlibE0_EEviT1_,"axG",@progbits,_ZN2at6native32elementwise_kernel_manual_unrollILi128ELi4EZNS0_15gpu_kernel_implINS0_11FillFunctorIN3c108BFloat16EEEEEvRNS_18TensorIteratorBaseERKT_EUlibE0_EEviT1_,comdat
	.protected	_ZN2at6native32elementwise_kernel_manual_unrollILi128ELi4EZNS0_15gpu_kernel_implINS0_11FillFunctorIN3c108BFloat16EEEEEvRNS_18TensorIteratorBaseERKT_EUlibE0_EEviT1_ ; -- Begin function _ZN2at6native32elementwise_kernel_manual_unrollILi128ELi4EZNS0_15gpu_kernel_implINS0_11FillFunctorIN3c108BFloat16EEEEEvRNS_18TensorIteratorBaseERKT_EUlibE0_EEviT1_
	.globl	_ZN2at6native32elementwise_kernel_manual_unrollILi128ELi4EZNS0_15gpu_kernel_implINS0_11FillFunctorIN3c108BFloat16EEEEEvRNS_18TensorIteratorBaseERKT_EUlibE0_EEviT1_
	.p2align	8
	.type	_ZN2at6native32elementwise_kernel_manual_unrollILi128ELi4EZNS0_15gpu_kernel_implINS0_11FillFunctorIN3c108BFloat16EEEEEvRNS_18TensorIteratorBaseERKT_EUlibE0_EEviT1_,@function
_ZN2at6native32elementwise_kernel_manual_unrollILi128ELi4EZNS0_15gpu_kernel_implINS0_11FillFunctorIN3c108BFloat16EEEEEvRNS_18TensorIteratorBaseERKT_EUlibE0_EEviT1_: ; @_ZN2at6native32elementwise_kernel_manual_unrollILi128ELi4EZNS0_15gpu_kernel_implINS0_11FillFunctorIN3c108BFloat16EEEEEvRNS_18TensorIteratorBaseERKT_EUlibE0_EEviT1_
; %bb.0:
	s_load_dword s58, s[4:5], 0x0
	s_load_dword s33, s[4:5], 0x8
	s_or_b32 s28, s4, 8
	v_lshl_or_b32 v12, s6, 9, v0
	v_or_b32_e32 v8, 0x180, v12
	s_mov_b32 s29, s5
	s_waitcnt lgkmcnt(0)
	s_add_i32 s80, s33, -1
	s_cmp_gt_u32 s80, 1
	v_cmp_le_i32_e32 vcc, s58, v8
	s_cselect_b64 s[30:31], -1, 0
	s_mov_b64 s[2:3], 0
	s_mov_b64 s[6:7], 0
	s_and_saveexec_b64 s[0:1], vcc
	s_xor_b64 s[34:35], exec, s[0:1]
	s_cbranch_execz .LBB111_467
; %bb.1:
	s_cmp_lg_u32 s33, 0
	s_cselect_b64 s[64:65], -1, 0
	s_add_u32 s62, s28, 0xc4
	s_load_dwordx2 s[56:57], s[28:29], 0xc4
	s_load_dwordx2 s[54:55], s[28:29], 0x108
	s_load_dword s82, s[28:29], 0x110
	s_load_dword s0, s[4:5], 0x118
	s_load_dwordx2 s[78:79], s[28:29], 0x14
	s_addc_u32 s63, s29, 0
	s_min_u32 s59, s80, 15
	s_cmp_gt_u32 s33, 1
	s_cselect_b64 s[60:61], -1, 0
	s_waitcnt lgkmcnt(0)
	s_and_b32 s94, s82, 0xffff
	s_lshl_b32 s81, s82, 16
	s_bfe_u32 s12, s82, 0x90007
	s_lshr_b32 s95, s0, 16
	s_or_b32 s8, s12, s81
	s_bfe_u32 s0, s94, 0x80007
	s_cmpk_eq_i32 s0, 0xff
	s_cselect_b64 s[48:49], -1, 0
	s_bitcmp1_b32 s82, 6
	s_cselect_b64 s[6:7], -1, 0
	s_and_b32 s8, s8, 0x3f00ff
	s_cmp_lg_u32 s8, 0
	v_trunc_f32_e32 v2, s81
	s_cselect_b64 s[8:9], -1, 0
	v_mul_f32_e32 v0, 0x2f800000, v2
	s_and_b64 s[6:7], s[6:7], s[8:9]
	s_and_b32 s8, s81, 0x7fffffff
	v_floor_f32_e32 v0, v0
	v_mov_b32_e32 v1, v2
	s_cmp_lt_u32 s8, 0x43800000
	v_cvt_u32_f32_e32 v7, v0
	v_fmac_f32_e32 v1, 0xcf800000, v0
	v_cndmask_b32_e64 v0, 0, 1, s[6:7]
	s_cselect_b64 s[26:27], -1, 0
	s_cmp_gt_u32 s8, 0x3bffffff
	v_add_u32_e32 v15, s12, v0
	s_cselect_b64 s[50:51], -1, 0
	s_bfe_u32 s6, s82, 0x10004
	v_mov_b32_e32 v0, 0x46000000
	s_or_b32 s9, s81, s6
	v_add_f32_e64 v0, |s81|, v0
	s_add_i32 s6, s9, 0x487ffff
	v_readfirstlane_b32 s93, v0
	s_lshr_b32 s52, s6, 20
	s_and_b32 s6, s93, 0xff
	s_cmp_lg_u32 s6, 0
	s_cselect_b64 s[22:23], -1, 0
	s_lshr_b32 s6, s82, 8
	s_and_b32 s18, s6, 0x80
	s_cmp_gt_u32 s8, 0x477fffff
	s_cselect_b64 s[6:7], -1, 0
	s_cmp_lt_u32 s8, 0x47800000
	s_cselect_b64 s[44:45], -1, 0
	s_cmp_gt_u32 s8, 0x37ffffff
	s_cselect_b64 s[42:43], -1, 0
	s_bfe_u32 s12, s82, 0x10005
	v_mov_b32_e32 v0, 0x42800000
	s_or_b32 s12, s81, s12
	v_add_f32_e64 v0, |s81|, v0
	s_add_i32 s13, s12, 0x88fffff
	v_readfirstlane_b32 s91, v0
	s_lshr_b32 s89, s13, 21
	s_and_b32 s13, s91, 0xff
	s_mov_b32 s10, 0x2f800000
	s_cmp_lg_u32 s13, 0
	s_cselect_b64 s[46:47], -1, 0
	s_cmp_gt_u32 s8, 0x43efffff
	v_mul_f32_e64 v3, |v2|, s10
	s_mov_b32 s11, 0xcf800000
	s_cselect_b64 s[38:39], -1, 0
	s_cmp_lt_u32 s8, 0x3c800000
	v_mov_b32_e32 v0, 0x46800000
	v_floor_f32_e32 v3, v3
	s_cselect_b64 s[40:41], -1, 0
	s_add_i32 s9, s9, 0x407ffff
	v_add_f32_e64 v0, |s81|, v0
	v_fma_f32 v4, v3, s11, |v2|
	s_lshr_b32 s13, s9, 20
	s_and_b32 s9, s9, 0xff00000
	v_readfirstlane_b32 s92, v0
	v_mov_b32_e32 v0, 0x43000000
	v_cvt_u32_f32_e32 v4, v4
	s_cmp_lg_u32 s9, 0x7f00000
	v_add_f32_e64 v0, |s81|, v0
	v_cvt_u32_f32_e32 v3, v3
	s_cselect_b32 s88, s13, 0x7e
	s_cmp_lt_u32 s8, 0x38800000
	v_readfirstlane_b32 s84, v0
	v_mov_b32_e32 v0, 0x7fff
	s_cselect_b64 s[36:37], -1, 0
	s_add_i32 s12, s12, 0x80fffff
	v_and_b32_e32 v0, s82, v0
	v_ashrrev_i32_e32 v2, 31, v2
	v_cvt_u32_f32_e32 v6, v1
	v_cvt_u32_f32_e32 v14, s81
	s_lshr_b32 s86, s12, 21
	v_cmp_ne_u16_e32 vcc, 0, v0
	v_cvt_f16_f32_e32 v11, s81
	v_xor_b32_e32 v4, v4, v2
	v_cvt_i32_f32_e32 v10, s81
	s_cmp_gt_u32 s8, 0x7f800000
	s_movk_i32 s8, 0x7f
	v_cndmask_b32_e64 v13, 0, 1, vcc
	v_xor_b32_e32 v3, v3, v2
	v_sub_co_u32_e32 v4, vcc, v4, v2
	s_cselect_b32 s90, s8, 0x7e
	s_movk_i32 s8, 0x7c
	v_subb_co_u32_e32 v5, vcc, v3, v2, vcc
	s_cselect_b32 s83, 0x7f, s8
	v_cvt_f64_f32_e32 v[0:1], s81
	v_cmp_gt_i32_e32 vcc, s58, v12
	s_mov_b64 s[10:11], -1
	s_mov_b64 s[72:73], 0
	s_mov_b64 s[66:67], 0
	s_and_saveexec_b64 s[68:69], vcc
	s_cbranch_execz .LBB111_115
; %bb.2:
	s_andn2_b64 vcc, exec, s[30:31]
	s_cbranch_vccnz .LBB111_8
; %bb.3:
	s_andn2_b64 vcc, exec, s[64:65]
	s_cbranch_vccnz .LBB111_9
; %bb.4:
	s_add_i32 s75, s59, 1
	s_mov_b32 s74, 0
	s_cmp_eq_u32 s80, 2
	v_mov_b32_e32 v2, 0
	s_cbranch_scc1 .LBB111_10
; %bb.5:
	s_mov_b64 vcc, s[26:27]
	s_mov_b64 s[0:1], s[22:23]
	s_and_b32 s74, s75, 28
	s_mov_b32 s76, 0
	v_mov_b32_e32 v2, 0
	s_mov_b64 s[66:67], s[28:29]
	s_mov_b64 s[70:71], s[62:63]
	v_mov_b32_e32 v8, v12
.LBB111_6:                              ; =>This Inner Loop Header: Depth=1
	s_load_dwordx8 s[8:15], s[66:67], 0x4
	s_load_dwordx4 s[20:23], s[66:67], 0x24
	s_load_dwordx4 s[24:27], s[70:71], 0x0
	s_add_u32 s66, s66, 48
	s_addc_u32 s67, s67, 0
	s_waitcnt lgkmcnt(0)
	v_mul_hi_u32 v3, s9, v8
	v_add_u32_e32 v3, v8, v3
	v_lshrrev_b32_e32 v3, s10, v3
	v_mul_lo_u32 v9, v3, s8
	v_mul_hi_u32 v16, s12, v3
	v_sub_u32_e32 v8, v8, v9
	v_add_u32_e32 v9, v3, v16
	v_lshrrev_b32_e32 v9, s13, v9
	v_mul_lo_u32 v16, v9, s11
	v_mul_hi_u32 v17, s15, v9
	v_sub_u32_e32 v3, v3, v16
	v_add_u32_e32 v16, v9, v17
	v_mul_lo_u32 v8, v8, s24
	v_mul_lo_u32 v3, v3, s25
	v_lshrrev_b32_e32 v16, s20, v16
	v_add3_u32 v2, v8, v2, v3
	v_mul_hi_u32 v8, s22, v16
	v_add_u32_e32 v8, v16, v8
	v_mul_lo_u32 v3, v16, s14
	v_lshrrev_b32_e32 v8, s23, v8
	s_add_i32 s76, s76, 4
	v_sub_u32_e32 v3, v9, v3
	v_mul_lo_u32 v9, v8, s21
	s_add_u32 s70, s70, 16
	v_sub_u32_e32 v9, v16, v9
	s_addc_u32 s71, s71, 0
	v_mul_lo_u32 v3, v3, s26
	v_mul_lo_u32 v9, v9, s27
	s_cmp_lg_u32 s74, s76
	v_add3_u32 v2, v3, v2, v9
	s_cbranch_scc1 .LBB111_6
; %bb.7:
	s_mov_b64 s[22:23], s[0:1]
	s_mov_b64 s[26:27], vcc
	s_branch .LBB111_11
.LBB111_8:
                                        ; implicit-def: $vgpr2
	s_branch .LBB111_15
.LBB111_9:
	v_mov_b32_e32 v2, 0
	s_branch .LBB111_14
.LBB111_10:
	v_mov_b32_e32 v8, v12
.LBB111_11:
	s_and_b32 s12, s75, 3
	s_cmp_eq_u32 s12, 0
	s_cbranch_scc1 .LBB111_14
; %bb.12:
	s_lshl_b32 s8, s74, 2
	s_add_u32 s8, s8, s28
	s_addc_u32 s9, s29, 0
	s_add_u32 s8, s8, 0xc4
	s_addc_u32 s9, s9, 0
	s_mul_i32 s10, s74, 12
	s_add_u32 s10, s28, s10
	s_addc_u32 s11, s29, 0
.LBB111_13:                             ; =>This Inner Loop Header: Depth=1
	s_load_dwordx2 s[14:15], s[10:11], 0x4
	s_load_dword s13, s[10:11], 0xc
	s_load_dword s20, s[8:9], 0x0
	s_add_u32 s10, s10, 12
	s_addc_u32 s11, s11, 0
	s_waitcnt lgkmcnt(0)
	v_mul_hi_u32 v3, s15, v8
	v_add_u32_e32 v3, v8, v3
	v_lshrrev_b32_e32 v3, s13, v3
	s_add_u32 s8, s8, 4
	v_mul_lo_u32 v9, v3, s14
	s_addc_u32 s9, s9, 0
	s_add_i32 s12, s12, -1
	v_sub_u32_e32 v9, v8, v9
	s_cmp_lg_u32 s12, 0
	v_mov_b32_e32 v8, v3
	v_mad_u64_u32 v[2:3], s[14:15], v9, s20, v[2:3]
	s_cbranch_scc1 .LBB111_13
.LBB111_14:
	s_cbranch_execnz .LBB111_17
.LBB111_15:
	s_load_dwordx4 s[8:11], s[28:29], 0x4
	s_andn2_b64 vcc, exec, s[60:61]
	s_waitcnt lgkmcnt(0)
	v_mul_hi_u32 v2, s9, v12
	v_add_u32_e32 v2, v12, v2
	v_lshrrev_b32_e32 v3, s10, v2
	v_mul_lo_u32 v2, v3, s8
	v_sub_u32_e32 v2, v12, v2
	v_mul_lo_u32 v2, v2, s56
	s_cbranch_vccnz .LBB111_17
; %bb.16:
	v_mul_hi_u32 v8, s78, v3
	v_add_u32_e32 v8, v3, v8
	v_lshrrev_b32_e32 v8, s79, v8
	v_mul_lo_u32 v8, v8, s11
	v_sub_u32_e32 v3, v3, v8
	v_mad_u64_u32 v[2:3], s[8:9], v3, s57, v[2:3]
.LBB111_17:
	v_mov_b32_e32 v3, s55
	v_add_co_u32_e32 v8, vcc, s54, v2
	v_mov_b32_e32 v2, 11
	v_addc_co_u32_e32 v9, vcc, 0, v3, vcc
	v_cmp_lt_i16_sdwa s[8:9], s95, v2 src0_sel:BYTE_0 src1_sel:DWORD
	s_and_b64 vcc, exec, s[8:9]
	s_cbranch_vccnz .LBB111_24
; %bb.18:
	v_mov_b32_e32 v2, 25
	v_cmp_gt_i16_sdwa s[8:9], s95, v2 src0_sel:BYTE_0 src1_sel:DWORD
	s_and_b64 vcc, exec, s[8:9]
	s_cbranch_vccz .LBB111_27
; %bb.19:
	v_mov_b32_e32 v2, 28
	v_cmp_gt_i16_sdwa s[8:9], s95, v2 src0_sel:BYTE_0 src1_sel:DWORD
	s_and_b64 vcc, exec, s[8:9]
	s_cbranch_vccz .LBB111_28
	;; [unrolled: 5-line block ×4, first 2 shown]
; %bb.22:
	v_mov_b32_e32 v2, 46
	v_cmp_eq_u16_sdwa s[10:11], s95, v2 src0_sel:BYTE_0 src1_sel:DWORD
	s_mov_b64 s[12:13], 0
	s_mov_b64 s[8:9], -1
	s_and_b64 vcc, exec, s[10:11]
	s_mov_b64 s[10:11], 0
	s_cbranch_vccz .LBB111_31
; %bb.23:
	v_mov_b32_e32 v2, s94
	global_store_dword v[8:9], v2, off
	s_mov_b64 s[10:11], -1
	s_mov_b64 s[8:9], 0
	s_branch .LBB111_31
.LBB111_24:
	s_mov_b64 s[8:9], 0
	s_mov_b64 s[10:11], 0
	s_cbranch_execnz .LBB111_75
.LBB111_25:
	s_andn2_b64 vcc, exec, s[10:11]
	s_cbranch_vccnz .LBB111_113
.LBB111_26:
	v_add_u32_e32 v12, 0x80, v12
	s_mov_b64 s[10:11], -1
	s_branch .LBB111_114
.LBB111_27:
	s_mov_b64 s[8:9], 0
	s_mov_b64 s[10:11], 0
	s_cbranch_execnz .LBB111_53
	s_branch .LBB111_74
.LBB111_28:
	s_mov_b64 s[12:13], -1
	s_mov_b64 s[8:9], 0
	s_mov_b64 s[10:11], 0
	s_branch .LBB111_39
.LBB111_29:
	s_mov_b64 s[12:13], -1
	s_mov_b64 s[8:9], 0
	s_mov_b64 s[10:11], 0
	s_branch .LBB111_35
.LBB111_30:
	s_mov_b64 s[12:13], -1
	s_mov_b64 s[8:9], 0
	s_mov_b64 s[10:11], 0
.LBB111_31:
	s_and_b64 vcc, exec, s[12:13]
	s_cbranch_vccz .LBB111_34
; %bb.32:
	v_mov_b32_e32 v2, 44
	v_cmp_eq_u16_sdwa s[12:13], s95, v2 src0_sel:BYTE_0 src1_sel:DWORD
	s_mov_b64 s[8:9], -1
	s_and_b64 vcc, exec, s[12:13]
	s_cbranch_vccz .LBB111_34
; %bb.33:
	v_mov_b32_e32 v2, 0xff
	v_cndmask_b32_e64 v2, v15, v2, s[48:49]
	global_store_byte v[8:9], v2, off
	s_mov_b64 s[10:11], -1
	s_mov_b64 s[8:9], 0
.LBB111_34:
	s_mov_b64 s[12:13], 0
.LBB111_35:
	s_and_b64 vcc, exec, s[12:13]
	s_cbranch_vccz .LBB111_38
; %bb.36:
	v_mov_b32_e32 v2, 29
	v_cmp_eq_u16_sdwa s[12:13], s95, v2 src0_sel:BYTE_0 src1_sel:DWORD
	s_mov_b64 s[8:9], -1
	s_and_b64 vcc, exec, s[12:13]
	s_cbranch_vccz .LBB111_38
; %bb.37:
	global_store_dwordx2 v[8:9], v[6:7], off
	s_mov_b64 s[10:11], -1
	s_mov_b64 s[8:9], 0
.LBB111_38:
	s_mov_b64 s[12:13], 0
.LBB111_39:
	s_and_b64 vcc, exec, s[12:13]
	s_cbranch_vccz .LBB111_52
; %bb.40:
	v_mov_b32_e32 v2, 27
	v_cmp_lt_i16_sdwa s[12:13], s95, v2 src0_sel:BYTE_0 src1_sel:DWORD
	s_mov_b64 s[10:11], -1
	s_and_b64 vcc, exec, s[12:13]
	s_cbranch_vccnz .LBB111_46
; %bb.41:
	v_cmp_gt_i16_sdwa s[12:13], s95, v2 src0_sel:BYTE_0 src1_sel:DWORD
	s_and_b64 vcc, exec, s[12:13]
	s_cbranch_vccz .LBB111_43
; %bb.42:
	s_mov_b64 s[10:11], 0
	global_store_dword v[8:9], v14, off
.LBB111_43:
	s_andn2_b64 vcc, exec, s[10:11]
	s_cbranch_vccnz .LBB111_45
; %bb.44:
	global_store_short v[8:9], v14, off
.LBB111_45:
	s_mov_b64 s[10:11], 0
.LBB111_46:
	s_andn2_b64 vcc, exec, s[10:11]
	s_cbranch_vccnz .LBB111_51
; %bb.47:
	s_andn2_b64 vcc, exec, s[26:27]
	s_movk_i32 s10, 0x80
	s_cbranch_vccnz .LBB111_50
; %bb.48:
	s_or_b64 s[10:11], s[50:51], s[22:23]
	s_andn2_b64 vcc, exec, s[10:11]
	s_mov_b32 s10, 0
	s_cbranch_vccnz .LBB111_50
; %bb.49:
	s_and_b64 s[10:11], s[50:51], exec
	s_cselect_b32 s10, s52, s93
	s_or_b32 s10, s10, s18
.LBB111_50:
	v_mov_b32_e32 v2, s10
	global_store_byte v[8:9], v2, off
.LBB111_51:
	s_mov_b64 s[10:11], -1
.LBB111_52:
	s_branch .LBB111_74
.LBB111_53:
	v_mov_b32_e32 v2, 22
	v_cmp_gt_i16_sdwa s[14:15], s95, v2 src0_sel:BYTE_0 src1_sel:DWORD
	s_mov_b64 s[12:13], -1
	s_and_b64 vcc, exec, s[14:15]
	s_cbranch_vccz .LBB111_66
; %bb.54:
	v_mov_b32_e32 v2, 24
	v_cmp_lt_i16_sdwa s[12:13], s95, v2 src0_sel:BYTE_0 src1_sel:DWORD
	s_mov_b64 s[10:11], -1
	s_and_b64 vcc, exec, s[12:13]
	s_cbranch_vccnz .LBB111_63
; %bb.55:
	v_cmp_gt_i16_sdwa s[12:13], s95, v2 src0_sel:BYTE_0 src1_sel:DWORD
	s_and_b64 vcc, exec, s[12:13]
	s_cbranch_vccz .LBB111_60
; %bb.56:
	s_andn2_b64 vcc, exec, s[44:45]
	s_movk_i32 s10, 0x80
	s_cbranch_vccnz .LBB111_59
; %bb.57:
	s_or_b64 s[10:11], s[42:43], s[46:47]
	s_andn2_b64 vcc, exec, s[10:11]
	s_mov_b32 s10, 0
	s_cbranch_vccnz .LBB111_59
; %bb.58:
	s_and_b64 s[10:11], s[42:43], exec
	s_cselect_b32 s10, s89, s91
	s_or_b32 s10, s10, s18
.LBB111_59:
	v_mov_b32_e32 v2, s10
	s_mov_b64 s[10:11], 0
	global_store_byte v[8:9], v2, off
.LBB111_60:
	s_and_b64 vcc, exec, s[10:11]
	s_cbranch_vccz .LBB111_62
; %bb.61:
	s_and_b64 s[10:11], s[40:41], exec
	s_cselect_b32 s12, s92, s88
	s_and_b64 s[10:11], s[38:39], exec
	s_cselect_b32 s10, s90, s12
	s_or_b32 s10, s10, s18
	v_mov_b32_e32 v2, s10
	global_store_byte v[8:9], v2, off
.LBB111_62:
	s_mov_b64 s[10:11], 0
.LBB111_63:
	s_andn2_b64 vcc, exec, s[10:11]
	s_cbranch_vccnz .LBB111_65
; %bb.64:
	s_and_b64 s[10:11], s[36:37], exec
	s_cselect_b32 s12, s84, s86
	s_and_b64 s[10:11], s[6:7], exec
	s_cselect_b32 s10, s83, s12
	s_or_b32 s10, s10, s18
	v_mov_b32_e32 v2, s10
	global_store_byte v[8:9], v2, off
.LBB111_65:
	s_mov_b64 s[12:13], 0
	s_mov_b64 s[10:11], -1
.LBB111_66:
	s_andn2_b64 vcc, exec, s[12:13]
	s_cbranch_vccnz .LBB111_74
; %bb.67:
	v_mov_b32_e32 v2, 14
	v_cmp_gt_i16_sdwa s[14:15], s95, v2 src0_sel:BYTE_0 src1_sel:DWORD
	s_mov_b64 s[12:13], -1
	s_and_b64 vcc, exec, s[14:15]
	s_cbranch_vccz .LBB111_71
; %bb.68:
	v_mov_b32_e32 v2, 15
	v_cmp_eq_u16_sdwa s[12:13], s95, v2 src0_sel:BYTE_0 src1_sel:DWORD
	s_mov_b64 s[8:9], -1
	s_and_b64 vcc, exec, s[12:13]
	s_cbranch_vccz .LBB111_70
; %bb.69:
	v_mov_b32_e32 v2, s82
	global_store_short v[8:9], v2, off
	s_mov_b64 s[10:11], -1
	s_mov_b64 s[8:9], 0
.LBB111_70:
	s_mov_b64 s[12:13], 0
.LBB111_71:
	s_and_b64 vcc, exec, s[12:13]
	s_cbranch_vccz .LBB111_74
; %bb.72:
	v_mov_b32_e32 v2, 11
	v_cmp_eq_u16_sdwa s[12:13], s95, v2 src0_sel:BYTE_0 src1_sel:DWORD
	s_mov_b64 s[8:9], -1
	s_and_b64 vcc, exec, s[12:13]
	s_cbranch_vccz .LBB111_74
; %bb.73:
	s_mov_b64 s[10:11], -1
	s_mov_b64 s[8:9], 0
	global_store_byte v[8:9], v13, off
.LBB111_74:
	s_branch .LBB111_25
.LBB111_75:
	v_mov_b32_e32 v2, 5
	v_cmp_lt_i16_sdwa s[12:13], s95, v2 src0_sel:BYTE_0 src1_sel:DWORD
	s_mov_b64 s[10:11], -1
	s_and_b64 vcc, exec, s[12:13]
	s_cbranch_vccnz .LBB111_96
; %bb.76:
	v_mov_b32_e32 v2, 8
	v_cmp_lt_i16_sdwa s[12:13], s95, v2 src0_sel:BYTE_0 src1_sel:DWORD
	s_and_b64 vcc, exec, s[12:13]
	s_cbranch_vccnz .LBB111_86
; %bb.77:
	v_mov_b32_e32 v2, 9
	v_cmp_lt_i16_sdwa s[12:13], s95, v2 src0_sel:BYTE_0 src1_sel:DWORD
	s_and_b64 vcc, exec, s[12:13]
	s_cbranch_vccnz .LBB111_83
; %bb.78:
	v_cmp_gt_i16_sdwa s[12:13], s95, v2 src0_sel:BYTE_0 src1_sel:DWORD
	s_and_b64 vcc, exec, s[12:13]
	s_cbranch_vccz .LBB111_80
; %bb.79:
	v_mov_b32_e32 v2, 0
	v_mov_b32_e32 v3, v2
	global_store_dwordx4 v[8:9], v[0:3], off
	s_mov_b64 s[10:11], 0
.LBB111_80:
	s_andn2_b64 vcc, exec, s[10:11]
	s_cbranch_vccnz .LBB111_82
; %bb.81:
	v_mov_b32_e32 v2, s81
	v_mov_b32_e32 v3, 0
	global_store_dwordx2 v[8:9], v[2:3], off
.LBB111_82:
	s_mov_b64 s[10:11], 0
.LBB111_83:
	s_andn2_b64 vcc, exec, s[10:11]
	s_cbranch_vccnz .LBB111_85
; %bb.84:
	global_store_dword v[8:9], v11, off
.LBB111_85:
	s_mov_b64 s[10:11], 0
.LBB111_86:
	s_andn2_b64 vcc, exec, s[10:11]
	s_cbranch_vccnz .LBB111_95
; %bb.87:
	v_mov_b32_e32 v2, 6
	v_cmp_lt_i16_sdwa s[12:13], s95, v2 src0_sel:BYTE_0 src1_sel:DWORD
	s_mov_b64 s[10:11], -1
	s_and_b64 vcc, exec, s[12:13]
	s_cbranch_vccnz .LBB111_93
; %bb.88:
	v_cmp_gt_i16_sdwa s[12:13], s95, v2 src0_sel:BYTE_0 src1_sel:DWORD
	s_and_b64 vcc, exec, s[12:13]
	s_cbranch_vccz .LBB111_90
; %bb.89:
	global_store_dwordx2 v[8:9], v[0:1], off
	s_mov_b64 s[10:11], 0
.LBB111_90:
	s_andn2_b64 vcc, exec, s[10:11]
	s_cbranch_vccnz .LBB111_92
; %bb.91:
	v_mov_b32_e32 v2, s81
	global_store_dword v[8:9], v2, off
.LBB111_92:
	s_mov_b64 s[10:11], 0
.LBB111_93:
	s_andn2_b64 vcc, exec, s[10:11]
	s_cbranch_vccnz .LBB111_95
; %bb.94:
	global_store_short v[8:9], v11, off
.LBB111_95:
	s_mov_b64 s[10:11], 0
.LBB111_96:
	s_andn2_b64 vcc, exec, s[10:11]
	s_cbranch_vccnz .LBB111_112
; %bb.97:
	v_mov_b32_e32 v2, 2
	v_cmp_lt_i16_sdwa s[12:13], s95, v2 src0_sel:BYTE_0 src1_sel:DWORD
	s_mov_b64 s[10:11], -1
	s_and_b64 vcc, exec, s[12:13]
	s_cbranch_vccnz .LBB111_107
; %bb.98:
	v_mov_b32_e32 v2, 3
	v_cmp_lt_i16_sdwa s[12:13], s95, v2 src0_sel:BYTE_0 src1_sel:DWORD
	s_and_b64 vcc, exec, s[12:13]
	s_cbranch_vccnz .LBB111_104
; %bb.99:
	v_cmp_gt_i16_sdwa s[12:13], s95, v2 src0_sel:BYTE_0 src1_sel:DWORD
	s_and_b64 vcc, exec, s[12:13]
	s_cbranch_vccz .LBB111_101
; %bb.100:
	global_store_dwordx2 v[8:9], v[4:5], off
	s_mov_b64 s[10:11], 0
.LBB111_101:
	s_andn2_b64 vcc, exec, s[10:11]
	s_cbranch_vccnz .LBB111_103
; %bb.102:
	global_store_dword v[8:9], v10, off
.LBB111_103:
	s_mov_b64 s[10:11], 0
.LBB111_104:
	s_andn2_b64 vcc, exec, s[10:11]
	s_cbranch_vccnz .LBB111_106
; %bb.105:
	global_store_short v[8:9], v10, off
.LBB111_106:
	s_mov_b64 s[10:11], 0
.LBB111_107:
	s_andn2_b64 vcc, exec, s[10:11]
	s_cbranch_vccnz .LBB111_112
; %bb.108:
	v_mov_b32_e32 v2, 0
	v_cmp_gt_i16_sdwa s[12:13], s95, v2 src0_sel:BYTE_0 src1_sel:DWORD
	s_mov_b64 s[10:11], -1
	s_and_b64 vcc, exec, s[12:13]
	s_cbranch_vccz .LBB111_110
; %bb.109:
	global_store_byte v[8:9], v10, off
	s_mov_b64 s[10:11], 0
.LBB111_110:
	s_andn2_b64 vcc, exec, s[10:11]
	s_cbranch_vccnz .LBB111_112
; %bb.111:
	global_store_byte v[8:9], v4, off
.LBB111_112:
	s_branch .LBB111_26
.LBB111_113:
	s_mov_b64 s[10:11], 0
                                        ; implicit-def: $vgpr12
.LBB111_114:
	s_and_b64 s[66:67], s[8:9], exec
	s_orn2_b64 s[10:11], s[10:11], exec
.LBB111_115:
	s_or_b64 exec, exec, s[68:69]
	s_mov_b64 s[8:9], 0
                                        ; implicit-def: $vgpr16
                                        ; implicit-def: $vgpr8_vgpr9
	s_and_saveexec_b64 s[68:69], s[10:11]
	s_cbranch_execz .LBB111_123
; %bb.116:
	v_cmp_gt_i32_e32 vcc, s58, v12
	s_mov_b64 s[8:9], -1
	s_mov_b64 s[70:71], s[66:67]
	s_and_saveexec_b64 s[72:73], vcc
	s_cbranch_execz .LBB111_234
; %bb.117:
	s_andn2_b64 vcc, exec, s[30:31]
	s_cbranch_vccnz .LBB111_126
; %bb.118:
	s_andn2_b64 vcc, exec, s[64:65]
	s_cbranch_vccnz .LBB111_127
; %bb.119:
	s_add_i32 s77, s59, 1
	s_mov_b32 s76, 0
	s_cmp_eq_u32 s80, 2
	v_mov_b32_e32 v2, 0
	s_cbranch_scc1 .LBB111_128
; %bb.120:
	s_mov_b64 s[16:17], s[48:49]
	s_mov_b64 vcc, s[26:27]
	s_mov_b64 s[48:49], s[22:23]
	s_mov_b32 s0, s84
	s_mov_b64 s[84:85], s[36:37]
	s_mov_b32 s36, s52
	s_mov_b64 s[52:53], s[6:7]
	s_mov_b64 s[6:7], s[44:45]
	s_mov_b32 s44, s90
	s_mov_b32 s90, s89
	;; [unrolled: 1-line block ×3, first 2 shown]
	s_mov_b64 s[88:89], s[40:41]
	s_mov_b64 s[40:41], s[38:39]
	;; [unrolled: 1-line block ×5, first 2 shown]
	s_and_b32 s76, s77, 28
	s_mov_b32 s78, 0
	v_mov_b32_e32 v2, 0
	s_mov_b64 s[70:71], s[28:29]
	s_mov_b64 s[74:75], s[62:63]
	v_mov_b32_e32 v8, v12
.LBB111_121:                            ; =>This Inner Loop Header: Depth=1
	s_load_dwordx8 s[8:15], s[70:71], 0x4
	s_load_dwordx4 s[20:23], s[70:71], 0x24
	s_load_dwordx4 s[24:27], s[74:75], 0x0
	s_add_u32 s70, s70, 48
	s_addc_u32 s71, s71, 0
	s_waitcnt lgkmcnt(0)
	v_mul_hi_u32 v3, s9, v8
	v_add_u32_e32 v3, v8, v3
	v_lshrrev_b32_e32 v3, s10, v3
	v_mul_lo_u32 v9, v3, s8
	v_mul_hi_u32 v16, s12, v3
	v_sub_u32_e32 v8, v8, v9
	v_add_u32_e32 v9, v3, v16
	v_lshrrev_b32_e32 v9, s13, v9
	v_mul_lo_u32 v16, v9, s11
	v_mul_hi_u32 v17, s15, v9
	v_sub_u32_e32 v3, v3, v16
	v_add_u32_e32 v16, v9, v17
	v_mul_lo_u32 v8, v8, s24
	v_mul_lo_u32 v3, v3, s25
	v_lshrrev_b32_e32 v16, s20, v16
	v_add3_u32 v2, v8, v2, v3
	v_mul_hi_u32 v8, s22, v16
	v_add_u32_e32 v8, v16, v8
	v_mul_lo_u32 v3, v16, s14
	v_lshrrev_b32_e32 v8, s23, v8
	s_add_i32 s78, s78, 4
	v_sub_u32_e32 v3, v9, v3
	v_mul_lo_u32 v9, v8, s21
	s_add_u32 s74, s74, 16
	v_sub_u32_e32 v9, v16, v9
	s_addc_u32 s75, s75, 0
	v_mul_lo_u32 v3, v3, s26
	v_mul_lo_u32 v9, v9, s27
	s_cmp_eq_u32 s76, s78
	v_add3_u32 v2, v3, v2, v9
	s_cbranch_scc0 .LBB111_121
; %bb.122:
	s_mov_b64 s[78:79], s[46:47]
	s_mov_b64 s[46:47], s[42:43]
	;; [unrolled: 1-line block ×5, first 2 shown]
	s_mov_b32 s88, s87
	s_mov_b32 s89, s90
	;; [unrolled: 1-line block ×3, first 2 shown]
	s_mov_b64 s[44:45], s[6:7]
	s_mov_b64 s[6:7], s[52:53]
	s_mov_b32 s52, s36
	s_mov_b64 s[36:37], s[84:85]
	s_mov_b32 s84, s0
	s_mov_b64 s[22:23], s[48:49]
	s_mov_b64 s[26:27], vcc
	s_mov_b64 s[48:49], s[16:17]
	s_branch .LBB111_129
.LBB111_123:
	s_or_b64 exec, exec, s[68:69]
	s_mov_b64 s[0:1], 0
	s_and_saveexec_b64 s[6:7], s[66:67]
	s_cbranch_execnz .LBB111_427
.LBB111_124:
	s_or_b64 exec, exec, s[6:7]
	s_and_saveexec_b64 s[6:7], s[72:73]
	s_xor_b64 s[6:7], exec, s[6:7]
	s_cbranch_execz .LBB111_428
.LBB111_125:
	global_store_byte v[8:9], v13, off
	s_or_b64 exec, exec, s[6:7]
	s_and_saveexec_b64 s[6:7], s[8:9]
	s_xor_b64 s[6:7], exec, s[6:7]
	s_cbranch_execz .LBB111_466
	s_branch .LBB111_429
.LBB111_126:
                                        ; implicit-def: $vgpr2
	s_andn2_b64 vcc, exec, s[8:9]
	s_cbranch_vccz .LBB111_133
	s_branch .LBB111_135
.LBB111_127:
	v_mov_b32_e32 v2, 0
	s_branch .LBB111_132
.LBB111_128:
	v_mov_b32_e32 v8, v12
.LBB111_129:
	s_and_b32 s12, s77, 3
	s_cmp_eq_u32 s12, 0
	s_cbranch_scc1 .LBB111_132
; %bb.130:
	s_lshl_b32 s8, s76, 2
	s_add_u32 s8, s8, s28
	s_addc_u32 s9, s29, 0
	s_add_u32 s8, s8, 0xc4
	s_addc_u32 s9, s9, 0
	s_mul_i32 s10, s76, 12
	s_add_u32 s10, s28, s10
	s_addc_u32 s11, s29, 0
.LBB111_131:                            ; =>This Inner Loop Header: Depth=1
	s_load_dwordx2 s[14:15], s[10:11], 0x4
	s_load_dword s13, s[10:11], 0xc
	s_load_dword s20, s[8:9], 0x0
	s_add_u32 s10, s10, 12
	s_addc_u32 s11, s11, 0
	s_waitcnt lgkmcnt(0)
	v_mul_hi_u32 v3, s15, v8
	v_add_u32_e32 v3, v8, v3
	v_lshrrev_b32_e32 v3, s13, v3
	s_add_u32 s8, s8, 4
	v_mul_lo_u32 v9, v3, s14
	s_addc_u32 s9, s9, 0
	s_add_i32 s12, s12, -1
	v_sub_u32_e32 v9, v8, v9
	s_cmp_lg_u32 s12, 0
	v_mov_b32_e32 v8, v3
	v_mad_u64_u32 v[2:3], s[14:15], v9, s20, v[2:3]
	s_cbranch_scc1 .LBB111_131
.LBB111_132:
	s_cbranch_execnz .LBB111_135
.LBB111_133:
	s_load_dwordx4 s[8:11], s[28:29], 0x4
	s_andn2_b64 vcc, exec, s[60:61]
	s_waitcnt lgkmcnt(0)
	v_mul_hi_u32 v2, s9, v12
	v_add_u32_e32 v2, v12, v2
	v_lshrrev_b32_e32 v3, s10, v2
	v_mul_lo_u32 v2, v3, s8
	v_sub_u32_e32 v2, v12, v2
	v_mul_lo_u32 v2, v2, s56
	s_cbranch_vccnz .LBB111_135
; %bb.134:
	v_mul_hi_u32 v8, s78, v3
	v_add_u32_e32 v8, v3, v8
	v_lshrrev_b32_e32 v8, s79, v8
	v_mul_lo_u32 v8, v8, s11
	v_sub_u32_e32 v3, v3, v8
	v_mad_u64_u32 v[2:3], s[8:9], v3, s57, v[2:3]
.LBB111_135:
	v_mov_b32_e32 v3, s55
	v_add_co_u32_e32 v8, vcc, s54, v2
	v_mov_b32_e32 v2, 11
	v_addc_co_u32_e32 v9, vcc, 0, v3, vcc
	v_cmp_lt_i16_sdwa s[8:9], s95, v2 src0_sel:BYTE_0 src1_sel:DWORD
	s_and_b64 vcc, exec, s[8:9]
	s_cbranch_vccnz .LBB111_142
; %bb.136:
	v_mov_b32_e32 v2, 25
	v_cmp_gt_i16_sdwa s[8:9], s95, v2 src0_sel:BYTE_0 src1_sel:DWORD
	s_and_b64 vcc, exec, s[8:9]
	s_cbranch_vccz .LBB111_145
; %bb.137:
	v_mov_b32_e32 v2, 28
	v_cmp_gt_i16_sdwa s[8:9], s95, v2 src0_sel:BYTE_0 src1_sel:DWORD
	s_and_b64 vcc, exec, s[8:9]
	s_cbranch_vccz .LBB111_146
; %bb.138:
	v_mov_b32_e32 v2, 43
	v_cmp_gt_i16_sdwa s[8:9], s95, v2 src0_sel:BYTE_0 src1_sel:DWORD
	s_and_b64 vcc, exec, s[8:9]
	s_cbranch_vccz .LBB111_147
; %bb.139:
	v_mov_b32_e32 v2, 45
	v_cmp_gt_i16_sdwa s[8:9], s95, v2 src0_sel:BYTE_0 src1_sel:DWORD
	s_and_b64 vcc, exec, s[8:9]
	s_cbranch_vccz .LBB111_148
; %bb.140:
	v_mov_b32_e32 v2, 46
	v_cmp_eq_u16_sdwa s[10:11], s95, v2 src0_sel:BYTE_0 src1_sel:DWORD
	s_mov_b64 s[12:13], 0
	s_mov_b64 s[8:9], -1
	s_and_b64 vcc, exec, s[10:11]
	s_mov_b64 s[10:11], 0
	s_cbranch_vccz .LBB111_149
; %bb.141:
	v_mov_b32_e32 v2, s94
	global_store_dword v[8:9], v2, off
	s_mov_b64 s[10:11], -1
	s_mov_b64 s[8:9], 0
	s_branch .LBB111_149
.LBB111_142:
	s_mov_b64 s[10:11], 0
	s_mov_b64 s[8:9], s[66:67]
	s_cbranch_execnz .LBB111_194
.LBB111_143:
	s_andn2_b64 vcc, exec, s[10:11]
	s_cbranch_vccnz .LBB111_232
.LBB111_144:
	v_add_u32_e32 v12, 0x80, v12
	s_mov_b64 s[10:11], -1
	s_branch .LBB111_233
.LBB111_145:
	s_mov_b64 s[12:13], -1
	s_mov_b64 s[10:11], 0
	s_mov_b64 s[8:9], s[66:67]
	s_branch .LBB111_171
.LBB111_146:
	s_mov_b64 s[12:13], -1
	s_mov_b64 s[10:11], 0
	s_mov_b64 s[8:9], s[66:67]
	s_branch .LBB111_157
.LBB111_147:
	s_mov_b64 s[12:13], -1
	s_mov_b64 s[10:11], 0
	s_mov_b64 s[8:9], s[66:67]
	s_branch .LBB111_153
.LBB111_148:
	s_mov_b64 s[12:13], -1
	s_mov_b64 s[10:11], 0
	s_mov_b64 s[8:9], s[66:67]
.LBB111_149:
	s_and_b64 vcc, exec, s[12:13]
	s_cbranch_vccz .LBB111_152
; %bb.150:
	v_mov_b32_e32 v2, 44
	v_cmp_eq_u16_sdwa s[12:13], s95, v2 src0_sel:BYTE_0 src1_sel:DWORD
	s_mov_b64 s[8:9], -1
	s_and_b64 vcc, exec, s[12:13]
	s_cbranch_vccz .LBB111_152
; %bb.151:
	v_mov_b32_e32 v2, 0xff
	v_cndmask_b32_e64 v2, v15, v2, s[48:49]
	s_mov_b64 s[10:11], -1
	s_mov_b64 s[8:9], 0
	global_store_byte v[8:9], v2, off
.LBB111_152:
	s_mov_b64 s[12:13], 0
.LBB111_153:
	s_and_b64 vcc, exec, s[12:13]
	s_cbranch_vccz .LBB111_156
; %bb.154:
	v_mov_b32_e32 v2, 29
	v_cmp_eq_u16_sdwa s[12:13], s95, v2 src0_sel:BYTE_0 src1_sel:DWORD
	s_mov_b64 s[8:9], -1
	s_and_b64 vcc, exec, s[12:13]
	s_cbranch_vccz .LBB111_156
; %bb.155:
	global_store_dwordx2 v[8:9], v[6:7], off
	s_mov_b64 s[10:11], -1
	s_mov_b64 s[8:9], 0
.LBB111_156:
	s_mov_b64 s[12:13], 0
.LBB111_157:
	s_and_b64 vcc, exec, s[12:13]
	s_cbranch_vccz .LBB111_170
; %bb.158:
	v_mov_b32_e32 v2, 27
	v_cmp_lt_i16_sdwa s[12:13], s95, v2 src0_sel:BYTE_0 src1_sel:DWORD
	s_mov_b64 s[10:11], -1
	s_and_b64 vcc, exec, s[12:13]
	s_cbranch_vccnz .LBB111_164
; %bb.159:
	v_cmp_gt_i16_sdwa s[12:13], s95, v2 src0_sel:BYTE_0 src1_sel:DWORD
	s_and_b64 vcc, exec, s[12:13]
	s_cbranch_vccz .LBB111_161
; %bb.160:
	s_mov_b64 s[10:11], 0
	global_store_dword v[8:9], v14, off
.LBB111_161:
	s_andn2_b64 vcc, exec, s[10:11]
	s_cbranch_vccnz .LBB111_163
; %bb.162:
	global_store_short v[8:9], v14, off
.LBB111_163:
	s_mov_b64 s[10:11], 0
.LBB111_164:
	s_andn2_b64 vcc, exec, s[10:11]
	s_cbranch_vccnz .LBB111_169
; %bb.165:
	s_andn2_b64 vcc, exec, s[26:27]
	s_movk_i32 s10, 0x80
	s_cbranch_vccnz .LBB111_168
; %bb.166:
	s_or_b64 s[10:11], s[50:51], s[22:23]
	s_andn2_b64 vcc, exec, s[10:11]
	s_mov_b32 s10, 0
	s_cbranch_vccnz .LBB111_168
; %bb.167:
	s_and_b64 s[10:11], s[50:51], exec
	s_cselect_b32 s10, s52, s93
	s_or_b32 s10, s10, s18
.LBB111_168:
	v_mov_b32_e32 v2, s10
	global_store_byte v[8:9], v2, off
.LBB111_169:
	s_mov_b64 s[10:11], -1
.LBB111_170:
	s_mov_b64 s[12:13], 0
.LBB111_171:
	s_and_b64 vcc, exec, s[12:13]
	s_cbranch_vccz .LBB111_193
; %bb.172:
	v_mov_b32_e32 v2, 22
	v_cmp_gt_i16_sdwa s[14:15], s95, v2 src0_sel:BYTE_0 src1_sel:DWORD
	s_mov_b64 s[12:13], -1
	s_and_b64 vcc, exec, s[14:15]
	s_cbranch_vccz .LBB111_185
; %bb.173:
	v_mov_b32_e32 v2, 24
	v_cmp_lt_i16_sdwa s[12:13], s95, v2 src0_sel:BYTE_0 src1_sel:DWORD
	s_mov_b64 s[10:11], -1
	s_and_b64 vcc, exec, s[12:13]
	s_cbranch_vccnz .LBB111_182
; %bb.174:
	v_cmp_gt_i16_sdwa s[12:13], s95, v2 src0_sel:BYTE_0 src1_sel:DWORD
	s_and_b64 vcc, exec, s[12:13]
	s_cbranch_vccz .LBB111_179
; %bb.175:
	s_andn2_b64 vcc, exec, s[44:45]
	s_movk_i32 s10, 0x80
	s_cbranch_vccnz .LBB111_178
; %bb.176:
	s_or_b64 s[10:11], s[42:43], s[46:47]
	s_andn2_b64 vcc, exec, s[10:11]
	s_mov_b32 s10, 0
	s_cbranch_vccnz .LBB111_178
; %bb.177:
	s_and_b64 s[10:11], s[42:43], exec
	s_cselect_b32 s10, s89, s91
	s_or_b32 s10, s10, s18
.LBB111_178:
	v_mov_b32_e32 v2, s10
	s_mov_b64 s[10:11], 0
	global_store_byte v[8:9], v2, off
.LBB111_179:
	s_and_b64 vcc, exec, s[10:11]
	s_cbranch_vccz .LBB111_181
; %bb.180:
	s_and_b64 s[10:11], s[40:41], exec
	s_cselect_b32 s12, s92, s88
	s_and_b64 s[10:11], s[38:39], exec
	s_cselect_b32 s10, s90, s12
	s_or_b32 s10, s10, s18
	v_mov_b32_e32 v2, s10
	global_store_byte v[8:9], v2, off
.LBB111_181:
	s_mov_b64 s[10:11], 0
.LBB111_182:
	s_andn2_b64 vcc, exec, s[10:11]
	s_cbranch_vccnz .LBB111_184
; %bb.183:
	s_and_b64 s[10:11], s[36:37], exec
	s_cselect_b32 s12, s84, s86
	s_and_b64 s[10:11], s[6:7], exec
	s_cselect_b32 s10, s83, s12
	s_or_b32 s10, s10, s18
	v_mov_b32_e32 v2, s10
	global_store_byte v[8:9], v2, off
.LBB111_184:
	s_mov_b64 s[12:13], 0
	s_mov_b64 s[10:11], -1
.LBB111_185:
	s_andn2_b64 vcc, exec, s[12:13]
	s_cbranch_vccnz .LBB111_193
; %bb.186:
	v_mov_b32_e32 v2, 14
	v_cmp_gt_i16_sdwa s[14:15], s95, v2 src0_sel:BYTE_0 src1_sel:DWORD
	s_mov_b64 s[12:13], -1
	s_and_b64 vcc, exec, s[14:15]
	s_cbranch_vccz .LBB111_190
; %bb.187:
	v_mov_b32_e32 v2, 15
	v_cmp_eq_u16_sdwa s[12:13], s95, v2 src0_sel:BYTE_0 src1_sel:DWORD
	s_mov_b64 s[8:9], -1
	s_and_b64 vcc, exec, s[12:13]
	s_cbranch_vccz .LBB111_189
; %bb.188:
	v_mov_b32_e32 v2, s82
	global_store_short v[8:9], v2, off
	s_mov_b64 s[10:11], -1
	s_mov_b64 s[8:9], 0
.LBB111_189:
	s_mov_b64 s[12:13], 0
.LBB111_190:
	s_and_b64 vcc, exec, s[12:13]
	s_cbranch_vccz .LBB111_193
; %bb.191:
	v_mov_b32_e32 v2, 11
	v_cmp_eq_u16_sdwa s[12:13], s95, v2 src0_sel:BYTE_0 src1_sel:DWORD
	s_mov_b64 s[8:9], -1
	s_and_b64 vcc, exec, s[12:13]
	s_cbranch_vccz .LBB111_193
; %bb.192:
	s_mov_b64 s[10:11], -1
	s_mov_b64 s[8:9], 0
	global_store_byte v[8:9], v13, off
.LBB111_193:
	s_branch .LBB111_143
.LBB111_194:
	v_mov_b32_e32 v2, 5
	v_cmp_lt_i16_sdwa s[12:13], s95, v2 src0_sel:BYTE_0 src1_sel:DWORD
	s_mov_b64 s[10:11], -1
	s_and_b64 vcc, exec, s[12:13]
	s_cbranch_vccnz .LBB111_215
; %bb.195:
	v_mov_b32_e32 v2, 8
	v_cmp_lt_i16_sdwa s[12:13], s95, v2 src0_sel:BYTE_0 src1_sel:DWORD
	s_and_b64 vcc, exec, s[12:13]
	s_cbranch_vccnz .LBB111_205
; %bb.196:
	v_mov_b32_e32 v2, 9
	v_cmp_lt_i16_sdwa s[12:13], s95, v2 src0_sel:BYTE_0 src1_sel:DWORD
	s_and_b64 vcc, exec, s[12:13]
	s_cbranch_vccnz .LBB111_202
; %bb.197:
	v_cmp_gt_i16_sdwa s[12:13], s95, v2 src0_sel:BYTE_0 src1_sel:DWORD
	s_and_b64 vcc, exec, s[12:13]
	s_cbranch_vccz .LBB111_199
; %bb.198:
	v_mov_b32_e32 v2, 0
	v_mov_b32_e32 v3, v2
	s_mov_b64 s[10:11], 0
	global_store_dwordx4 v[8:9], v[0:3], off
.LBB111_199:
	s_andn2_b64 vcc, exec, s[10:11]
	s_cbranch_vccnz .LBB111_201
; %bb.200:
	v_mov_b32_e32 v2, s81
	v_mov_b32_e32 v3, 0
	global_store_dwordx2 v[8:9], v[2:3], off
.LBB111_201:
	s_mov_b64 s[10:11], 0
.LBB111_202:
	s_andn2_b64 vcc, exec, s[10:11]
	s_cbranch_vccnz .LBB111_204
; %bb.203:
	global_store_dword v[8:9], v11, off
.LBB111_204:
	s_mov_b64 s[10:11], 0
.LBB111_205:
	s_andn2_b64 vcc, exec, s[10:11]
	s_cbranch_vccnz .LBB111_214
; %bb.206:
	v_mov_b32_e32 v2, 6
	v_cmp_lt_i16_sdwa s[12:13], s95, v2 src0_sel:BYTE_0 src1_sel:DWORD
	s_mov_b64 s[10:11], -1
	s_and_b64 vcc, exec, s[12:13]
	s_cbranch_vccnz .LBB111_212
; %bb.207:
	v_cmp_gt_i16_sdwa s[12:13], s95, v2 src0_sel:BYTE_0 src1_sel:DWORD
	s_and_b64 vcc, exec, s[12:13]
	s_cbranch_vccz .LBB111_209
; %bb.208:
	s_mov_b64 s[10:11], 0
	global_store_dwordx2 v[8:9], v[0:1], off
.LBB111_209:
	s_andn2_b64 vcc, exec, s[10:11]
	s_cbranch_vccnz .LBB111_211
; %bb.210:
	v_mov_b32_e32 v2, s81
	global_store_dword v[8:9], v2, off
.LBB111_211:
	s_mov_b64 s[10:11], 0
.LBB111_212:
	s_andn2_b64 vcc, exec, s[10:11]
	s_cbranch_vccnz .LBB111_214
; %bb.213:
	global_store_short v[8:9], v11, off
.LBB111_214:
	s_mov_b64 s[10:11], 0
.LBB111_215:
	s_andn2_b64 vcc, exec, s[10:11]
	s_cbranch_vccnz .LBB111_231
; %bb.216:
	v_mov_b32_e32 v2, 2
	v_cmp_lt_i16_sdwa s[12:13], s95, v2 src0_sel:BYTE_0 src1_sel:DWORD
	s_mov_b64 s[10:11], -1
	s_and_b64 vcc, exec, s[12:13]
	s_cbranch_vccnz .LBB111_226
; %bb.217:
	v_mov_b32_e32 v2, 3
	v_cmp_lt_i16_sdwa s[12:13], s95, v2 src0_sel:BYTE_0 src1_sel:DWORD
	s_and_b64 vcc, exec, s[12:13]
	s_cbranch_vccnz .LBB111_223
; %bb.218:
	v_cmp_gt_i16_sdwa s[12:13], s95, v2 src0_sel:BYTE_0 src1_sel:DWORD
	s_and_b64 vcc, exec, s[12:13]
	s_cbranch_vccz .LBB111_220
; %bb.219:
	s_mov_b64 s[10:11], 0
	global_store_dwordx2 v[8:9], v[4:5], off
.LBB111_220:
	s_andn2_b64 vcc, exec, s[10:11]
	s_cbranch_vccnz .LBB111_222
; %bb.221:
	global_store_dword v[8:9], v10, off
.LBB111_222:
	s_mov_b64 s[10:11], 0
.LBB111_223:
	s_andn2_b64 vcc, exec, s[10:11]
	s_cbranch_vccnz .LBB111_225
; %bb.224:
	global_store_short v[8:9], v10, off
.LBB111_225:
	s_mov_b64 s[10:11], 0
.LBB111_226:
	s_andn2_b64 vcc, exec, s[10:11]
	s_cbranch_vccnz .LBB111_231
; %bb.227:
	v_mov_b32_e32 v2, 0
	v_cmp_gt_i16_sdwa s[12:13], s95, v2 src0_sel:BYTE_0 src1_sel:DWORD
	s_mov_b64 s[10:11], -1
	s_and_b64 vcc, exec, s[12:13]
	s_cbranch_vccz .LBB111_229
; %bb.228:
	s_mov_b64 s[10:11], 0
	global_store_byte v[8:9], v10, off
.LBB111_229:
	s_andn2_b64 vcc, exec, s[10:11]
	s_cbranch_vccnz .LBB111_231
; %bb.230:
	global_store_byte v[8:9], v4, off
.LBB111_231:
	s_branch .LBB111_144
.LBB111_232:
	s_mov_b64 s[10:11], 0
                                        ; implicit-def: $vgpr12
.LBB111_233:
	s_andn2_b64 s[12:13], s[66:67], exec
	s_and_b64 s[8:9], s[8:9], exec
	s_or_b64 s[70:71], s[12:13], s[8:9]
	s_orn2_b64 s[8:9], s[10:11], exec
.LBB111_234:
	s_or_b64 exec, exec, s[72:73]
	s_mov_b64 s[10:11], 0
	s_mov_b64 s[12:13], 0
                                        ; implicit-def: $vgpr16
                                        ; implicit-def: $vgpr8_vgpr9
	s_and_saveexec_b64 s[72:73], s[8:9]
	s_cbranch_execz .LBB111_426
; %bb.235:
                                        ; implicit-def: $vgpr18 : SGPR spill to VGPR lane
	v_cmp_gt_i32_e32 vcc, s58, v12
	v_writelane_b32 v18, s48, 0
	s_mov_b64 s[10:11], -1
	s_mov_b64 s[76:77], s[70:71]
	v_writelane_b32 v18, s49, 1
	s_and_saveexec_b64 s[74:75], vcc
	s_cbranch_execz .LBB111_352
; %bb.236:
	s_andn2_b64 vcc, exec, s[30:31]
	s_cbranch_vccnz .LBB111_242
; %bb.237:
	s_andn2_b64 vcc, exec, s[64:65]
	s_cbranch_vccnz .LBB111_243
; %bb.238:
	s_add_i32 vcc_hi, s59, 1
	s_mov_b32 vcc_lo, 0
	s_cmp_eq_u32 s80, 2
	v_mov_b32_e32 v2, 0
	s_cbranch_scc1 .LBB111_244
; %bb.239:
	v_writelane_b32 v18, s26, 2
	s_mov_b64 s[48:49], s[22:23]
	s_mov_b32 s0, s84
	s_mov_b64 s[84:85], s[36:37]
	s_mov_b32 s36, s52
	s_mov_b64 s[52:53], s[6:7]
	s_mov_b64 s[6:7], s[44:45]
	s_mov_b32 s44, s90
	s_mov_b32 s90, s89
	;; [unrolled: 1-line block ×3, first 2 shown]
	s_mov_b64 s[88:89], s[40:41]
	s_mov_b64 s[40:41], s[38:39]
	;; [unrolled: 1-line block ×5, first 2 shown]
	s_and_b32 vcc_lo, vcc_hi, 28
	s_mov_b32 s56, 0
	v_mov_b32_e32 v2, 0
	s_mov_b64 s[76:77], s[28:29]
	s_mov_b64 s[78:79], s[62:63]
	v_mov_b32_e32 v8, v12
	v_writelane_b32 v18, s27, 3
.LBB111_240:                            ; =>This Inner Loop Header: Depth=1
	s_load_dwordx8 s[8:15], s[76:77], 0x4
	s_load_dwordx4 s[20:23], s[76:77], 0x24
	s_load_dwordx4 s[24:27], s[78:79], 0x0
	s_add_u32 s76, s76, 48
	s_addc_u32 s77, s77, 0
	s_waitcnt lgkmcnt(0)
	v_mul_hi_u32 v3, s9, v8
	v_add_u32_e32 v3, v8, v3
	v_lshrrev_b32_e32 v3, s10, v3
	v_mul_lo_u32 v9, v3, s8
	v_mul_hi_u32 v16, s12, v3
	v_sub_u32_e32 v8, v8, v9
	v_add_u32_e32 v9, v3, v16
	v_lshrrev_b32_e32 v9, s13, v9
	v_mul_lo_u32 v16, v9, s11
	v_mul_hi_u32 v17, s15, v9
	v_sub_u32_e32 v3, v3, v16
	v_add_u32_e32 v16, v9, v17
	v_mul_lo_u32 v8, v8, s24
	v_mul_lo_u32 v3, v3, s25
	v_lshrrev_b32_e32 v16, s20, v16
	v_add3_u32 v2, v8, v2, v3
	v_mul_hi_u32 v8, s22, v16
	v_add_u32_e32 v8, v16, v8
	v_mul_lo_u32 v3, v16, s14
	v_lshrrev_b32_e32 v8, s23, v8
	s_add_i32 s56, s56, 4
	v_sub_u32_e32 v3, v9, v3
	v_mul_lo_u32 v9, v8, s21
	s_add_u32 s78, s78, 16
	v_sub_u32_e32 v9, v16, v9
	s_addc_u32 s79, s79, 0
	v_mul_lo_u32 v3, v3, s26
	v_mul_lo_u32 v9, v9, s27
	s_cmp_eq_u32 vcc_lo, s56
	v_add3_u32 v2, v3, v2, v9
	s_cbranch_scc0 .LBB111_240
; %bb.241:
	s_load_dwordx2 s[56:57], s[28:29], 0xc4
	v_readlane_b32 s26, v18, 2
	s_mov_b64 s[78:79], s[46:47]
	s_mov_b64 s[46:47], s[42:43]
	;; [unrolled: 1-line block ×5, first 2 shown]
	s_mov_b32 s88, s87
	s_mov_b32 s89, s90
	;; [unrolled: 1-line block ×3, first 2 shown]
	s_mov_b64 s[44:45], s[6:7]
	s_mov_b64 s[6:7], s[52:53]
	s_mov_b32 s52, s36
	s_mov_b64 s[36:37], s[84:85]
	s_mov_b32 s84, s0
	s_mov_b64 s[22:23], s[48:49]
	v_readlane_b32 s27, v18, 3
	s_branch .LBB111_245
.LBB111_242:
	s_mov_b64 s[8:9], -1
                                        ; implicit-def: $vgpr2
	s_branch .LBB111_249
.LBB111_243:
	v_mov_b32_e32 v2, 0
	s_branch .LBB111_248
.LBB111_244:
	v_mov_b32_e32 v8, v12
.LBB111_245:
	s_and_b32 s12, vcc_hi, 3
	s_cmp_eq_u32 s12, 0
	s_cbranch_scc1 .LBB111_248
; %bb.246:
	s_lshl_b32 s8, vcc_lo, 2
	s_add_u32 s8, s8, s28
	s_addc_u32 s9, s29, 0
	s_add_u32 s8, s8, 0xc4
	s_addc_u32 s9, s9, 0
	s_mul_i32 s10, vcc_lo, 12
	s_add_u32 s10, s28, s10
	s_addc_u32 s11, s29, 0
.LBB111_247:                            ; =>This Inner Loop Header: Depth=1
	s_load_dwordx2 s[14:15], s[10:11], 0x4
	s_load_dword s13, s[10:11], 0xc
	s_load_dword s20, s[8:9], 0x0
	s_add_u32 s10, s10, 12
	s_addc_u32 s11, s11, 0
	s_waitcnt lgkmcnt(0)
	v_mul_hi_u32 v3, s15, v8
	v_add_u32_e32 v3, v8, v3
	v_lshrrev_b32_e32 v3, s13, v3
	s_add_u32 s8, s8, 4
	v_mul_lo_u32 v9, v3, s14
	s_addc_u32 s9, s9, 0
	s_add_i32 s12, s12, -1
	v_sub_u32_e32 v9, v8, v9
	s_cmp_lg_u32 s12, 0
	v_mov_b32_e32 v8, v3
	v_mad_u64_u32 v[2:3], s[14:15], v9, s20, v[2:3]
	s_cbranch_scc1 .LBB111_247
.LBB111_248:
	s_mov_b64 s[8:9], 0
.LBB111_249:
	s_andn2_b64 vcc, exec, s[8:9]
	s_cbranch_vccnz .LBB111_252
; %bb.250:
	s_load_dwordx4 s[8:11], s[28:29], 0x4
	s_andn2_b64 vcc, exec, s[60:61]
	s_waitcnt lgkmcnt(0)
	v_mul_hi_u32 v2, s9, v12
	v_add_u32_e32 v2, v12, v2
	v_lshrrev_b32_e32 v3, s10, v2
	v_mul_lo_u32 v2, v3, s8
	v_sub_u32_e32 v2, v12, v2
	v_mul_lo_u32 v2, v2, s56
	s_cbranch_vccnz .LBB111_252
; %bb.251:
	v_mul_hi_u32 v8, s78, v3
	v_add_u32_e32 v8, v3, v8
	v_lshrrev_b32_e32 v8, s79, v8
	v_mul_lo_u32 v8, v8, s11
	v_sub_u32_e32 v3, v3, v8
	v_mad_u64_u32 v[2:3], s[8:9], v3, s57, v[2:3]
.LBB111_252:
	v_mov_b32_e32 v3, s55
	v_add_co_u32_e32 v8, vcc, s54, v2
	v_mov_b32_e32 v2, 11
	v_addc_co_u32_e32 v9, vcc, 0, v3, vcc
	v_cmp_lt_i16_sdwa s[8:9], s95, v2 src0_sel:BYTE_0 src1_sel:DWORD
	s_and_b64 vcc, exec, s[8:9]
	s_cbranch_vccnz .LBB111_259
; %bb.253:
	v_mov_b32_e32 v2, 25
	v_cmp_gt_i16_sdwa s[8:9], s95, v2 src0_sel:BYTE_0 src1_sel:DWORD
	s_and_b64 vcc, exec, s[8:9]
	s_cbranch_vccz .LBB111_260
; %bb.254:
	v_mov_b32_e32 v2, 28
	v_cmp_gt_i16_sdwa s[8:9], s95, v2 src0_sel:BYTE_0 src1_sel:DWORD
	s_and_b64 vcc, exec, s[8:9]
	s_cbranch_vccz .LBB111_261
	;; [unrolled: 5-line block ×4, first 2 shown]
; %bb.257:
	v_mov_b32_e32 v2, 46
	v_cmp_eq_u16_sdwa s[10:11], s95, v2 src0_sel:BYTE_0 src1_sel:DWORD
	s_mov_b64 s[12:13], 0
	s_mov_b64 s[8:9], -1
	s_and_b64 vcc, exec, s[10:11]
	s_mov_b64 s[10:11], 0
	s_cbranch_vccz .LBB111_264
; %bb.258:
	v_mov_b32_e32 v2, s94
	global_store_dword v[8:9], v2, off
	s_mov_b64 s[10:11], -1
	s_mov_b64 s[8:9], 0
	s_branch .LBB111_264
.LBB111_259:
	s_mov_b64 s[12:13], -1
	s_mov_b64 s[10:11], 0
	s_mov_b64 s[8:9], s[70:71]
	s_branch .LBB111_309
.LBB111_260:
	s_mov_b64 s[12:13], -1
	s_mov_b64 s[10:11], 0
	s_mov_b64 s[8:9], s[70:71]
	s_branch .LBB111_286
.LBB111_261:
	s_mov_b64 s[12:13], -1
	s_mov_b64 s[10:11], 0
	s_mov_b64 s[8:9], s[70:71]
	s_branch .LBB111_272
.LBB111_262:
	s_mov_b64 s[12:13], -1
	s_mov_b64 s[10:11], 0
	s_mov_b64 s[8:9], s[70:71]
	s_branch .LBB111_268
.LBB111_263:
	s_mov_b64 s[12:13], -1
	s_mov_b64 s[10:11], 0
	s_mov_b64 s[8:9], s[70:71]
.LBB111_264:
	s_and_b64 vcc, exec, s[12:13]
	s_cbranch_vccz .LBB111_267
; %bb.265:
	v_mov_b32_e32 v2, 44
	v_cmp_eq_u16_sdwa s[12:13], s95, v2 src0_sel:BYTE_0 src1_sel:DWORD
	s_mov_b64 s[8:9], -1
	s_and_b64 vcc, exec, s[12:13]
	s_cbranch_vccz .LBB111_267
; %bb.266:
	v_readlane_b32 s0, v18, 0
	v_mov_b32_e32 v2, 0xff
	v_readlane_b32 s1, v18, 1
	v_cndmask_b32_e64 v2, v15, v2, s[0:1]
	s_mov_b64 s[10:11], -1
	s_mov_b64 s[8:9], 0
	global_store_byte v[8:9], v2, off
.LBB111_267:
	s_mov_b64 s[12:13], 0
.LBB111_268:
	s_and_b64 vcc, exec, s[12:13]
	s_cbranch_vccz .LBB111_271
; %bb.269:
	v_mov_b32_e32 v2, 29
	v_cmp_eq_u16_sdwa s[12:13], s95, v2 src0_sel:BYTE_0 src1_sel:DWORD
	s_mov_b64 s[8:9], -1
	s_and_b64 vcc, exec, s[12:13]
	s_cbranch_vccz .LBB111_271
; %bb.270:
	global_store_dwordx2 v[8:9], v[6:7], off
	s_mov_b64 s[10:11], -1
	s_mov_b64 s[8:9], 0
.LBB111_271:
	s_mov_b64 s[12:13], 0
.LBB111_272:
	s_and_b64 vcc, exec, s[12:13]
	s_cbranch_vccz .LBB111_285
; %bb.273:
	v_mov_b32_e32 v2, 27
	v_cmp_lt_i16_sdwa s[12:13], s95, v2 src0_sel:BYTE_0 src1_sel:DWORD
	s_mov_b64 s[10:11], -1
	s_and_b64 vcc, exec, s[12:13]
	s_cbranch_vccnz .LBB111_279
; %bb.274:
	v_cmp_gt_i16_sdwa s[12:13], s95, v2 src0_sel:BYTE_0 src1_sel:DWORD
	s_and_b64 vcc, exec, s[12:13]
	s_cbranch_vccz .LBB111_276
; %bb.275:
	s_mov_b64 s[10:11], 0
	global_store_dword v[8:9], v14, off
.LBB111_276:
	s_andn2_b64 vcc, exec, s[10:11]
	s_cbranch_vccnz .LBB111_278
; %bb.277:
	global_store_short v[8:9], v14, off
.LBB111_278:
	s_mov_b64 s[10:11], 0
.LBB111_279:
	s_andn2_b64 vcc, exec, s[10:11]
	s_cbranch_vccnz .LBB111_284
; %bb.280:
	s_andn2_b64 vcc, exec, s[26:27]
	s_movk_i32 s10, 0x80
	s_cbranch_vccnz .LBB111_283
; %bb.281:
	s_or_b64 s[10:11], s[50:51], s[22:23]
	s_andn2_b64 vcc, exec, s[10:11]
	s_mov_b32 s10, 0
	s_cbranch_vccnz .LBB111_283
; %bb.282:
	s_and_b64 s[10:11], s[50:51], exec
	s_cselect_b32 s10, s52, s93
	s_or_b32 s10, s10, s18
.LBB111_283:
	v_mov_b32_e32 v2, s10
	global_store_byte v[8:9], v2, off
.LBB111_284:
	s_mov_b64 s[10:11], -1
.LBB111_285:
	s_mov_b64 s[12:13], 0
.LBB111_286:
	s_and_b64 vcc, exec, s[12:13]
	s_cbranch_vccz .LBB111_308
; %bb.287:
	v_mov_b32_e32 v2, 22
	v_cmp_gt_i16_sdwa s[14:15], s95, v2 src0_sel:BYTE_0 src1_sel:DWORD
	s_mov_b64 s[12:13], -1
	s_and_b64 vcc, exec, s[14:15]
	s_cbranch_vccz .LBB111_300
; %bb.288:
	v_mov_b32_e32 v2, 24
	v_cmp_lt_i16_sdwa s[12:13], s95, v2 src0_sel:BYTE_0 src1_sel:DWORD
	s_mov_b64 s[10:11], -1
	s_and_b64 vcc, exec, s[12:13]
	s_cbranch_vccnz .LBB111_297
; %bb.289:
	v_cmp_gt_i16_sdwa s[12:13], s95, v2 src0_sel:BYTE_0 src1_sel:DWORD
	s_and_b64 vcc, exec, s[12:13]
	s_cbranch_vccz .LBB111_294
; %bb.290:
	s_andn2_b64 vcc, exec, s[44:45]
	s_movk_i32 s10, 0x80
	s_cbranch_vccnz .LBB111_293
; %bb.291:
	s_or_b64 s[10:11], s[42:43], s[46:47]
	s_andn2_b64 vcc, exec, s[10:11]
	s_mov_b32 s10, 0
	s_cbranch_vccnz .LBB111_293
; %bb.292:
	s_and_b64 s[10:11], s[42:43], exec
	s_cselect_b32 s10, s89, s91
	s_or_b32 s10, s10, s18
.LBB111_293:
	v_mov_b32_e32 v2, s10
	s_mov_b64 s[10:11], 0
	global_store_byte v[8:9], v2, off
.LBB111_294:
	s_and_b64 vcc, exec, s[10:11]
	s_cbranch_vccz .LBB111_296
; %bb.295:
	s_and_b64 s[10:11], s[40:41], exec
	s_cselect_b32 s12, s92, s88
	s_and_b64 s[10:11], s[38:39], exec
	s_cselect_b32 s10, s90, s12
	s_or_b32 s10, s10, s18
	v_mov_b32_e32 v2, s10
	global_store_byte v[8:9], v2, off
.LBB111_296:
	s_mov_b64 s[10:11], 0
.LBB111_297:
	s_andn2_b64 vcc, exec, s[10:11]
	s_cbranch_vccnz .LBB111_299
; %bb.298:
	s_and_b64 s[10:11], s[36:37], exec
	s_cselect_b32 s12, s84, s86
	s_and_b64 s[10:11], s[6:7], exec
	s_cselect_b32 s10, s83, s12
	s_or_b32 s10, s10, s18
	v_mov_b32_e32 v2, s10
	global_store_byte v[8:9], v2, off
.LBB111_299:
	s_mov_b64 s[12:13], 0
	s_mov_b64 s[10:11], -1
.LBB111_300:
	s_andn2_b64 vcc, exec, s[12:13]
	s_cbranch_vccnz .LBB111_308
; %bb.301:
	v_mov_b32_e32 v2, 14
	v_cmp_gt_i16_sdwa s[14:15], s95, v2 src0_sel:BYTE_0 src1_sel:DWORD
	s_mov_b64 s[12:13], -1
	s_and_b64 vcc, exec, s[14:15]
	s_cbranch_vccz .LBB111_305
; %bb.302:
	v_mov_b32_e32 v2, 15
	v_cmp_eq_u16_sdwa s[12:13], s95, v2 src0_sel:BYTE_0 src1_sel:DWORD
	s_mov_b64 s[8:9], -1
	s_and_b64 vcc, exec, s[12:13]
	s_cbranch_vccz .LBB111_304
; %bb.303:
	v_mov_b32_e32 v2, s82
	global_store_short v[8:9], v2, off
	s_mov_b64 s[10:11], -1
	s_mov_b64 s[8:9], 0
.LBB111_304:
	s_mov_b64 s[12:13], 0
.LBB111_305:
	s_and_b64 vcc, exec, s[12:13]
	s_cbranch_vccz .LBB111_308
; %bb.306:
	v_mov_b32_e32 v2, 11
	v_cmp_eq_u16_sdwa s[12:13], s95, v2 src0_sel:BYTE_0 src1_sel:DWORD
	s_mov_b64 s[8:9], -1
	s_and_b64 vcc, exec, s[12:13]
	s_cbranch_vccz .LBB111_308
; %bb.307:
	s_mov_b64 s[10:11], -1
	s_mov_b64 s[8:9], 0
	global_store_byte v[8:9], v13, off
.LBB111_308:
	s_mov_b64 s[12:13], 0
.LBB111_309:
	s_and_b64 vcc, exec, s[12:13]
	s_cbranch_vccz .LBB111_348
; %bb.310:
	v_mov_b32_e32 v2, 5
	v_cmp_lt_i16_sdwa s[12:13], s95, v2 src0_sel:BYTE_0 src1_sel:DWORD
	s_mov_b64 s[10:11], -1
	s_and_b64 vcc, exec, s[12:13]
	s_cbranch_vccnz .LBB111_331
; %bb.311:
	v_mov_b32_e32 v2, 8
	v_cmp_lt_i16_sdwa s[12:13], s95, v2 src0_sel:BYTE_0 src1_sel:DWORD
	s_and_b64 vcc, exec, s[12:13]
	s_cbranch_vccnz .LBB111_321
; %bb.312:
	v_mov_b32_e32 v2, 9
	v_cmp_lt_i16_sdwa s[12:13], s95, v2 src0_sel:BYTE_0 src1_sel:DWORD
	s_and_b64 vcc, exec, s[12:13]
	s_cbranch_vccnz .LBB111_318
; %bb.313:
	v_cmp_gt_i16_sdwa s[12:13], s95, v2 src0_sel:BYTE_0 src1_sel:DWORD
	s_and_b64 vcc, exec, s[12:13]
	s_cbranch_vccz .LBB111_315
; %bb.314:
	v_mov_b32_e32 v2, 0
	v_mov_b32_e32 v3, v2
	s_mov_b64 s[10:11], 0
	global_store_dwordx4 v[8:9], v[0:3], off
.LBB111_315:
	s_andn2_b64 vcc, exec, s[10:11]
	s_cbranch_vccnz .LBB111_317
; %bb.316:
	v_mov_b32_e32 v2, s81
	v_mov_b32_e32 v3, 0
	global_store_dwordx2 v[8:9], v[2:3], off
.LBB111_317:
	s_mov_b64 s[10:11], 0
.LBB111_318:
	s_andn2_b64 vcc, exec, s[10:11]
	s_cbranch_vccnz .LBB111_320
; %bb.319:
	global_store_dword v[8:9], v11, off
.LBB111_320:
	s_mov_b64 s[10:11], 0
.LBB111_321:
	s_andn2_b64 vcc, exec, s[10:11]
	s_cbranch_vccnz .LBB111_330
; %bb.322:
	v_mov_b32_e32 v2, 6
	v_cmp_lt_i16_sdwa s[12:13], s95, v2 src0_sel:BYTE_0 src1_sel:DWORD
	s_mov_b64 s[10:11], -1
	s_and_b64 vcc, exec, s[12:13]
	s_cbranch_vccnz .LBB111_328
; %bb.323:
	v_cmp_gt_i16_sdwa s[12:13], s95, v2 src0_sel:BYTE_0 src1_sel:DWORD
	s_and_b64 vcc, exec, s[12:13]
	s_cbranch_vccz .LBB111_325
; %bb.324:
	s_mov_b64 s[10:11], 0
	global_store_dwordx2 v[8:9], v[0:1], off
.LBB111_325:
	s_andn2_b64 vcc, exec, s[10:11]
	s_cbranch_vccnz .LBB111_327
; %bb.326:
	v_mov_b32_e32 v2, s81
	global_store_dword v[8:9], v2, off
.LBB111_327:
	s_mov_b64 s[10:11], 0
.LBB111_328:
	s_andn2_b64 vcc, exec, s[10:11]
	s_cbranch_vccnz .LBB111_330
; %bb.329:
	global_store_short v[8:9], v11, off
.LBB111_330:
	s_mov_b64 s[10:11], 0
.LBB111_331:
	s_andn2_b64 vcc, exec, s[10:11]
	s_cbranch_vccnz .LBB111_347
; %bb.332:
	v_mov_b32_e32 v2, 2
	v_cmp_lt_i16_sdwa s[12:13], s95, v2 src0_sel:BYTE_0 src1_sel:DWORD
	s_mov_b64 s[10:11], -1
	s_and_b64 vcc, exec, s[12:13]
	s_cbranch_vccnz .LBB111_342
; %bb.333:
	v_mov_b32_e32 v2, 3
	v_cmp_lt_i16_sdwa s[12:13], s95, v2 src0_sel:BYTE_0 src1_sel:DWORD
	s_and_b64 vcc, exec, s[12:13]
	s_cbranch_vccnz .LBB111_339
; %bb.334:
	v_cmp_gt_i16_sdwa s[12:13], s95, v2 src0_sel:BYTE_0 src1_sel:DWORD
	s_and_b64 vcc, exec, s[12:13]
	s_cbranch_vccz .LBB111_336
; %bb.335:
	s_mov_b64 s[10:11], 0
	global_store_dwordx2 v[8:9], v[4:5], off
.LBB111_336:
	s_andn2_b64 vcc, exec, s[10:11]
	s_cbranch_vccnz .LBB111_338
; %bb.337:
	global_store_dword v[8:9], v10, off
.LBB111_338:
	s_mov_b64 s[10:11], 0
.LBB111_339:
	s_andn2_b64 vcc, exec, s[10:11]
	s_cbranch_vccnz .LBB111_341
; %bb.340:
	global_store_short v[8:9], v10, off
.LBB111_341:
	s_mov_b64 s[10:11], 0
.LBB111_342:
	s_andn2_b64 vcc, exec, s[10:11]
	s_cbranch_vccnz .LBB111_347
; %bb.343:
	v_mov_b32_e32 v2, 0
	v_cmp_gt_i16_sdwa s[12:13], s95, v2 src0_sel:BYTE_0 src1_sel:DWORD
	s_mov_b64 s[10:11], -1
	s_and_b64 vcc, exec, s[12:13]
	s_cbranch_vccz .LBB111_345
; %bb.344:
	s_mov_b64 s[10:11], 0
	global_store_byte v[8:9], v10, off
.LBB111_345:
	s_andn2_b64 vcc, exec, s[10:11]
	s_cbranch_vccnz .LBB111_347
; %bb.346:
	global_store_byte v[8:9], v4, off
.LBB111_347:
	s_mov_b64 s[10:11], -1
.LBB111_348:
	s_andn2_b64 vcc, exec, s[10:11]
	s_cbranch_vccnz .LBB111_350
; %bb.349:
	v_add_u32_e32 v12, 0x80, v12
	s_mov_b64 s[10:11], -1
	s_branch .LBB111_351
.LBB111_350:
	s_mov_b64 s[10:11], 0
                                        ; implicit-def: $vgpr12
.LBB111_351:
	s_andn2_b64 s[12:13], s[70:71], exec
	s_and_b64 s[8:9], s[8:9], exec
	s_or_b64 s[76:77], s[12:13], s[8:9]
	s_orn2_b64 s[10:11], s[10:11], exec
.LBB111_352:
	s_or_b64 exec, exec, s[74:75]
	s_mov_b64 s[8:9], 0
	s_mov_b64 s[14:15], 0
                                        ; implicit-def: $vgpr16
                                        ; implicit-def: $vgpr8_vgpr9
	s_and_saveexec_b64 s[74:75], s[10:11]
	s_cbranch_execz .LBB111_425
; %bb.353:
	v_writelane_b32 v18, s46, 4
	v_cmp_gt_i32_e32 vcc, s58, v12
	s_mov_b64 s[10:11], 0
	s_mov_b64 s[12:13], s[76:77]
	v_writelane_b32 v18, s47, 5
                                        ; implicit-def: $vgpr16
                                        ; implicit-def: $vgpr8_vgpr9
	s_and_saveexec_b64 s[46:47], vcc
	s_cbranch_execz .LBB111_424
; %bb.354:
	s_andn2_b64 vcc, exec, s[30:31]
	s_cbranch_vccnz .LBB111_360
; %bb.355:
	s_andn2_b64 vcc, exec, s[64:65]
	s_cbranch_vccnz .LBB111_361
; %bb.356:
	s_add_i32 s59, s59, 1
	s_mov_b32 s58, 0
	s_cmp_eq_u32 s80, 2
	v_mov_b32_e32 v2, 0
	s_cbranch_scc1 .LBB111_362
; %bb.357:
	v_writelane_b32 v18, s26, 2
	s_mov_b64 s[48:49], s[22:23]
	s_waitcnt lgkmcnt(0)
	s_mov_b64 vcc, s[56:57]
	s_and_b32 s58, s59, 28
	s_mov_b32 s56, 0
	v_mov_b32_e32 v2, 0
	s_mov_b64 s[64:65], s[28:29]
	v_mov_b32_e32 v8, v12
	v_writelane_b32 v18, s27, 3
.LBB111_358:                            ; =>This Inner Loop Header: Depth=1
	s_load_dwordx8 s[8:15], s[64:65], 0x4
	s_load_dwordx4 s[20:23], s[64:65], 0x24
	s_load_dwordx4 s[24:27], s[62:63], 0x0
	s_add_u32 s64, s64, 48
	s_addc_u32 s65, s65, 0
	s_waitcnt lgkmcnt(0)
	v_mul_hi_u32 v3, s9, v8
	v_add_u32_e32 v3, v8, v3
	v_lshrrev_b32_e32 v3, s10, v3
	v_mul_lo_u32 v9, v3, s8
	v_mul_hi_u32 v16, s12, v3
	v_sub_u32_e32 v8, v8, v9
	v_add_u32_e32 v9, v3, v16
	v_lshrrev_b32_e32 v9, s13, v9
	v_mul_lo_u32 v16, v9, s11
	v_mul_hi_u32 v17, s15, v9
	v_sub_u32_e32 v3, v3, v16
	v_add_u32_e32 v16, v9, v17
	v_mul_lo_u32 v8, v8, s24
	v_mul_lo_u32 v3, v3, s25
	v_lshrrev_b32_e32 v16, s20, v16
	v_add3_u32 v2, v8, v2, v3
	v_mul_hi_u32 v8, s22, v16
	v_add_u32_e32 v8, v16, v8
	v_mul_lo_u32 v3, v16, s14
	v_lshrrev_b32_e32 v8, s23, v8
	s_add_i32 s56, s56, 4
	v_sub_u32_e32 v3, v9, v3
	v_mul_lo_u32 v9, v8, s21
	s_add_u32 s62, s62, 16
	v_sub_u32_e32 v9, v16, v9
	s_addc_u32 s63, s63, 0
	v_mul_lo_u32 v3, v3, s26
	v_mul_lo_u32 v9, v9, s27
	s_cmp_eq_u32 s58, s56
	v_add3_u32 v2, v3, v2, v9
	s_cbranch_scc0 .LBB111_358
; %bb.359:
	v_readlane_b32 s26, v18, 2
	s_mov_b64 s[56:57], vcc
	s_mov_b64 s[22:23], s[48:49]
	v_readlane_b32 s27, v18, 3
	s_branch .LBB111_363
.LBB111_360:
	s_mov_b64 s[8:9], -1
                                        ; implicit-def: $vgpr2
	s_branch .LBB111_367
.LBB111_361:
	v_mov_b32_e32 v2, 0
	s_branch .LBB111_366
.LBB111_362:
	v_mov_b32_e32 v8, v12
.LBB111_363:
	s_and_b32 s12, s59, 3
	s_cmp_eq_u32 s12, 0
	s_cbranch_scc1 .LBB111_366
; %bb.364:
	s_lshl_b32 s8, s58, 2
	s_add_u32 s8, s8, s28
	s_addc_u32 s9, s29, 0
	s_add_u32 s8, s8, 0xc4
	s_addc_u32 s9, s9, 0
	s_mul_i32 s10, s58, 12
	s_add_u32 s10, s28, s10
	s_addc_u32 s11, s29, 0
.LBB111_365:                            ; =>This Inner Loop Header: Depth=1
	s_load_dwordx2 s[14:15], s[10:11], 0x4
	s_load_dword s13, s[10:11], 0xc
	s_load_dword s20, s[8:9], 0x0
	s_add_u32 s10, s10, 12
	s_addc_u32 s11, s11, 0
	s_waitcnt lgkmcnt(0)
	v_mul_hi_u32 v3, s15, v8
	v_add_u32_e32 v3, v8, v3
	v_lshrrev_b32_e32 v3, s13, v3
	s_add_u32 s8, s8, 4
	v_mul_lo_u32 v9, v3, s14
	s_addc_u32 s9, s9, 0
	s_add_i32 s12, s12, -1
	v_sub_u32_e32 v9, v8, v9
	s_cmp_lg_u32 s12, 0
	v_mov_b32_e32 v8, v3
	v_mad_u64_u32 v[2:3], s[14:15], v9, s20, v[2:3]
	s_cbranch_scc1 .LBB111_365
.LBB111_366:
	s_mov_b64 s[8:9], 0
.LBB111_367:
	s_andn2_b64 vcc, exec, s[8:9]
	s_cbranch_vccnz .LBB111_370
; %bb.368:
	s_load_dwordx4 s[8:11], s[28:29], 0x4
	s_andn2_b64 vcc, exec, s[60:61]
	s_waitcnt lgkmcnt(0)
	v_mul_hi_u32 v2, s9, v12
	v_add_u32_e32 v2, v12, v2
	v_lshrrev_b32_e32 v3, s10, v2
	v_mul_lo_u32 v2, v3, s8
	v_sub_u32_e32 v2, v12, v2
	v_mul_lo_u32 v2, v2, s56
	s_cbranch_vccnz .LBB111_370
; %bb.369:
	v_mul_hi_u32 v8, s78, v3
	v_add_u32_e32 v8, v3, v8
	v_lshrrev_b32_e32 v8, s79, v8
	v_mul_lo_u32 v8, v8, s11
	v_sub_u32_e32 v3, v3, v8
	v_mad_u64_u32 v[2:3], s[8:9], v3, s57, v[2:3]
.LBB111_370:
	v_mov_b32_e32 v3, s55
	v_add_co_u32_e32 v8, vcc, s54, v2
	v_mov_b32_e32 v2, 0xff
	v_addc_co_u32_e32 v9, vcc, 0, v3, vcc
	v_and_b32_e32 v16, s95, v2
	v_cmp_gt_i16_e32 vcc, 11, v16
	s_cbranch_vccnz .LBB111_421
; %bb.371:
	v_cmp_lt_i16_e32 vcc, 25, v16
	s_mov_b64 s[10:11], -1
	s_mov_b64 s[8:9], s[76:77]
	s_cbranch_vccz .LBB111_400
; %bb.372:
	v_cmp_lt_i16_e32 vcc, 28, v16
	s_mov_b64 s[8:9], s[76:77]
	s_cbranch_vccz .LBB111_386
; %bb.373:
	v_cmp_lt_i16_e32 vcc, 43, v16
	;; [unrolled: 4-line block ×3, first 2 shown]
	s_mov_b64 s[8:9], s[76:77]
	s_cbranch_vccz .LBB111_378
; %bb.375:
	v_cmp_eq_u16_e32 vcc, 46, v16
	s_mov_b64 s[8:9], -1
	s_cbranch_vccz .LBB111_377
; %bb.376:
	v_mov_b32_e32 v2, s94
	global_store_dword v[8:9], v2, off
	s_mov_b64 s[8:9], 0
.LBB111_377:
	s_mov_b64 s[10:11], 0
.LBB111_378:
	s_and_b64 vcc, exec, s[10:11]
	s_cbranch_vccz .LBB111_381
; %bb.379:
	v_cmp_eq_u16_e32 vcc, 44, v16
	s_mov_b64 s[8:9], -1
	s_cbranch_vccz .LBB111_381
; %bb.380:
	v_readlane_b32 s0, v18, 0
	v_mov_b32_e32 v2, 0xff
	v_readlane_b32 s1, v18, 1
	v_cndmask_b32_e64 v2, v15, v2, s[0:1]
	global_store_byte v[8:9], v2, off
	s_mov_b64 s[8:9], 0
.LBB111_381:
	s_mov_b64 s[10:11], 0
.LBB111_382:
	s_and_b64 vcc, exec, s[10:11]
	s_cbranch_vccz .LBB111_385
; %bb.383:
	v_cmp_eq_u16_e32 vcc, 29, v16
	s_mov_b64 s[8:9], -1
	s_cbranch_vccz .LBB111_385
; %bb.384:
	global_store_dwordx2 v[8:9], v[6:7], off
	s_mov_b64 s[8:9], 0
.LBB111_385:
	s_mov_b64 s[10:11], 0
.LBB111_386:
	s_and_b64 vcc, exec, s[10:11]
	s_cbranch_vccz .LBB111_399
; %bb.387:
	v_cmp_gt_i16_e32 vcc, 27, v16
	s_mov_b32 s10, s83
	s_mov_b64 s[0:1], -1
	s_cbranch_vccnz .LBB111_393
; %bb.388:
	v_cmp_lt_i16_e32 vcc, 27, v16
	s_cbranch_vccz .LBB111_390
; %bb.389:
	s_mov_b64 s[0:1], 0
	global_store_dword v[8:9], v14, off
.LBB111_390:
	s_andn2_b64 vcc, exec, s[0:1]
	s_cbranch_vccnz .LBB111_392
; %bb.391:
	global_store_short v[8:9], v14, off
.LBB111_392:
	s_mov_b64 s[0:1], 0
.LBB111_393:
	s_andn2_b64 vcc, exec, s[0:1]
	s_mov_b32 s83, s10
	s_cbranch_vccnz .LBB111_399
; %bb.394:
	s_andn2_b64 vcc, exec, s[26:27]
	s_movk_i32 s0, 0x80
	s_cbranch_vccnz .LBB111_398
; %bb.395:
	s_or_b64 s[0:1], s[50:51], s[22:23]
	s_andn2_b64 vcc, exec, s[0:1]
	s_mov_b32 s0, 0
	s_cbranch_vccnz .LBB111_397
; %bb.396:
	s_and_b64 s[0:1], s[50:51], exec
	s_cselect_b32 s0, s52, s93
	s_or_b32 s0, s0, s18
.LBB111_397:
	s_mov_b32 s83, s10
.LBB111_398:
	v_mov_b32_e32 v2, s0
	global_store_byte v[8:9], v2, off
.LBB111_399:
	s_mov_b64 s[10:11], 0
.LBB111_400:
	s_mov_b64 s[0:1], 0
	s_and_b64 vcc, exec, s[10:11]
	s_cbranch_vccz .LBB111_422
; %bb.401:
	v_cmp_lt_i16_e32 vcc, 22, v16
	s_mov_b64 s[10:11], -1
	s_cbranch_vccz .LBB111_414
; %bb.402:
	v_cmp_gt_i16_e32 vcc, 24, v16
	s_cbranch_vccnz .LBB111_411
; %bb.403:
	v_cmp_lt_i16_e32 vcc, 24, v16
	s_cbranch_vccz .LBB111_408
; %bb.404:
	s_andn2_b64 vcc, exec, s[44:45]
	s_movk_i32 s10, 0x80
	s_cbranch_vccnz .LBB111_407
; %bb.405:
	v_readlane_b32 s10, v18, 4
	v_readlane_b32 s11, v18, 5
	s_or_b64 s[10:11], s[42:43], s[10:11]
	s_andn2_b64 vcc, exec, s[10:11]
	s_mov_b32 s10, 0
	s_cbranch_vccnz .LBB111_407
; %bb.406:
	s_and_b64 s[10:11], s[42:43], exec
	s_cselect_b32 s10, s89, s91
	s_or_b32 s10, s10, s18
.LBB111_407:
	v_mov_b32_e32 v2, s10
	s_mov_b64 s[10:11], 0
	global_store_byte v[8:9], v2, off
.LBB111_408:
	s_and_b64 vcc, exec, s[10:11]
	s_cbranch_vccz .LBB111_410
; %bb.409:
	s_and_b64 s[10:11], s[40:41], exec
	s_cselect_b32 s12, s92, s88
	s_and_b64 s[10:11], s[38:39], exec
	s_cselect_b32 s10, s90, s12
	s_or_b32 s10, s10, s18
	v_mov_b32_e32 v2, s10
	global_store_byte v[8:9], v2, off
.LBB111_410:
	s_mov_b64 s[10:11], 0
.LBB111_411:
	s_andn2_b64 vcc, exec, s[10:11]
	s_cbranch_vccnz .LBB111_413
; %bb.412:
	s_and_b64 s[10:11], s[36:37], exec
	s_cselect_b32 s10, s84, s86
	s_and_b64 s[6:7], s[6:7], exec
	s_cselect_b32 s6, s83, s10
	s_or_b32 s6, s6, s18
	v_mov_b32_e32 v2, s6
	global_store_byte v[8:9], v2, off
.LBB111_413:
	s_mov_b64 s[10:11], 0
.LBB111_414:
	s_andn2_b64 vcc, exec, s[10:11]
	s_mov_b64 s[6:7], 0
	s_cbranch_vccnz .LBB111_423
; %bb.415:
	v_cmp_lt_i16_e32 vcc, 14, v16
	s_mov_b64 s[10:11], -1
	s_cbranch_vccz .LBB111_419
; %bb.416:
	v_cmp_eq_u16_e32 vcc, 15, v16
	s_mov_b64 s[8:9], -1
	s_cbranch_vccz .LBB111_418
; %bb.417:
	v_mov_b32_e32 v2, s82
	global_store_short v[8:9], v2, off
	s_mov_b64 s[8:9], 0
.LBB111_418:
	s_mov_b64 s[10:11], 0
.LBB111_419:
	s_and_b64 vcc, exec, s[10:11]
	s_cbranch_vccz .LBB111_423
; %bb.420:
	v_cmp_ne_u16_e32 vcc, 11, v16
	s_andn2_b64 s[8:9], s[8:9], exec
	s_and_b64 s[10:11], vcc, exec
	s_mov_b64 s[6:7], -1
	s_or_b64 s[8:9], s[8:9], s[10:11]
	s_branch .LBB111_423
.LBB111_421:
	s_mov_b64 s[6:7], 0
	s_mov_b64 s[0:1], -1
	s_mov_b64 s[8:9], s[76:77]
	s_branch .LBB111_423
.LBB111_422:
	s_mov_b64 s[6:7], 0
.LBB111_423:
	s_and_b64 s[14:15], s[0:1], exec
	s_and_b64 s[10:11], s[6:7], exec
	s_andn2_b64 s[0:1], s[76:77], exec
	s_and_b64 s[6:7], s[8:9], exec
	s_or_b64 s[12:13], s[0:1], s[6:7]
.LBB111_424:
	s_or_b64 exec, exec, s[46:47]
	s_andn2_b64 s[0:1], s[76:77], exec
	s_and_b64 s[6:7], s[12:13], exec
	s_and_b64 s[14:15], s[14:15], exec
	;; [unrolled: 1-line block ×3, first 2 shown]
	s_or_b64 s[76:77], s[0:1], s[6:7]
.LBB111_425:
	s_or_b64 exec, exec, s[74:75]
	s_andn2_b64 s[0:1], s[70:71], exec
	s_and_b64 s[6:7], s[76:77], exec
	s_and_b64 s[12:13], s[14:15], exec
	;; [unrolled: 1-line block ×3, first 2 shown]
	s_or_b64 s[70:71], s[0:1], s[6:7]
.LBB111_426:
	s_or_b64 exec, exec, s[72:73]
	s_andn2_b64 s[0:1], s[66:67], exec
	s_and_b64 s[6:7], s[70:71], exec
	s_and_b64 s[8:9], s[12:13], exec
	;; [unrolled: 1-line block ×3, first 2 shown]
	s_or_b64 s[66:67], s[0:1], s[6:7]
	s_or_b64 exec, exec, s[68:69]
	s_mov_b64 s[0:1], 0
	s_and_saveexec_b64 s[6:7], s[66:67]
	s_cbranch_execz .LBB111_124
.LBB111_427:
	s_mov_b64 s[0:1], exec
	s_andn2_b64 s[72:73], s[72:73], exec
	s_trap 2
	s_or_b64 exec, exec, s[6:7]
	s_and_saveexec_b64 s[6:7], s[72:73]
	s_xor_b64 s[6:7], exec, s[6:7]
	s_cbranch_execnz .LBB111_125
.LBB111_428:
	s_or_b64 exec, exec, s[6:7]
	s_and_saveexec_b64 s[6:7], s[8:9]
	s_xor_b64 s[6:7], exec, s[6:7]
	s_cbranch_execz .LBB111_466
.LBB111_429:
	v_cmp_gt_i16_e32 vcc, 5, v16
	s_mov_b64 s[8:9], -1
	s_cbranch_vccnz .LBB111_450
; %bb.430:
	v_cmp_gt_i16_e32 vcc, 8, v16
	s_cbranch_vccnz .LBB111_440
; %bb.431:
	v_cmp_gt_i16_e32 vcc, 9, v16
	s_cbranch_vccnz .LBB111_437
; %bb.432:
	v_cmp_lt_i16_e32 vcc, 9, v16
	s_cbranch_vccz .LBB111_434
; %bb.433:
	v_mov_b32_e32 v2, 0
	v_mov_b32_e32 v3, v2
	s_mov_b64 s[8:9], 0
	global_store_dwordx4 v[8:9], v[0:3], off
.LBB111_434:
	s_andn2_b64 vcc, exec, s[8:9]
	s_cbranch_vccnz .LBB111_436
; %bb.435:
	v_mov_b32_e32 v2, s81
	v_mov_b32_e32 v3, 0
	global_store_dwordx2 v[8:9], v[2:3], off
.LBB111_436:
	s_mov_b64 s[8:9], 0
.LBB111_437:
	s_andn2_b64 vcc, exec, s[8:9]
	s_cbranch_vccnz .LBB111_439
; %bb.438:
	global_store_dword v[8:9], v11, off
.LBB111_439:
	s_mov_b64 s[8:9], 0
.LBB111_440:
	s_andn2_b64 vcc, exec, s[8:9]
	s_cbranch_vccnz .LBB111_449
; %bb.441:
	v_cmp_gt_i16_e32 vcc, 6, v16
	s_mov_b64 s[8:9], -1
	s_cbranch_vccnz .LBB111_447
; %bb.442:
	v_cmp_lt_i16_e32 vcc, 6, v16
	s_cbranch_vccz .LBB111_444
; %bb.443:
	s_mov_b64 s[8:9], 0
	global_store_dwordx2 v[8:9], v[0:1], off
.LBB111_444:
	s_andn2_b64 vcc, exec, s[8:9]
	s_cbranch_vccnz .LBB111_446
; %bb.445:
	v_mov_b32_e32 v0, s81
	global_store_dword v[8:9], v0, off
.LBB111_446:
	s_mov_b64 s[8:9], 0
.LBB111_447:
	s_andn2_b64 vcc, exec, s[8:9]
	s_cbranch_vccnz .LBB111_449
; %bb.448:
	global_store_short v[8:9], v11, off
.LBB111_449:
	s_mov_b64 s[8:9], 0
.LBB111_450:
	s_andn2_b64 vcc, exec, s[8:9]
	s_cbranch_vccnz .LBB111_466
; %bb.451:
	v_cmp_gt_i16_e32 vcc, 2, v16
	s_mov_b64 s[8:9], -1
	s_cbranch_vccnz .LBB111_461
; %bb.452:
	v_cmp_gt_i16_e32 vcc, 3, v16
	s_cbranch_vccnz .LBB111_458
; %bb.453:
	v_cmp_lt_i16_e32 vcc, 3, v16
	s_cbranch_vccz .LBB111_455
; %bb.454:
	s_mov_b64 s[8:9], 0
	global_store_dwordx2 v[8:9], v[4:5], off
.LBB111_455:
	s_andn2_b64 vcc, exec, s[8:9]
	s_cbranch_vccnz .LBB111_457
; %bb.456:
	global_store_dword v[8:9], v10, off
.LBB111_457:
	s_mov_b64 s[8:9], 0
.LBB111_458:
	s_andn2_b64 vcc, exec, s[8:9]
	s_cbranch_vccnz .LBB111_460
; %bb.459:
	global_store_short v[8:9], v10, off
.LBB111_460:
	s_mov_b64 s[8:9], 0
.LBB111_461:
	s_andn2_b64 vcc, exec, s[8:9]
	s_cbranch_vccnz .LBB111_466
; %bb.462:
	v_cmp_lt_i16_e32 vcc, 0, v16
	s_mov_b64 s[8:9], -1
	s_cbranch_vccz .LBB111_464
; %bb.463:
	s_mov_b64 s[8:9], 0
	global_store_byte v[8:9], v10, off
.LBB111_464:
	s_andn2_b64 vcc, exec, s[8:9]
	s_cbranch_vccnz .LBB111_466
; %bb.465:
	global_store_byte v[8:9], v4, off
.LBB111_466:
	s_or_b64 exec, exec, s[6:7]
	s_and_b64 s[6:7], s[0:1], exec
                                        ; implicit-def: $vgpr8
                                        ; implicit-def: $vgpr12
.LBB111_467:
	s_or_saveexec_b64 s[24:25], s[34:35]
	s_mov_b64 s[8:9], 0
                                        ; implicit-def: $vgpr2
                                        ; implicit-def: $vgpr0_vgpr1
                                        ; implicit-def: $sgpr14
	s_xor_b64 exec, exec, s[24:25]
	s_cbranch_execz .LBB111_954
; %bb.468:
	v_cndmask_b32_e64 v0, 0, 1, s[30:31]
	v_cmp_ne_u32_e64 s[0:1], 1, v0
	s_andn2_b64 vcc, exec, s[30:31]
	s_cbranch_vccnz .LBB111_474
; %bb.469:
	s_mov_b32 s30, 0
	s_cmp_eq_u32 s33, 0
	v_mov_b32_e32 v6, 0
	s_cbranch_scc1 .LBB111_478
; %bb.470:
	s_min_u32 s31, s80, 15
	s_add_i32 s31, s31, 1
	s_cmp_eq_u32 s80, 2
	v_mov_b32_e32 v6, 0
	s_cbranch_scc1 .LBB111_475
; %bb.471:
	s_add_u32 s2, s28, 0xc4
	s_addc_u32 s3, s29, 0
	s_and_b32 s30, s31, 28
	s_mov_b32 s34, 0
	v_mov_b32_e32 v6, 0
	s_mov_b64 s[26:27], s[28:29]
	v_mov_b32_e32 v0, v12
.LBB111_472:                            ; =>This Inner Loop Header: Depth=1
	s_load_dwordx8 s[8:15], s[26:27], 0x4
	s_load_dwordx4 s[16:19], s[26:27], 0x24
	s_load_dwordx4 s[20:23], s[2:3], 0x0
	s_add_u32 s26, s26, 48
	s_addc_u32 s27, s27, 0
	s_waitcnt lgkmcnt(0)
	v_mul_hi_u32 v1, s9, v0
	v_add_u32_e32 v1, v0, v1
	v_lshrrev_b32_e32 v1, s10, v1
	v_mul_lo_u32 v2, v1, s8
	v_mul_hi_u32 v3, s12, v1
	v_sub_u32_e32 v0, v0, v2
	v_add_u32_e32 v2, v1, v3
	v_lshrrev_b32_e32 v2, s13, v2
	v_mul_lo_u32 v3, v2, s11
	v_mul_hi_u32 v4, s15, v2
	v_sub_u32_e32 v1, v1, v3
	v_add_u32_e32 v3, v2, v4
	v_mul_lo_u32 v0, v0, s20
	v_mul_lo_u32 v1, v1, s21
	v_lshrrev_b32_e32 v3, s16, v3
	v_add3_u32 v1, v0, v6, v1
	v_mul_lo_u32 v0, v3, s14
	v_mul_hi_u32 v4, s18, v3
	v_sub_u32_e32 v0, v2, v0
	v_add_u32_e32 v2, v3, v4
	v_mul_lo_u32 v4, v0, s22
	v_lshrrev_b32_e32 v0, s19, v2
	s_add_i32 s34, s34, 4
	v_mul_lo_u32 v2, v0, s17
	s_add_u32 s2, s2, 16
	v_sub_u32_e32 v2, v3, v2
	s_addc_u32 s3, s3, 0
	v_mul_lo_u32 v2, v2, s23
	s_cmp_lg_u32 s30, s34
	v_add3_u32 v6, v4, v1, v2
	s_cbranch_scc1 .LBB111_472
; %bb.473:
	s_and_b32 s10, s31, 3
	s_cmp_eq_u32 s10, 0
	s_cbranch_scc0 .LBB111_476
	s_branch .LBB111_478
.LBB111_474:
                                        ; implicit-def: $vgpr6
	s_branch .LBB111_479
.LBB111_475:
	v_mov_b32_e32 v0, v12
	s_and_b32 s10, s31, 3
	s_cmp_eq_u32 s10, 0
	s_cbranch_scc1 .LBB111_478
.LBB111_476:
	s_lshl_b32 s2, s30, 2
	s_add_u32 s2, s2, s28
	s_addc_u32 s3, 0, s29
	s_add_u32 s2, s2, 0xc4
	s_addc_u32 s3, s3, 0
	s_mul_i32 s8, s30, 12
	s_add_u32 s8, s28, s8
	s_addc_u32 s9, 0, s29
.LBB111_477:                            ; =>This Inner Loop Header: Depth=1
	s_load_dwordx2 s[12:13], s[8:9], 0x4
	s_load_dword s11, s[8:9], 0xc
	s_load_dword s14, s[2:3], 0x0
	s_add_u32 s8, s8, 12
	s_addc_u32 s9, s9, 0
	s_waitcnt lgkmcnt(0)
	v_mul_hi_u32 v1, s13, v0
	v_add_u32_e32 v1, v0, v1
	v_lshrrev_b32_e32 v1, s11, v1
	s_add_u32 s2, s2, 4
	v_mul_lo_u32 v2, v1, s12
	s_addc_u32 s3, s3, 0
	s_add_i32 s10, s10, -1
	v_sub_u32_e32 v2, v0, v2
	s_cmp_lg_u32 s10, 0
	v_mov_b32_e32 v0, v1
	v_mad_u64_u32 v[6:7], s[12:13], v2, s14, v[6:7]
	s_cbranch_scc1 .LBB111_477
.LBB111_478:
	s_cbranch_execnz .LBB111_481
.LBB111_479:
	s_load_dwordx4 s[8:11], s[28:29], 0x4
	s_load_dword s2, s[28:29], 0xc4
	s_cmp_lt_u32 s33, 2
	s_waitcnt lgkmcnt(0)
	v_mul_hi_u32 v0, s9, v12
	v_add_u32_e32 v0, v12, v0
	v_lshrrev_b32_e32 v0, s10, v0
	v_mul_lo_u32 v1, v0, s8
	v_sub_u32_e32 v1, v12, v1
	v_mul_lo_u32 v6, v1, s2
	s_cbranch_scc1 .LBB111_481
; %bb.480:
	s_load_dwordx4 s[8:11], s[28:29], 0x10
	s_load_dword s2, s[28:29], 0xc8
	s_waitcnt lgkmcnt(0)
	v_mul_hi_u32 v1, s9, v0
	v_add_u32_e32 v1, v0, v1
	v_lshrrev_b32_e32 v1, s10, v1
	v_mul_lo_u32 v1, v1, s8
	v_sub_u32_e32 v0, v0, v1
	v_mad_u64_u32 v[6:7], s[2:3], v0, s2, v[6:7]
.LBB111_481:
	s_and_b64 vcc, exec, s[0:1]
	v_add_u32_e32 v0, 0x80, v12
	s_cbranch_vccnz .LBB111_487
; %bb.482:
	s_mov_b32 s30, 0
	s_cmp_eq_u32 s33, 0
	v_mov_b32_e32 v4, 0
	s_cbranch_scc1 .LBB111_491
; %bb.483:
	s_min_u32 s31, s80, 15
	s_add_i32 s31, s31, 1
	s_cmp_eq_u32 s80, 2
	v_mov_b32_e32 v4, 0
	s_cbranch_scc1 .LBB111_488
; %bb.484:
	s_add_u32 s2, s28, 0xc4
	s_addc_u32 s3, s29, 0
	s_and_b32 s30, s31, 28
	s_mov_b32 s34, 0
	v_mov_b32_e32 v4, 0
	s_mov_b64 s[26:27], s[28:29]
	v_mov_b32_e32 v1, v0
.LBB111_485:                            ; =>This Inner Loop Header: Depth=1
	s_load_dwordx8 s[8:15], s[26:27], 0x4
	s_load_dwordx4 s[16:19], s[26:27], 0x24
	s_load_dwordx4 s[20:23], s[2:3], 0x0
	s_add_u32 s26, s26, 48
	s_addc_u32 s27, s27, 0
	s_waitcnt lgkmcnt(0)
	v_mul_hi_u32 v2, s9, v1
	v_add_u32_e32 v2, v1, v2
	v_lshrrev_b32_e32 v2, s10, v2
	v_mul_lo_u32 v3, v2, s8
	v_mul_hi_u32 v5, s12, v2
	v_sub_u32_e32 v1, v1, v3
	v_add_u32_e32 v3, v2, v5
	v_lshrrev_b32_e32 v3, s13, v3
	v_mul_lo_u32 v5, v3, s11
	v_mul_hi_u32 v7, s15, v3
	v_sub_u32_e32 v2, v2, v5
	v_add_u32_e32 v5, v3, v7
	v_mul_lo_u32 v1, v1, s20
	v_mul_lo_u32 v2, v2, s21
	v_lshrrev_b32_e32 v5, s16, v5
	v_add3_u32 v2, v1, v4, v2
	v_mul_lo_u32 v1, v5, s14
	v_mul_hi_u32 v4, s18, v5
	v_sub_u32_e32 v1, v3, v1
	v_add_u32_e32 v3, v5, v4
	v_mul_lo_u32 v4, v1, s22
	v_lshrrev_b32_e32 v1, s19, v3
	s_add_i32 s34, s34, 4
	v_mul_lo_u32 v3, v1, s17
	s_add_u32 s2, s2, 16
	v_sub_u32_e32 v3, v5, v3
	s_addc_u32 s3, s3, 0
	v_mul_lo_u32 v3, v3, s23
	s_cmp_lg_u32 s30, s34
	v_add3_u32 v4, v4, v2, v3
	s_cbranch_scc1 .LBB111_485
; %bb.486:
	s_and_b32 s10, s31, 3
	s_cmp_eq_u32 s10, 0
	s_cbranch_scc0 .LBB111_489
	s_branch .LBB111_491
.LBB111_487:
                                        ; implicit-def: $vgpr4
	s_branch .LBB111_492
.LBB111_488:
	v_mov_b32_e32 v1, v0
	s_and_b32 s10, s31, 3
	s_cmp_eq_u32 s10, 0
	s_cbranch_scc1 .LBB111_491
.LBB111_489:
	s_lshl_b32 s2, s30, 2
	s_add_u32 s2, s2, s28
	s_addc_u32 s3, 0, s29
	s_add_u32 s2, s2, 0xc4
	s_addc_u32 s3, s3, 0
	s_mul_i32 s8, s30, 12
	s_add_u32 s8, s28, s8
	s_addc_u32 s9, 0, s29
.LBB111_490:                            ; =>This Inner Loop Header: Depth=1
	s_load_dwordx2 s[12:13], s[8:9], 0x4
	s_load_dword s11, s[8:9], 0xc
	s_load_dword s14, s[2:3], 0x0
	s_add_u32 s8, s8, 12
	s_addc_u32 s9, s9, 0
	s_waitcnt lgkmcnt(0)
	v_mul_hi_u32 v2, s13, v1
	v_add_u32_e32 v2, v1, v2
	v_lshrrev_b32_e32 v2, s11, v2
	s_add_u32 s2, s2, 4
	v_mul_lo_u32 v3, v2, s12
	s_addc_u32 s3, s3, 0
	s_add_i32 s10, s10, -1
	v_sub_u32_e32 v3, v1, v3
	s_cmp_lg_u32 s10, 0
	v_mov_b32_e32 v1, v2
	v_mad_u64_u32 v[4:5], s[12:13], v3, s14, v[4:5]
	s_cbranch_scc1 .LBB111_490
.LBB111_491:
	s_cbranch_execnz .LBB111_494
.LBB111_492:
	s_load_dwordx4 s[8:11], s[28:29], 0x4
	s_load_dword s2, s[28:29], 0xc4
	s_cmp_lt_u32 s33, 2
	s_waitcnt lgkmcnt(0)
	v_mul_hi_u32 v1, s9, v0
	v_add_u32_e32 v1, v0, v1
	v_lshrrev_b32_e32 v1, s10, v1
	v_mul_lo_u32 v2, v1, s8
	v_sub_u32_e32 v0, v0, v2
	v_mul_lo_u32 v4, v0, s2
	s_cbranch_scc1 .LBB111_494
; %bb.493:
	s_load_dwordx4 s[8:11], s[28:29], 0x10
	s_load_dword s2, s[28:29], 0xc8
	s_waitcnt lgkmcnt(0)
	v_mul_hi_u32 v0, s9, v1
	v_add_u32_e32 v0, v1, v0
	v_lshrrev_b32_e32 v0, s10, v0
	v_mul_lo_u32 v0, v0, s8
	v_sub_u32_e32 v0, v1, v0
	v_mad_u64_u32 v[4:5], s[2:3], v0, s2, v[4:5]
.LBB111_494:
	s_and_b64 vcc, exec, s[0:1]
	v_add_u32_e32 v0, 0x100, v12
	s_cbranch_vccnz .LBB111_500
; %bb.495:
	s_mov_b32 s30, 0
	s_cmp_eq_u32 s33, 0
	v_mov_b32_e32 v2, 0
	s_cbranch_scc1 .LBB111_504
; %bb.496:
	s_min_u32 s31, s80, 15
	s_add_i32 s31, s31, 1
	s_cmp_eq_u32 s80, 2
	v_mov_b32_e32 v2, 0
	s_cbranch_scc1 .LBB111_501
; %bb.497:
	s_add_u32 s2, s28, 0xc4
	s_addc_u32 s3, s29, 0
	s_and_b32 s30, s31, 28
	s_mov_b32 s34, 0
	v_mov_b32_e32 v2, 0
	s_mov_b64 s[26:27], s[28:29]
	v_mov_b32_e32 v1, v0
.LBB111_498:                            ; =>This Inner Loop Header: Depth=1
	s_load_dwordx8 s[8:15], s[26:27], 0x4
	s_load_dwordx4 s[16:19], s[26:27], 0x24
	s_load_dwordx4 s[20:23], s[2:3], 0x0
	s_add_u32 s26, s26, 48
	s_addc_u32 s27, s27, 0
	s_waitcnt lgkmcnt(0)
	v_mul_hi_u32 v3, s9, v1
	v_add_u32_e32 v3, v1, v3
	v_lshrrev_b32_e32 v3, s10, v3
	v_mul_lo_u32 v5, v3, s8
	v_mul_hi_u32 v7, s12, v3
	v_sub_u32_e32 v1, v1, v5
	v_add_u32_e32 v5, v3, v7
	v_lshrrev_b32_e32 v5, s13, v5
	v_mul_lo_u32 v7, v5, s11
	v_mul_hi_u32 v9, s15, v5
	v_sub_u32_e32 v3, v3, v7
	v_add_u32_e32 v7, v5, v9
	v_mul_lo_u32 v1, v1, s20
	v_mul_lo_u32 v3, v3, s21
	v_lshrrev_b32_e32 v7, s16, v7
	v_add3_u32 v2, v1, v2, v3
	v_mul_lo_u32 v1, v7, s14
	v_mul_hi_u32 v3, s18, v7
	v_sub_u32_e32 v1, v5, v1
	v_add_u32_e32 v3, v7, v3
	v_mul_lo_u32 v5, v1, s22
	v_lshrrev_b32_e32 v1, s19, v3
	s_add_i32 s34, s34, 4
	v_mul_lo_u32 v3, v1, s17
	s_add_u32 s2, s2, 16
	v_sub_u32_e32 v3, v7, v3
	s_addc_u32 s3, s3, 0
	v_mul_lo_u32 v3, v3, s23
	s_cmp_lg_u32 s30, s34
	v_add3_u32 v2, v5, v2, v3
	s_cbranch_scc1 .LBB111_498
; %bb.499:
	s_and_b32 s10, s31, 3
	s_cmp_eq_u32 s10, 0
	s_cbranch_scc0 .LBB111_502
	s_branch .LBB111_504
.LBB111_500:
                                        ; implicit-def: $vgpr2
	s_branch .LBB111_505
.LBB111_501:
	v_mov_b32_e32 v1, v0
	s_and_b32 s10, s31, 3
	s_cmp_eq_u32 s10, 0
	s_cbranch_scc1 .LBB111_504
.LBB111_502:
	s_lshl_b32 s2, s30, 2
	s_add_u32 s2, s2, s28
	s_addc_u32 s3, 0, s29
	s_add_u32 s2, s2, 0xc4
	s_addc_u32 s3, s3, 0
	s_mul_i32 s8, s30, 12
	s_add_u32 s8, s28, s8
	s_addc_u32 s9, 0, s29
.LBB111_503:                            ; =>This Inner Loop Header: Depth=1
	s_load_dwordx2 s[12:13], s[8:9], 0x4
	s_load_dword s11, s[8:9], 0xc
	s_load_dword s14, s[2:3], 0x0
	s_add_u32 s8, s8, 12
	s_addc_u32 s9, s9, 0
	s_waitcnt lgkmcnt(0)
	v_mul_hi_u32 v3, s13, v1
	v_add_u32_e32 v3, v1, v3
	v_lshrrev_b32_e32 v3, s11, v3
	s_add_u32 s2, s2, 4
	v_mul_lo_u32 v5, v3, s12
	s_addc_u32 s3, s3, 0
	s_add_i32 s10, s10, -1
	v_sub_u32_e32 v5, v1, v5
	s_cmp_lg_u32 s10, 0
	v_mov_b32_e32 v1, v3
	v_mad_u64_u32 v[2:3], s[12:13], v5, s14, v[2:3]
	s_cbranch_scc1 .LBB111_503
.LBB111_504:
	s_cbranch_execnz .LBB111_507
.LBB111_505:
	s_load_dwordx4 s[8:11], s[28:29], 0x4
	s_load_dword s2, s[28:29], 0xc4
	s_cmp_lt_u32 s33, 2
	s_waitcnt lgkmcnt(0)
	v_mul_hi_u32 v1, s9, v0
	v_add_u32_e32 v1, v0, v1
	v_lshrrev_b32_e32 v1, s10, v1
	v_mul_lo_u32 v2, v1, s8
	v_sub_u32_e32 v0, v0, v2
	v_mul_lo_u32 v2, v0, s2
	s_cbranch_scc1 .LBB111_507
; %bb.506:
	s_load_dwordx4 s[8:11], s[28:29], 0x10
	s_load_dword s2, s[28:29], 0xc8
	s_waitcnt lgkmcnt(0)
	v_mul_hi_u32 v0, s9, v1
	v_add_u32_e32 v0, v1, v0
	v_lshrrev_b32_e32 v0, s10, v0
	v_mul_lo_u32 v0, v0, s8
	v_sub_u32_e32 v0, v1, v0
	v_mad_u64_u32 v[2:3], s[2:3], v0, s2, v[2:3]
.LBB111_507:
	s_and_b64 vcc, exec, s[0:1]
	s_cbranch_vccnz .LBB111_513
; %bb.508:
	s_mov_b32 s26, 0
	s_cmp_eq_u32 s33, 0
	v_mov_b32_e32 v0, 0
	s_cbranch_scc1 .LBB111_517
; %bb.509:
	s_min_u32 s27, s80, 15
	s_add_i32 s27, s27, 1
	s_cmp_eq_u32 s80, 2
	v_mov_b32_e32 v0, 0
	s_cbranch_scc1 .LBB111_514
; %bb.510:
	s_add_u32 s20, s28, 0xc4
	s_addc_u32 s21, s29, 0
	s_and_b32 s26, s27, 28
	s_mov_b32 s30, 0
	v_mov_b32_e32 v0, 0
	s_mov_b64 s[22:23], s[28:29]
	v_mov_b32_e32 v3, v8
.LBB111_511:                            ; =>This Inner Loop Header: Depth=1
	s_load_dwordx8 s[8:15], s[22:23], 0x4
	s_load_dwordx4 s[0:3], s[22:23], 0x24
	s_load_dwordx4 s[16:19], s[20:21], 0x0
	s_add_u32 s22, s22, 48
	s_addc_u32 s23, s23, 0
	s_waitcnt lgkmcnt(0)
	v_mul_hi_u32 v1, s9, v3
	v_add_u32_e32 v1, v3, v1
	v_lshrrev_b32_e32 v1, s10, v1
	v_mul_lo_u32 v5, v1, s8
	v_mul_hi_u32 v7, s12, v1
	v_sub_u32_e32 v3, v3, v5
	v_add_u32_e32 v5, v1, v7
	v_lshrrev_b32_e32 v5, s13, v5
	v_mul_lo_u32 v7, v5, s11
	v_mul_hi_u32 v9, s15, v5
	v_sub_u32_e32 v1, v1, v7
	v_add_u32_e32 v7, v5, v9
	v_mul_lo_u32 v3, v3, s16
	v_mul_lo_u32 v1, v1, s17
	v_lshrrev_b32_e32 v7, s0, v7
	v_add3_u32 v0, v3, v0, v1
	v_mul_hi_u32 v3, s2, v7
	v_add_u32_e32 v3, v7, v3
	v_mul_lo_u32 v1, v7, s14
	v_lshrrev_b32_e32 v3, s3, v3
	s_add_i32 s30, s30, 4
	v_sub_u32_e32 v1, v5, v1
	v_mul_lo_u32 v5, v3, s1
	s_add_u32 s20, s20, 16
	v_sub_u32_e32 v5, v7, v5
	s_addc_u32 s21, s21, 0
	v_mul_lo_u32 v1, v1, s18
	v_mul_lo_u32 v5, v5, s19
	s_cmp_lg_u32 s26, s30
	v_add3_u32 v0, v1, v0, v5
	s_cbranch_scc1 .LBB111_511
; %bb.512:
	s_and_b32 s8, s27, 3
	s_cmp_eq_u32 s8, 0
	s_cbranch_scc0 .LBB111_515
	s_branch .LBB111_517
.LBB111_513:
                                        ; implicit-def: $vgpr0
	s_branch .LBB111_518
.LBB111_514:
	v_mov_b32_e32 v3, v8
	s_and_b32 s8, s27, 3
	s_cmp_eq_u32 s8, 0
	s_cbranch_scc1 .LBB111_517
.LBB111_515:
	s_lshl_b32 s0, s26, 2
	s_add_u32 s0, s0, s28
	s_addc_u32 s1, 0, s29
	s_add_u32 s0, s0, 0xc4
	s_addc_u32 s1, s1, 0
	s_mul_i32 s2, s26, 12
	s_add_u32 s2, s28, s2
	s_addc_u32 s3, 0, s29
.LBB111_516:                            ; =>This Inner Loop Header: Depth=1
	s_load_dwordx2 s[10:11], s[2:3], 0x4
	s_load_dword s9, s[2:3], 0xc
	s_load_dword s12, s[0:1], 0x0
	s_add_u32 s2, s2, 12
	s_addc_u32 s3, s3, 0
	s_waitcnt lgkmcnt(0)
	v_mul_hi_u32 v1, s11, v3
	v_add_u32_e32 v1, v3, v1
	v_lshrrev_b32_e32 v1, s9, v1
	s_add_u32 s0, s0, 4
	v_mul_lo_u32 v5, v1, s10
	s_addc_u32 s1, s1, 0
	s_add_i32 s8, s8, -1
	v_sub_u32_e32 v5, v3, v5
	s_cmp_lg_u32 s8, 0
	v_mov_b32_e32 v3, v1
	v_mad_u64_u32 v[0:1], s[10:11], v5, s12, v[0:1]
	s_cbranch_scc1 .LBB111_516
.LBB111_517:
	s_cbranch_execnz .LBB111_520
.LBB111_518:
	s_load_dwordx4 s[0:3], s[28:29], 0x4
	s_waitcnt lgkmcnt(0)
	s_load_dword s3, s[28:29], 0xc4
	s_cmp_lt_u32 s33, 2
	v_mul_hi_u32 v0, s1, v8
	v_add_u32_e32 v0, v8, v0
	v_lshrrev_b32_e32 v1, s2, v0
	v_mul_lo_u32 v0, v1, s0
	v_sub_u32_e32 v0, v8, v0
	s_waitcnt lgkmcnt(0)
	v_mul_lo_u32 v0, v0, s3
	s_cbranch_scc1 .LBB111_520
; %bb.519:
	s_load_dwordx4 s[0:3], s[28:29], 0x10
	s_waitcnt lgkmcnt(0)
	s_load_dword s3, s[28:29], 0xc8
	v_mul_hi_u32 v3, s1, v1
	v_add_u32_e32 v3, v1, v3
	v_lshrrev_b32_e32 v3, s2, v3
	v_mul_lo_u32 v3, v3, s0
	v_sub_u32_e32 v1, v1, v3
	s_waitcnt lgkmcnt(0)
	v_mad_u64_u32 v[0:1], s[0:1], v1, s3, v[0:1]
.LBB111_520:
	s_load_dwordx2 s[2:3], s[28:29], 0x108
	s_load_dword s14, s[28:29], 0x110
	s_load_dword s0, s[4:5], 0x118
	s_waitcnt lgkmcnt(0)
	v_mov_b32_e32 v1, s3
	v_add_co_u32_e32 v6, vcc, s2, v6
	v_addc_co_u32_e32 v7, vcc, 0, v1, vcc
	s_lshr_b32 s15, s0, 16
	v_mov_b32_e32 v1, 11
	v_cmp_lt_i16_sdwa s[0:1], s15, v1 src0_sel:BYTE_0 src1_sel:DWORD
	s_and_b64 vcc, exec, s[0:1]
	s_cbranch_vccnz .LBB111_527
; %bb.521:
	v_mov_b32_e32 v1, 25
	v_cmp_gt_i16_sdwa s[0:1], s15, v1 src0_sel:BYTE_0 src1_sel:DWORD
	s_mov_b64 s[10:11], -1
	s_mov_b64 s[4:5], 0
	s_and_b64 vcc, exec, s[0:1]
	s_mov_b64 s[8:9], 0
	s_mov_b64 s[0:1], 0
	s_cbranch_vccz .LBB111_560
; %bb.522:
	v_mov_b32_e32 v1, 28
	v_cmp_gt_i16_sdwa s[0:1], s15, v1 src0_sel:BYTE_0 src1_sel:DWORD
	s_and_b64 vcc, exec, s[0:1]
	s_cbranch_vccz .LBB111_529
; %bb.523:
	v_mov_b32_e32 v1, 43
	v_cmp_gt_i16_sdwa s[0:1], s15, v1 src0_sel:BYTE_0 src1_sel:DWORD
	s_and_b64 vcc, exec, s[0:1]
	;; [unrolled: 5-line block ×3, first 2 shown]
	s_cbranch_vccz .LBB111_531
; %bb.525:
	v_mov_b32_e32 v1, 46
	v_cmp_eq_u16_sdwa s[8:9], s15, v1 src0_sel:BYTE_0 src1_sel:DWORD
	s_mov_b64 s[0:1], -1
	s_mov_b64 s[10:11], 0
	s_and_b64 vcc, exec, s[8:9]
	s_mov_b64 s[8:9], 0
	s_cbranch_vccz .LBB111_532
; %bb.526:
	s_and_b32 s0, 0xffff, s14
	v_mov_b32_e32 v1, s0
	global_store_dword v[6:7], v1, off
	s_mov_b64 s[0:1], 0
	s_mov_b64 s[8:9], -1
	s_branch .LBB111_532
.LBB111_527:
	s_mov_b64 s[8:9], 0
	s_mov_b64 s[0:1], s[6:7]
	s_cbranch_execnz .LBB111_610
.LBB111_528:
	s_andn2_b64 vcc, exec, s[8:9]
	s_cbranch_vccz .LBB111_648
	s_branch .LBB111_952
.LBB111_529:
	s_mov_b64 s[0:1], 0
	s_branch .LBB111_541
.LBB111_530:
	s_mov_b64 s[0:1], 0
	s_and_b64 vcc, exec, s[10:11]
	s_cbranch_vccnz .LBB111_538
	s_branch .LBB111_540
.LBB111_531:
	s_mov_b64 s[0:1], 0
.LBB111_532:
	s_and_b64 vcc, exec, s[10:11]
	s_cbranch_vccz .LBB111_537
; %bb.533:
	v_mov_b32_e32 v1, 44
	v_cmp_eq_u16_sdwa s[10:11], s15, v1 src0_sel:BYTE_0 src1_sel:DWORD
	s_mov_b64 s[0:1], -1
	s_and_b64 vcc, exec, s[10:11]
	s_cbranch_vccz .LBB111_537
; %bb.534:
	s_and_b32 s1, 0xffff, s14
	s_bfe_u32 s0, s1, 0x80007
	s_cmpk_eq_i32 s0, 0xff
	v_mov_b32_e32 v1, 0xff
	s_cbranch_scc1 .LBB111_536
; %bb.535:
	s_lshr_b32 s10, s1, 7
	s_lshl_b32 s11, s1, 16
	s_bitcmp1_b32 s1, 6
	s_cselect_b64 s[8:9], -1, 0
	s_and_b32 s1, s11, 0x3f0000
	s_or_b32 s0, s0, s1
	s_cmp_lg_u32 s0, 0
	s_cselect_b64 s[0:1], -1, 0
	s_and_b64 s[0:1], s[8:9], s[0:1]
	v_cndmask_b32_e64 v1, 0, 1, s[0:1]
	v_add_u32_e32 v1, s10, v1
.LBB111_536:
	s_mov_b64 s[0:1], 0
	s_mov_b64 s[8:9], -1
	global_store_byte v[6:7], v1, off
.LBB111_537:
	s_branch .LBB111_540
.LBB111_538:
	v_mov_b32_e32 v1, 29
	v_cmp_eq_u16_sdwa s[10:11], s15, v1 src0_sel:BYTE_0 src1_sel:DWORD
	s_mov_b64 s[0:1], -1
	s_and_b64 vcc, exec, s[10:11]
	s_cbranch_vccz .LBB111_540
; %bb.539:
	s_lshl_b32 s0, s14, 16
	v_trunc_f32_e32 v1, s0
	v_mul_f32_e32 v3, 0x2f800000, v1
	v_floor_f32_e32 v3, v3
	v_fmac_f32_e32 v1, 0xcf800000, v3
	v_cvt_u32_f32_e32 v9, v3
	v_cvt_u32_f32_e32 v8, v1
	s_mov_b64 s[0:1], 0
	s_mov_b64 s[8:9], -1
	s_mov_b64 s[10:11], 0
	global_store_dwordx2 v[6:7], v[8:9], off
	s_branch .LBB111_541
.LBB111_540:
	s_mov_b64 s[10:11], 0
.LBB111_541:
	s_and_b64 vcc, exec, s[10:11]
	s_cbranch_vccz .LBB111_559
; %bb.542:
	v_mov_b32_e32 v1, 27
	v_cmp_lt_i16_sdwa s[10:11], s15, v1 src0_sel:BYTE_0 src1_sel:DWORD
	s_mov_b64 s[8:9], -1
	s_and_b64 vcc, exec, s[10:11]
	s_cbranch_vccnz .LBB111_548
; %bb.543:
	v_cmp_gt_i16_sdwa s[10:11], s15, v1 src0_sel:BYTE_0 src1_sel:DWORD
	s_and_b64 vcc, exec, s[10:11]
	s_cbranch_vccz .LBB111_545
; %bb.544:
	s_lshl_b32 s8, s14, 16
	v_cvt_u32_f32_e32 v1, s8
	s_mov_b64 s[8:9], 0
	global_store_dword v[6:7], v1, off
.LBB111_545:
	s_andn2_b64 vcc, exec, s[8:9]
	s_cbranch_vccnz .LBB111_547
; %bb.546:
	s_lshl_b32 s8, s14, 16
	v_cvt_u32_f32_e32 v1, s8
	global_store_short v[6:7], v1, off
.LBB111_547:
	s_mov_b64 s[8:9], 0
.LBB111_548:
	s_andn2_b64 vcc, exec, s[8:9]
	s_cbranch_vccnz .LBB111_558
; %bb.549:
	s_lshl_b32 s13, s14, 16
	s_and_b32 s8, s13, 0x7fffffff
	s_cmp_gt_u32 s8, 0x437fffff
	v_mov_b32_e32 v3, 0x80
	s_cbranch_scc1 .LBB111_557
; %bb.550:
	s_and_b32 s12, 0xffff, s14
	s_cmp_gt_u32 s8, 0x3bffffff
	s_cbranch_scc0 .LBB111_552
; %bb.551:
	s_bfe_u32 s8, s12, 0x10004
	s_add_i32 s8, s13, s8
	s_add_i32 s8, s8, 0x487ffff
	s_lshr_b32 s16, s8, 20
	s_mov_b64 s[10:11], 0
	s_mov_b64 s[8:9], -1
	s_branch .LBB111_553
.LBB111_552:
	s_mov_b64 s[10:11], -1
	s_mov_b64 s[8:9], 0
                                        ; implicit-def: $sgpr16
.LBB111_553:
	s_andn2_b64 vcc, exec, s[10:11]
	v_mov_b32_e32 v1, s16
                                        ; implicit-def: $sgpr10
	s_cbranch_vccnz .LBB111_555
; %bb.554:
	v_mov_b32_e32 v1, 0x46000000
	v_add_f32_e64 v1, |s13|, v1
	v_and_b32_e32 v1, 0xff, v1
	s_mov_b32 s10, 0
	v_cmp_ne_u32_e64 s[8:9], 0, v1
.LBB111_555:
	s_andn2_b64 vcc, exec, s[8:9]
	v_mov_b32_e32 v3, s10
	s_cbranch_vccnz .LBB111_557
; %bb.556:
	s_lshr_b32 s8, s12, 8
	s_and_b32 s8, s8, 0x80
	v_or_b32_e32 v3, s8, v1
.LBB111_557:
	global_store_byte v[6:7], v3, off
.LBB111_558:
	s_mov_b64 s[8:9], -1
.LBB111_559:
	s_mov_b64 s[10:11], 0
.LBB111_560:
	s_and_b64 vcc, exec, s[10:11]
	s_cbranch_vccz .LBB111_606
; %bb.561:
	v_mov_b32_e32 v1, 22
	v_cmp_gt_i16_sdwa s[10:11], s15, v1 src0_sel:BYTE_0 src1_sel:DWORD
	s_mov_b64 s[4:5], -1
	s_and_b64 vcc, exec, s[10:11]
	s_cbranch_vccz .LBB111_599
; %bb.562:
	v_mov_b32_e32 v1, 24
	v_cmp_lt_i16_sdwa s[8:9], s15, v1 src0_sel:BYTE_0 src1_sel:DWORD
	s_and_b64 vcc, exec, s[8:9]
	s_cbranch_vccnz .LBB111_586
; %bb.563:
	v_cmp_gt_i16_sdwa s[8:9], s15, v1 src0_sel:BYTE_0 src1_sel:DWORD
	s_and_b64 vcc, exec, s[8:9]
	s_cbranch_vccz .LBB111_573
; %bb.564:
	s_lshl_b32 s11, s14, 16
	s_and_b32 s4, s11, 0x7fffffff
	s_cmp_gt_u32 s4, 0x477fffff
	v_mov_b32_e32 v3, 0x80
	s_cbranch_scc1 .LBB111_572
; %bb.565:
	s_and_b32 s10, 0xffff, s14
	s_cmp_gt_u32 s4, 0x37ffffff
	s_cbranch_scc0 .LBB111_567
; %bb.566:
	s_bfe_u32 s4, s10, 0x10005
	s_add_i32 s4, s11, s4
	s_add_i32 s4, s4, 0x88fffff
	s_lshr_b32 s12, s4, 21
	s_mov_b64 s[8:9], 0
	s_mov_b64 s[4:5], -1
	s_branch .LBB111_568
.LBB111_567:
	s_mov_b64 s[8:9], -1
	s_mov_b64 s[4:5], 0
                                        ; implicit-def: $sgpr12
.LBB111_568:
	s_andn2_b64 vcc, exec, s[8:9]
	v_mov_b32_e32 v1, s12
                                        ; implicit-def: $sgpr8
	s_cbranch_vccnz .LBB111_570
; %bb.569:
	v_mov_b32_e32 v1, 0x42800000
	v_add_f32_e64 v1, |s11|, v1
	v_and_b32_e32 v1, 0xff, v1
	s_mov_b32 s8, 0
	v_cmp_ne_u32_e64 s[4:5], 0, v1
.LBB111_570:
	s_andn2_b64 vcc, exec, s[4:5]
	v_mov_b32_e32 v3, s8
	s_cbranch_vccnz .LBB111_572
; %bb.571:
	s_lshr_b32 s4, s10, 8
	s_and_b32 s4, s4, 0x80
	v_or_b32_e32 v3, s4, v1
.LBB111_572:
	s_mov_b64 s[4:5], 0
	global_store_byte v[6:7], v3, off
.LBB111_573:
	s_and_b64 vcc, exec, s[4:5]
	s_cbranch_vccz .LBB111_585
; %bb.574:
	s_lshl_b32 s10, s14, 16
	s_and_b32 s8, 0xffff, s14
	s_and_b32 s9, s10, 0x7fffffff
	s_cmp_lt_u32 s9, 0x43f00000
	s_cbranch_scc0 .LBB111_577
; %bb.575:
	s_cmp_gt_u32 s9, 0x3c7fffff
	s_cbranch_scc0 .LBB111_578
; %bb.576:
	s_bfe_u32 s4, s8, 0x10004
	s_add_i32 s4, s10, s4
	s_add_i32 s4, s4, 0x407ffff
	s_lshr_b32 s5, s4, 20
	s_and_b32 s4, s4, 0xff00000
	s_cmp_lg_u32 s4, 0x7f00000
	s_cselect_b32 s11, s5, 0x7e
	s_mov_b64 s[4:5], 0
	s_branch .LBB111_579
.LBB111_577:
	s_mov_b64 s[4:5], -1
                                        ; implicit-def: $vgpr1
	s_branch .LBB111_582
.LBB111_578:
	s_mov_b64 s[4:5], -1
                                        ; implicit-def: $sgpr11
.LBB111_579:
	s_andn2_b64 vcc, exec, s[4:5]
	v_mov_b32_e32 v1, s11
	s_cbranch_vccnz .LBB111_581
; %bb.580:
	v_mov_b32_e32 v1, 0x46800000
	v_add_f32_e64 v1, |s10|, v1
.LBB111_581:
	s_mov_b64 s[4:5], 0
.LBB111_582:
	s_andn2_b64 vcc, exec, s[4:5]
	s_cbranch_vccnz .LBB111_584
; %bb.583:
	s_cmp_gt_u32 s9, 0x7f800000
	s_movk_i32 s4, 0x7f
	s_cselect_b32 s4, s4, 0x7e
	v_mov_b32_e32 v1, s4
.LBB111_584:
	s_lshr_b32 s4, s8, 8
	s_and_b32 s4, s4, 0x80
	v_or_b32_e32 v1, s4, v1
	global_store_byte v[6:7], v1, off
.LBB111_585:
	s_mov_b64 s[4:5], 0
.LBB111_586:
	s_andn2_b64 vcc, exec, s[4:5]
	s_cbranch_vccnz .LBB111_598
; %bb.587:
	s_lshl_b32 s10, s14, 16
	s_and_b32 s8, 0xffff, s14
	s_and_b32 s9, s10, 0x7fffffff
	s_cmp_lt_u32 s9, 0x47800000
	s_cbranch_scc0 .LBB111_590
; %bb.588:
	s_cmp_gt_u32 s9, 0x387fffff
	s_cbranch_scc0 .LBB111_591
; %bb.589:
	s_bfe_u32 s4, s8, 0x10005
	s_add_i32 s4, s10, s4
	s_add_i32 s4, s4, 0x80fffff
	s_lshr_b32 s11, s4, 21
	s_mov_b64 s[4:5], 0
	s_branch .LBB111_592
.LBB111_590:
	s_mov_b64 s[4:5], -1
                                        ; implicit-def: $vgpr1
	s_branch .LBB111_595
.LBB111_591:
	s_mov_b64 s[4:5], -1
                                        ; implicit-def: $sgpr11
.LBB111_592:
	s_andn2_b64 vcc, exec, s[4:5]
	v_mov_b32_e32 v1, s11
	s_cbranch_vccnz .LBB111_594
; %bb.593:
	v_mov_b32_e32 v1, 0x43000000
	v_add_f32_e64 v1, |s10|, v1
.LBB111_594:
	s_mov_b64 s[4:5], 0
.LBB111_595:
	s_andn2_b64 vcc, exec, s[4:5]
	s_cbranch_vccnz .LBB111_597
; %bb.596:
	s_cmp_gt_u32 s9, 0x7f800000
	s_movk_i32 s4, 0x7f
	s_cselect_b32 s4, s4, 0x7c
	v_mov_b32_e32 v1, s4
.LBB111_597:
	s_lshr_b32 s4, s8, 8
	s_and_b32 s4, s4, 0x80
	v_or_b32_e32 v1, s4, v1
	global_store_byte v[6:7], v1, off
.LBB111_598:
	s_mov_b64 s[4:5], 0
	s_mov_b64 s[8:9], -1
.LBB111_599:
	s_andn2_b64 vcc, exec, s[4:5]
	s_mov_b64 s[4:5], 0
	s_cbranch_vccnz .LBB111_606
; %bb.600:
	v_mov_b32_e32 v1, 14
	v_cmp_gt_i16_sdwa s[4:5], s15, v1 src0_sel:BYTE_0 src1_sel:DWORD
	s_mov_b64 s[10:11], -1
	s_and_b64 vcc, exec, s[4:5]
	s_cbranch_vccz .LBB111_604
; %bb.601:
	v_mov_b32_e32 v1, 15
	v_cmp_eq_u16_sdwa s[4:5], s15, v1 src0_sel:BYTE_0 src1_sel:DWORD
	s_mov_b64 s[0:1], -1
	s_and_b64 vcc, exec, s[4:5]
	s_cbranch_vccz .LBB111_603
; %bb.602:
	v_mov_b32_e32 v1, s14
	global_store_short v[6:7], v1, off
	s_mov_b64 s[0:1], 0
	s_mov_b64 s[8:9], -1
.LBB111_603:
	s_mov_b64 s[10:11], 0
.LBB111_604:
	s_mov_b64 s[4:5], 0
	s_and_b64 vcc, exec, s[10:11]
	s_cbranch_vccz .LBB111_606
; %bb.605:
	v_mov_b32_e32 v1, 11
	v_cmp_ne_u16_sdwa s[0:1], s15, v1 src0_sel:BYTE_0 src1_sel:DWORD
	s_mov_b64 s[4:5], -1
.LBB111_606:
	s_and_b64 vcc, exec, s[0:1]
	s_mov_b64 s[0:1], s[6:7]
	s_cbranch_vccnz .LBB111_659
; %bb.607:
	s_andn2_b64 vcc, exec, s[4:5]
	s_cbranch_vccnz .LBB111_609
.LBB111_608:
	v_mov_b32_e32 v1, 0x7fff
	v_and_b32_e32 v1, s14, v1
	v_cmp_ne_u16_e32 vcc, 0, v1
	v_cndmask_b32_e64 v1, 0, 1, vcc
	global_store_byte v[6:7], v1, off
	s_mov_b64 s[8:9], -1
.LBB111_609:
	s_branch .LBB111_528
.LBB111_610:
	v_mov_b32_e32 v1, 5
	v_cmp_lt_i16_sdwa s[8:9], s15, v1 src0_sel:BYTE_0 src1_sel:DWORD
	s_mov_b64 s[4:5], -1
	s_and_b64 vcc, exec, s[8:9]
	s_cbranch_vccnz .LBB111_631
; %bb.611:
	v_mov_b32_e32 v1, 8
	v_cmp_lt_i16_sdwa s[8:9], s15, v1 src0_sel:BYTE_0 src1_sel:DWORD
	s_and_b64 vcc, exec, s[8:9]
	s_cbranch_vccnz .LBB111_621
; %bb.612:
	v_mov_b32_e32 v1, 9
	v_cmp_lt_i16_sdwa s[8:9], s15, v1 src0_sel:BYTE_0 src1_sel:DWORD
	s_and_b64 vcc, exec, s[8:9]
	s_cbranch_vccnz .LBB111_618
; %bb.613:
	v_cmp_gt_i16_sdwa s[8:9], s15, v1 src0_sel:BYTE_0 src1_sel:DWORD
	s_and_b64 vcc, exec, s[8:9]
	s_cbranch_vccz .LBB111_615
; %bb.614:
	s_lshl_b32 s4, s14, 16
	v_mov_b32_e32 v10, 0
	v_cvt_f64_f32_e32 v[8:9], s4
	v_mov_b32_e32 v11, v10
	global_store_dwordx4 v[6:7], v[8:11], off
	s_mov_b64 s[4:5], 0
.LBB111_615:
	s_andn2_b64 vcc, exec, s[4:5]
	s_cbranch_vccnz .LBB111_617
; %bb.616:
	s_lshl_b32 s4, s14, 16
	v_mov_b32_e32 v8, s4
	v_mov_b32_e32 v9, 0
	global_store_dwordx2 v[6:7], v[8:9], off
.LBB111_617:
	s_mov_b64 s[4:5], 0
.LBB111_618:
	s_andn2_b64 vcc, exec, s[4:5]
	s_cbranch_vccnz .LBB111_620
; %bb.619:
	s_lshl_b32 s4, s14, 16
	v_cvt_f16_f32_e32 v1, s4
	global_store_dword v[6:7], v1, off
.LBB111_620:
	s_mov_b64 s[4:5], 0
.LBB111_621:
	s_andn2_b64 vcc, exec, s[4:5]
	s_cbranch_vccnz .LBB111_630
; %bb.622:
	v_mov_b32_e32 v1, 6
	v_cmp_lt_i16_sdwa s[8:9], s15, v1 src0_sel:BYTE_0 src1_sel:DWORD
	s_mov_b64 s[4:5], -1
	s_and_b64 vcc, exec, s[8:9]
	s_cbranch_vccnz .LBB111_628
; %bb.623:
	v_cmp_gt_i16_sdwa s[8:9], s15, v1 src0_sel:BYTE_0 src1_sel:DWORD
	s_and_b64 vcc, exec, s[8:9]
	s_cbranch_vccz .LBB111_625
; %bb.624:
	s_lshl_b32 s4, s14, 16
	v_cvt_f64_f32_e32 v[8:9], s4
	global_store_dwordx2 v[6:7], v[8:9], off
	s_mov_b64 s[4:5], 0
.LBB111_625:
	s_andn2_b64 vcc, exec, s[4:5]
	s_cbranch_vccnz .LBB111_627
; %bb.626:
	s_lshl_b32 s4, s14, 16
	v_mov_b32_e32 v1, s4
	global_store_dword v[6:7], v1, off
.LBB111_627:
	s_mov_b64 s[4:5], 0
.LBB111_628:
	s_andn2_b64 vcc, exec, s[4:5]
	s_cbranch_vccnz .LBB111_630
; %bb.629:
	s_lshl_b32 s4, s14, 16
	v_cvt_f16_f32_e32 v1, s4
	global_store_short v[6:7], v1, off
.LBB111_630:
	s_mov_b64 s[4:5], 0
.LBB111_631:
	s_andn2_b64 vcc, exec, s[4:5]
	s_cbranch_vccnz .LBB111_647
; %bb.632:
	v_mov_b32_e32 v1, 2
	v_cmp_lt_i16_sdwa s[8:9], s15, v1 src0_sel:BYTE_0 src1_sel:DWORD
	s_mov_b64 s[4:5], -1
	s_and_b64 vcc, exec, s[8:9]
	s_cbranch_vccnz .LBB111_642
; %bb.633:
	v_mov_b32_e32 v1, 3
	v_cmp_lt_i16_sdwa s[8:9], s15, v1 src0_sel:BYTE_0 src1_sel:DWORD
	s_and_b64 vcc, exec, s[8:9]
	s_cbranch_vccnz .LBB111_639
; %bb.634:
	v_cmp_gt_i16_sdwa s[8:9], s15, v1 src0_sel:BYTE_0 src1_sel:DWORD
	s_and_b64 vcc, exec, s[8:9]
	s_cbranch_vccz .LBB111_636
; %bb.635:
	s_lshl_b32 s4, s14, 16
	v_trunc_f32_e32 v1, s4
	s_mov_b32 s4, 0x2f800000
	v_mul_f32_e64 v3, |v1|, s4
	v_floor_f32_e32 v3, v3
	s_mov_b32 s4, 0xcf800000
	v_fma_f32 v5, v3, s4, |v1|
	v_cvt_u32_f32_e32 v5, v5
	v_cvt_u32_f32_e32 v3, v3
	v_ashrrev_i32_e32 v1, 31, v1
	s_mov_b64 s[4:5], 0
	v_xor_b32_e32 v5, v5, v1
	v_xor_b32_e32 v3, v3, v1
	v_sub_co_u32_e32 v8, vcc, v5, v1
	v_subb_co_u32_e32 v9, vcc, v3, v1, vcc
	global_store_dwordx2 v[6:7], v[8:9], off
.LBB111_636:
	s_andn2_b64 vcc, exec, s[4:5]
	s_cbranch_vccnz .LBB111_638
; %bb.637:
	s_lshl_b32 s4, s14, 16
	v_cvt_i32_f32_e32 v1, s4
	global_store_dword v[6:7], v1, off
.LBB111_638:
	s_mov_b64 s[4:5], 0
.LBB111_639:
	s_andn2_b64 vcc, exec, s[4:5]
	s_cbranch_vccnz .LBB111_641
; %bb.640:
	s_lshl_b32 s4, s14, 16
	v_cvt_i32_f32_e32 v1, s4
	global_store_short v[6:7], v1, off
.LBB111_641:
	s_mov_b64 s[4:5], 0
.LBB111_642:
	s_andn2_b64 vcc, exec, s[4:5]
	s_cbranch_vccnz .LBB111_647
; %bb.643:
	v_mov_b32_e32 v1, 0
	v_cmp_gt_i16_sdwa s[8:9], s15, v1 src0_sel:BYTE_0 src1_sel:DWORD
	s_mov_b64 s[4:5], -1
	s_and_b64 vcc, exec, s[8:9]
	s_cbranch_vccz .LBB111_645
; %bb.644:
	s_lshl_b32 s4, s14, 16
	v_cvt_i32_f32_e32 v1, s4
	s_mov_b64 s[4:5], 0
	global_store_byte v[6:7], v1, off
.LBB111_645:
	s_andn2_b64 vcc, exec, s[4:5]
	s_cbranch_vccnz .LBB111_647
; %bb.646:
	s_lshl_b32 s4, s14, 16
	v_trunc_f32_e32 v1, s4
	s_mov_b32 s4, 0x2f800000
	v_mul_f32_e64 v3, |v1|, s4
	v_floor_f32_e32 v3, v3
	s_mov_b32 s4, 0xcf800000
	v_fma_f32 v3, v3, s4, |v1|
	v_cvt_u32_f32_e32 v3, v3
	v_ashrrev_i32_e32 v1, 31, v1
	v_xor_b32_e32 v3, v3, v1
	v_sub_u32_e32 v1, v3, v1
	global_store_byte v[6:7], v1, off
.LBB111_647:
.LBB111_648:
	v_mov_b32_e32 v1, s3
	v_add_co_u32_e32 v4, vcc, s2, v4
	v_addc_co_u32_e32 v5, vcc, 0, v1, vcc
	v_mov_b32_e32 v1, 11
	v_cmp_lt_i16_sdwa s[4:5], s15, v1 src0_sel:BYTE_0 src1_sel:DWORD
	s_and_b64 vcc, exec, s[4:5]
	s_cbranch_vccnz .LBB111_655
; %bb.649:
	v_mov_b32_e32 v1, 25
	v_cmp_gt_i16_sdwa s[4:5], s15, v1 src0_sel:BYTE_0 src1_sel:DWORD
	s_mov_b64 s[12:13], -1
	s_mov_b64 s[8:9], 0
	s_and_b64 vcc, exec, s[4:5]
	s_mov_b64 s[10:11], 0
	s_mov_b64 s[4:5], 0
	s_cbranch_vccz .LBB111_690
; %bb.650:
	v_mov_b32_e32 v1, 28
	v_cmp_gt_i16_sdwa s[4:5], s15, v1 src0_sel:BYTE_0 src1_sel:DWORD
	s_and_b64 vcc, exec, s[4:5]
	s_cbranch_vccz .LBB111_657
; %bb.651:
	v_mov_b32_e32 v1, 43
	v_cmp_gt_i16_sdwa s[4:5], s15, v1 src0_sel:BYTE_0 src1_sel:DWORD
	s_and_b64 vcc, exec, s[4:5]
	;; [unrolled: 5-line block ×3, first 2 shown]
	s_cbranch_vccz .LBB111_660
; %bb.653:
	v_mov_b32_e32 v1, 46
	v_cmp_eq_u16_sdwa s[10:11], s15, v1 src0_sel:BYTE_0 src1_sel:DWORD
	s_mov_b64 s[4:5], -1
	s_mov_b64 s[12:13], 0
	s_and_b64 vcc, exec, s[10:11]
	s_mov_b64 s[10:11], 0
	s_cbranch_vccz .LBB111_661
; %bb.654:
	s_and_b32 s4, 0xffff, s14
	v_mov_b32_e32 v1, s4
	global_store_dword v[4:5], v1, off
	s_mov_b64 s[4:5], 0
	s_mov_b64 s[10:11], -1
	s_branch .LBB111_661
.LBB111_655:
	s_mov_b64 s[10:11], 0
	s_cbranch_execnz .LBB111_740
.LBB111_656:
	s_andn2_b64 vcc, exec, s[10:11]
	s_cbranch_vccz .LBB111_778
	s_branch .LBB111_952
.LBB111_657:
	s_mov_b64 s[4:5], 0
	s_branch .LBB111_671
.LBB111_658:
	s_mov_b64 s[4:5], 0
	s_branch .LBB111_667
.LBB111_659:
	s_or_b64 s[0:1], s[6:7], exec
	s_trap 2
	s_cbranch_execz .LBB111_608
	s_branch .LBB111_609
.LBB111_660:
	s_mov_b64 s[4:5], 0
.LBB111_661:
	s_and_b64 vcc, exec, s[12:13]
	s_cbranch_vccz .LBB111_666
; %bb.662:
	v_mov_b32_e32 v1, 44
	v_cmp_eq_u16_sdwa s[12:13], s15, v1 src0_sel:BYTE_0 src1_sel:DWORD
	s_mov_b64 s[4:5], -1
	s_and_b64 vcc, exec, s[12:13]
	s_cbranch_vccz .LBB111_666
; %bb.663:
	s_and_b32 s5, 0xffff, s14
	s_bfe_u32 s4, s5, 0x80007
	s_cmpk_eq_i32 s4, 0xff
	v_mov_b32_e32 v1, 0xff
	s_cbranch_scc1 .LBB111_665
; %bb.664:
	s_lshr_b32 s12, s5, 7
	s_lshl_b32 s13, s5, 16
	s_bitcmp1_b32 s5, 6
	s_cselect_b64 s[10:11], -1, 0
	s_and_b32 s5, s13, 0x3f0000
	s_or_b32 s4, s4, s5
	s_cmp_lg_u32 s4, 0
	s_cselect_b64 s[4:5], -1, 0
	s_and_b64 s[4:5], s[10:11], s[4:5]
	v_cndmask_b32_e64 v1, 0, 1, s[4:5]
	v_add_u32_e32 v1, s12, v1
.LBB111_665:
	s_mov_b64 s[4:5], 0
	s_mov_b64 s[10:11], -1
	global_store_byte v[4:5], v1, off
.LBB111_666:
	s_mov_b64 s[12:13], 0
.LBB111_667:
	s_and_b64 vcc, exec, s[12:13]
	s_cbranch_vccz .LBB111_670
; %bb.668:
	v_mov_b32_e32 v1, 29
	v_cmp_eq_u16_sdwa s[12:13], s15, v1 src0_sel:BYTE_0 src1_sel:DWORD
	s_mov_b64 s[4:5], -1
	s_and_b64 vcc, exec, s[12:13]
	s_cbranch_vccz .LBB111_670
; %bb.669:
	s_lshl_b32 s4, s14, 16
	v_trunc_f32_e32 v1, s4
	v_mul_f32_e32 v3, 0x2f800000, v1
	v_floor_f32_e32 v3, v3
	v_fmac_f32_e32 v1, 0xcf800000, v3
	v_cvt_u32_f32_e32 v7, v3
	v_cvt_u32_f32_e32 v6, v1
	s_mov_b64 s[4:5], 0
	s_mov_b64 s[10:11], -1
	s_mov_b64 s[12:13], 0
	global_store_dwordx2 v[4:5], v[6:7], off
	s_branch .LBB111_671
.LBB111_670:
	s_mov_b64 s[12:13], 0
.LBB111_671:
	s_and_b64 vcc, exec, s[12:13]
	s_cbranch_vccz .LBB111_689
; %bb.672:
	v_mov_b32_e32 v1, 27
	v_cmp_lt_i16_sdwa s[12:13], s15, v1 src0_sel:BYTE_0 src1_sel:DWORD
	s_mov_b64 s[10:11], -1
	s_and_b64 vcc, exec, s[12:13]
	s_cbranch_vccnz .LBB111_678
; %bb.673:
	v_cmp_gt_i16_sdwa s[12:13], s15, v1 src0_sel:BYTE_0 src1_sel:DWORD
	s_and_b64 vcc, exec, s[12:13]
	s_cbranch_vccz .LBB111_675
; %bb.674:
	s_lshl_b32 s10, s14, 16
	v_cvt_u32_f32_e32 v1, s10
	s_mov_b64 s[10:11], 0
	global_store_dword v[4:5], v1, off
.LBB111_675:
	s_andn2_b64 vcc, exec, s[10:11]
	s_cbranch_vccnz .LBB111_677
; %bb.676:
	s_lshl_b32 s10, s14, 16
	v_cvt_u32_f32_e32 v1, s10
	global_store_short v[4:5], v1, off
.LBB111_677:
	s_mov_b64 s[10:11], 0
.LBB111_678:
	s_andn2_b64 vcc, exec, s[10:11]
	s_cbranch_vccnz .LBB111_688
; %bb.679:
	s_lshl_b32 s17, s14, 16
	s_and_b32 s10, s17, 0x7fffffff
	s_cmp_gt_u32 s10, 0x437fffff
	v_mov_b32_e32 v3, 0x80
	s_cbranch_scc1 .LBB111_687
; %bb.680:
	s_and_b32 s16, 0xffff, s14
	s_cmp_gt_u32 s10, 0x3bffffff
	s_cbranch_scc0 .LBB111_682
; %bb.681:
	s_bfe_u32 s10, s16, 0x10004
	s_add_i32 s10, s17, s10
	s_add_i32 s10, s10, 0x487ffff
	s_lshr_b32 s18, s10, 20
	s_mov_b64 s[12:13], 0
	s_mov_b64 s[10:11], -1
	s_branch .LBB111_683
.LBB111_682:
	s_mov_b64 s[12:13], -1
	s_mov_b64 s[10:11], 0
                                        ; implicit-def: $sgpr18
.LBB111_683:
	s_andn2_b64 vcc, exec, s[12:13]
	v_mov_b32_e32 v1, s18
                                        ; implicit-def: $sgpr12
	s_cbranch_vccnz .LBB111_685
; %bb.684:
	v_mov_b32_e32 v1, 0x46000000
	v_add_f32_e64 v1, |s17|, v1
	v_and_b32_e32 v1, 0xff, v1
	s_mov_b32 s12, 0
	v_cmp_ne_u32_e64 s[10:11], 0, v1
.LBB111_685:
	s_andn2_b64 vcc, exec, s[10:11]
	v_mov_b32_e32 v3, s12
	s_cbranch_vccnz .LBB111_687
; %bb.686:
	s_lshr_b32 s10, s16, 8
	s_and_b32 s10, s10, 0x80
	v_or_b32_e32 v3, s10, v1
.LBB111_687:
	global_store_byte v[4:5], v3, off
.LBB111_688:
	s_mov_b64 s[10:11], -1
.LBB111_689:
	s_mov_b64 s[12:13], 0
.LBB111_690:
	s_and_b64 vcc, exec, s[12:13]
	s_cbranch_vccz .LBB111_736
; %bb.691:
	v_mov_b32_e32 v1, 22
	v_cmp_gt_i16_sdwa s[12:13], s15, v1 src0_sel:BYTE_0 src1_sel:DWORD
	s_mov_b64 s[8:9], -1
	s_and_b64 vcc, exec, s[12:13]
	s_cbranch_vccz .LBB111_729
; %bb.692:
	v_mov_b32_e32 v1, 24
	v_cmp_lt_i16_sdwa s[10:11], s15, v1 src0_sel:BYTE_0 src1_sel:DWORD
	s_and_b64 vcc, exec, s[10:11]
	s_cbranch_vccnz .LBB111_716
; %bb.693:
	v_cmp_gt_i16_sdwa s[10:11], s15, v1 src0_sel:BYTE_0 src1_sel:DWORD
	s_and_b64 vcc, exec, s[10:11]
	s_cbranch_vccz .LBB111_703
; %bb.694:
	s_lshl_b32 s13, s14, 16
	s_and_b32 s8, s13, 0x7fffffff
	s_cmp_gt_u32 s8, 0x477fffff
	v_mov_b32_e32 v3, 0x80
	s_cbranch_scc1 .LBB111_702
; %bb.695:
	s_and_b32 s12, 0xffff, s14
	s_cmp_gt_u32 s8, 0x37ffffff
	s_cbranch_scc0 .LBB111_697
; %bb.696:
	s_bfe_u32 s8, s12, 0x10005
	s_add_i32 s8, s13, s8
	s_add_i32 s8, s8, 0x88fffff
	s_lshr_b32 s16, s8, 21
	s_mov_b64 s[10:11], 0
	s_mov_b64 s[8:9], -1
	s_branch .LBB111_698
.LBB111_697:
	s_mov_b64 s[10:11], -1
	s_mov_b64 s[8:9], 0
                                        ; implicit-def: $sgpr16
.LBB111_698:
	s_andn2_b64 vcc, exec, s[10:11]
	v_mov_b32_e32 v1, s16
                                        ; implicit-def: $sgpr10
	s_cbranch_vccnz .LBB111_700
; %bb.699:
	v_mov_b32_e32 v1, 0x42800000
	v_add_f32_e64 v1, |s13|, v1
	v_and_b32_e32 v1, 0xff, v1
	s_mov_b32 s10, 0
	v_cmp_ne_u32_e64 s[8:9], 0, v1
.LBB111_700:
	s_andn2_b64 vcc, exec, s[8:9]
	v_mov_b32_e32 v3, s10
	s_cbranch_vccnz .LBB111_702
; %bb.701:
	s_lshr_b32 s8, s12, 8
	s_and_b32 s8, s8, 0x80
	v_or_b32_e32 v3, s8, v1
.LBB111_702:
	s_mov_b64 s[8:9], 0
	global_store_byte v[4:5], v3, off
.LBB111_703:
	s_and_b64 vcc, exec, s[8:9]
	s_cbranch_vccz .LBB111_715
; %bb.704:
	s_lshl_b32 s12, s14, 16
	s_and_b32 s10, 0xffff, s14
	s_and_b32 s11, s12, 0x7fffffff
	s_cmp_lt_u32 s11, 0x43f00000
	s_cbranch_scc0 .LBB111_707
; %bb.705:
	s_cmp_gt_u32 s11, 0x3c7fffff
	s_cbranch_scc0 .LBB111_708
; %bb.706:
	s_bfe_u32 s8, s10, 0x10004
	s_add_i32 s8, s12, s8
	s_add_i32 s8, s8, 0x407ffff
	s_lshr_b32 s9, s8, 20
	s_and_b32 s8, s8, 0xff00000
	s_cmp_lg_u32 s8, 0x7f00000
	s_cselect_b32 s13, s9, 0x7e
	s_mov_b64 s[8:9], 0
	s_branch .LBB111_709
.LBB111_707:
	s_mov_b64 s[8:9], -1
                                        ; implicit-def: $vgpr1
	s_branch .LBB111_712
.LBB111_708:
	s_mov_b64 s[8:9], -1
                                        ; implicit-def: $sgpr13
.LBB111_709:
	s_andn2_b64 vcc, exec, s[8:9]
	v_mov_b32_e32 v1, s13
	s_cbranch_vccnz .LBB111_711
; %bb.710:
	v_mov_b32_e32 v1, 0x46800000
	v_add_f32_e64 v1, |s12|, v1
.LBB111_711:
	s_mov_b64 s[8:9], 0
.LBB111_712:
	s_andn2_b64 vcc, exec, s[8:9]
	s_cbranch_vccnz .LBB111_714
; %bb.713:
	s_cmp_gt_u32 s11, 0x7f800000
	s_movk_i32 s8, 0x7f
	s_cselect_b32 s8, s8, 0x7e
	v_mov_b32_e32 v1, s8
.LBB111_714:
	s_lshr_b32 s8, s10, 8
	s_and_b32 s8, s8, 0x80
	v_or_b32_e32 v1, s8, v1
	global_store_byte v[4:5], v1, off
.LBB111_715:
	s_mov_b64 s[8:9], 0
.LBB111_716:
	s_andn2_b64 vcc, exec, s[8:9]
	s_cbranch_vccnz .LBB111_728
; %bb.717:
	s_lshl_b32 s12, s14, 16
	s_and_b32 s10, 0xffff, s14
	s_and_b32 s11, s12, 0x7fffffff
	s_cmp_lt_u32 s11, 0x47800000
	s_cbranch_scc0 .LBB111_720
; %bb.718:
	s_cmp_gt_u32 s11, 0x387fffff
	s_cbranch_scc0 .LBB111_721
; %bb.719:
	s_bfe_u32 s8, s10, 0x10005
	s_add_i32 s8, s12, s8
	s_add_i32 s8, s8, 0x80fffff
	s_lshr_b32 s13, s8, 21
	s_mov_b64 s[8:9], 0
	s_branch .LBB111_722
.LBB111_720:
	s_mov_b64 s[8:9], -1
                                        ; implicit-def: $vgpr1
	s_branch .LBB111_725
.LBB111_721:
	s_mov_b64 s[8:9], -1
                                        ; implicit-def: $sgpr13
.LBB111_722:
	s_andn2_b64 vcc, exec, s[8:9]
	v_mov_b32_e32 v1, s13
	s_cbranch_vccnz .LBB111_724
; %bb.723:
	v_mov_b32_e32 v1, 0x43000000
	v_add_f32_e64 v1, |s12|, v1
.LBB111_724:
	s_mov_b64 s[8:9], 0
.LBB111_725:
	s_andn2_b64 vcc, exec, s[8:9]
	s_cbranch_vccnz .LBB111_727
; %bb.726:
	s_cmp_gt_u32 s11, 0x7f800000
	s_movk_i32 s8, 0x7f
	s_cselect_b32 s8, s8, 0x7c
	v_mov_b32_e32 v1, s8
.LBB111_727:
	s_lshr_b32 s8, s10, 8
	s_and_b32 s8, s8, 0x80
	v_or_b32_e32 v1, s8, v1
	global_store_byte v[4:5], v1, off
.LBB111_728:
	s_mov_b64 s[8:9], 0
	s_mov_b64 s[10:11], -1
.LBB111_729:
	s_andn2_b64 vcc, exec, s[8:9]
	s_mov_b64 s[8:9], 0
	s_cbranch_vccnz .LBB111_736
; %bb.730:
	v_mov_b32_e32 v1, 14
	v_cmp_gt_i16_sdwa s[8:9], s15, v1 src0_sel:BYTE_0 src1_sel:DWORD
	s_mov_b64 s[12:13], -1
	s_and_b64 vcc, exec, s[8:9]
	s_cbranch_vccz .LBB111_734
; %bb.731:
	v_mov_b32_e32 v1, 15
	v_cmp_eq_u16_sdwa s[8:9], s15, v1 src0_sel:BYTE_0 src1_sel:DWORD
	s_mov_b64 s[4:5], -1
	s_and_b64 vcc, exec, s[8:9]
	s_cbranch_vccz .LBB111_733
; %bb.732:
	v_mov_b32_e32 v1, s14
	global_store_short v[4:5], v1, off
	s_mov_b64 s[4:5], 0
	s_mov_b64 s[10:11], -1
.LBB111_733:
	s_mov_b64 s[12:13], 0
.LBB111_734:
	s_mov_b64 s[8:9], 0
	s_and_b64 vcc, exec, s[12:13]
	s_cbranch_vccz .LBB111_736
; %bb.735:
	v_mov_b32_e32 v1, 11
	v_cmp_ne_u16_sdwa s[4:5], s15, v1 src0_sel:BYTE_0 src1_sel:DWORD
	s_mov_b64 s[8:9], -1
.LBB111_736:
	s_and_b64 vcc, exec, s[4:5]
	s_cbranch_vccnz .LBB111_819
; %bb.737:
	s_andn2_b64 vcc, exec, s[8:9]
	s_cbranch_vccnz .LBB111_739
.LBB111_738:
	v_mov_b32_e32 v1, 0x7fff
	v_and_b32_e32 v1, s14, v1
	v_cmp_ne_u16_e32 vcc, 0, v1
	v_cndmask_b32_e64 v1, 0, 1, vcc
	s_mov_b64 s[10:11], -1
	global_store_byte v[4:5], v1, off
.LBB111_739:
	s_branch .LBB111_656
.LBB111_740:
	v_mov_b32_e32 v1, 5
	v_cmp_lt_i16_sdwa s[8:9], s15, v1 src0_sel:BYTE_0 src1_sel:DWORD
	s_mov_b64 s[4:5], -1
	s_and_b64 vcc, exec, s[8:9]
	s_cbranch_vccnz .LBB111_761
; %bb.741:
	v_mov_b32_e32 v1, 8
	v_cmp_lt_i16_sdwa s[8:9], s15, v1 src0_sel:BYTE_0 src1_sel:DWORD
	s_and_b64 vcc, exec, s[8:9]
	s_cbranch_vccnz .LBB111_751
; %bb.742:
	v_mov_b32_e32 v1, 9
	v_cmp_lt_i16_sdwa s[8:9], s15, v1 src0_sel:BYTE_0 src1_sel:DWORD
	s_and_b64 vcc, exec, s[8:9]
	s_cbranch_vccnz .LBB111_748
; %bb.743:
	v_cmp_gt_i16_sdwa s[8:9], s15, v1 src0_sel:BYTE_0 src1_sel:DWORD
	s_and_b64 vcc, exec, s[8:9]
	s_cbranch_vccz .LBB111_745
; %bb.744:
	s_lshl_b32 s4, s14, 16
	v_mov_b32_e32 v8, 0
	v_cvt_f64_f32_e32 v[6:7], s4
	v_mov_b32_e32 v9, v8
	global_store_dwordx4 v[4:5], v[6:9], off
	s_mov_b64 s[4:5], 0
.LBB111_745:
	s_andn2_b64 vcc, exec, s[4:5]
	s_cbranch_vccnz .LBB111_747
; %bb.746:
	s_lshl_b32 s4, s14, 16
	v_mov_b32_e32 v6, s4
	v_mov_b32_e32 v7, 0
	global_store_dwordx2 v[4:5], v[6:7], off
.LBB111_747:
	s_mov_b64 s[4:5], 0
.LBB111_748:
	s_andn2_b64 vcc, exec, s[4:5]
	s_cbranch_vccnz .LBB111_750
; %bb.749:
	s_lshl_b32 s4, s14, 16
	v_cvt_f16_f32_e32 v1, s4
	global_store_dword v[4:5], v1, off
.LBB111_750:
	s_mov_b64 s[4:5], 0
.LBB111_751:
	s_andn2_b64 vcc, exec, s[4:5]
	s_cbranch_vccnz .LBB111_760
; %bb.752:
	v_mov_b32_e32 v1, 6
	v_cmp_lt_i16_sdwa s[8:9], s15, v1 src0_sel:BYTE_0 src1_sel:DWORD
	s_mov_b64 s[4:5], -1
	s_and_b64 vcc, exec, s[8:9]
	s_cbranch_vccnz .LBB111_758
; %bb.753:
	v_cmp_gt_i16_sdwa s[8:9], s15, v1 src0_sel:BYTE_0 src1_sel:DWORD
	s_and_b64 vcc, exec, s[8:9]
	s_cbranch_vccz .LBB111_755
; %bb.754:
	s_lshl_b32 s4, s14, 16
	v_cvt_f64_f32_e32 v[6:7], s4
	global_store_dwordx2 v[4:5], v[6:7], off
	s_mov_b64 s[4:5], 0
.LBB111_755:
	s_andn2_b64 vcc, exec, s[4:5]
	s_cbranch_vccnz .LBB111_757
; %bb.756:
	s_lshl_b32 s4, s14, 16
	v_mov_b32_e32 v1, s4
	global_store_dword v[4:5], v1, off
.LBB111_757:
	s_mov_b64 s[4:5], 0
.LBB111_758:
	s_andn2_b64 vcc, exec, s[4:5]
	s_cbranch_vccnz .LBB111_760
; %bb.759:
	s_lshl_b32 s4, s14, 16
	v_cvt_f16_f32_e32 v1, s4
	global_store_short v[4:5], v1, off
.LBB111_760:
	s_mov_b64 s[4:5], 0
.LBB111_761:
	s_andn2_b64 vcc, exec, s[4:5]
	s_cbranch_vccnz .LBB111_777
; %bb.762:
	v_mov_b32_e32 v1, 2
	v_cmp_lt_i16_sdwa s[8:9], s15, v1 src0_sel:BYTE_0 src1_sel:DWORD
	s_mov_b64 s[4:5], -1
	s_and_b64 vcc, exec, s[8:9]
	s_cbranch_vccnz .LBB111_772
; %bb.763:
	v_mov_b32_e32 v1, 3
	v_cmp_lt_i16_sdwa s[8:9], s15, v1 src0_sel:BYTE_0 src1_sel:DWORD
	s_and_b64 vcc, exec, s[8:9]
	s_cbranch_vccnz .LBB111_769
; %bb.764:
	v_cmp_gt_i16_sdwa s[8:9], s15, v1 src0_sel:BYTE_0 src1_sel:DWORD
	s_and_b64 vcc, exec, s[8:9]
	s_cbranch_vccz .LBB111_766
; %bb.765:
	s_lshl_b32 s4, s14, 16
	v_trunc_f32_e32 v1, s4
	s_mov_b32 s4, 0x2f800000
	v_mul_f32_e64 v3, |v1|, s4
	v_floor_f32_e32 v3, v3
	s_mov_b32 s4, 0xcf800000
	v_fma_f32 v6, v3, s4, |v1|
	v_cvt_u32_f32_e32 v6, v6
	v_cvt_u32_f32_e32 v3, v3
	v_ashrrev_i32_e32 v1, 31, v1
	s_mov_b64 s[4:5], 0
	v_xor_b32_e32 v6, v6, v1
	v_xor_b32_e32 v3, v3, v1
	v_sub_co_u32_e32 v6, vcc, v6, v1
	v_subb_co_u32_e32 v7, vcc, v3, v1, vcc
	global_store_dwordx2 v[4:5], v[6:7], off
.LBB111_766:
	s_andn2_b64 vcc, exec, s[4:5]
	s_cbranch_vccnz .LBB111_768
; %bb.767:
	s_lshl_b32 s4, s14, 16
	v_cvt_i32_f32_e32 v1, s4
	global_store_dword v[4:5], v1, off
.LBB111_768:
	s_mov_b64 s[4:5], 0
.LBB111_769:
	s_andn2_b64 vcc, exec, s[4:5]
	s_cbranch_vccnz .LBB111_771
; %bb.770:
	s_lshl_b32 s4, s14, 16
	v_cvt_i32_f32_e32 v1, s4
	global_store_short v[4:5], v1, off
.LBB111_771:
	s_mov_b64 s[4:5], 0
.LBB111_772:
	s_andn2_b64 vcc, exec, s[4:5]
	s_cbranch_vccnz .LBB111_777
; %bb.773:
	v_mov_b32_e32 v1, 0
	v_cmp_gt_i16_sdwa s[8:9], s15, v1 src0_sel:BYTE_0 src1_sel:DWORD
	s_mov_b64 s[4:5], -1
	s_and_b64 vcc, exec, s[8:9]
	s_cbranch_vccz .LBB111_775
; %bb.774:
	s_lshl_b32 s4, s14, 16
	v_cvt_i32_f32_e32 v1, s4
	s_mov_b64 s[4:5], 0
	global_store_byte v[4:5], v1, off
.LBB111_775:
	s_andn2_b64 vcc, exec, s[4:5]
	s_cbranch_vccnz .LBB111_777
; %bb.776:
	s_lshl_b32 s4, s14, 16
	v_trunc_f32_e32 v1, s4
	s_mov_b32 s4, 0x2f800000
	v_mul_f32_e64 v3, |v1|, s4
	v_floor_f32_e32 v3, v3
	s_mov_b32 s4, 0xcf800000
	v_fma_f32 v3, v3, s4, |v1|
	v_cvt_u32_f32_e32 v3, v3
	v_ashrrev_i32_e32 v1, 31, v1
	v_xor_b32_e32 v3, v3, v1
	v_sub_u32_e32 v1, v3, v1
	global_store_byte v[4:5], v1, off
.LBB111_777:
.LBB111_778:
	v_mov_b32_e32 v1, s3
	v_add_co_u32_e32 v2, vcc, s2, v2
	v_addc_co_u32_e32 v3, vcc, 0, v1, vcc
	v_mov_b32_e32 v1, 11
	v_cmp_lt_i16_sdwa s[4:5], s15, v1 src0_sel:BYTE_0 src1_sel:DWORD
	s_and_b64 vcc, exec, s[4:5]
	s_cbranch_vccnz .LBB111_785
; %bb.779:
	v_mov_b32_e32 v1, 25
	v_cmp_gt_i16_sdwa s[4:5], s15, v1 src0_sel:BYTE_0 src1_sel:DWORD
	s_mov_b64 s[12:13], -1
	s_mov_b64 s[8:9], 0
	s_and_b64 vcc, exec, s[4:5]
	s_mov_b64 s[10:11], 0
	s_mov_b64 s[4:5], 0
	s_cbranch_vccz .LBB111_850
; %bb.780:
	v_mov_b32_e32 v1, 28
	v_cmp_gt_i16_sdwa s[4:5], s15, v1 src0_sel:BYTE_0 src1_sel:DWORD
	s_and_b64 vcc, exec, s[4:5]
	s_cbranch_vccz .LBB111_817
; %bb.781:
	v_mov_b32_e32 v1, 43
	v_cmp_gt_i16_sdwa s[4:5], s15, v1 src0_sel:BYTE_0 src1_sel:DWORD
	s_and_b64 vcc, exec, s[4:5]
	;; [unrolled: 5-line block ×3, first 2 shown]
	s_cbranch_vccz .LBB111_820
; %bb.783:
	v_mov_b32_e32 v1, 46
	v_cmp_eq_u16_sdwa s[10:11], s15, v1 src0_sel:BYTE_0 src1_sel:DWORD
	s_mov_b64 s[4:5], -1
	s_mov_b64 s[12:13], 0
	s_and_b64 vcc, exec, s[10:11]
	s_mov_b64 s[10:11], 0
	s_cbranch_vccz .LBB111_821
; %bb.784:
	s_and_b32 s4, 0xffff, s14
	v_mov_b32_e32 v1, s4
	global_store_dword v[2:3], v1, off
	s_mov_b64 s[4:5], 0
	s_mov_b64 s[10:11], -1
	s_branch .LBB111_821
.LBB111_785:
	s_mov_b64 s[10:11], 0
	s_cbranch_execnz .LBB111_914
.LBB111_786:
	s_andn2_b64 vcc, exec, s[10:11]
	s_cbranch_vccnz .LBB111_952
.LBB111_787:
	v_mov_b32_e32 v1, s3
	v_add_co_u32_e32 v0, vcc, s2, v0
	v_mov_b32_e32 v2, 0xff
	v_addc_co_u32_e32 v1, vcc, 0, v1, vcc
	v_and_b32_e32 v2, s15, v2
	v_cmp_gt_i16_e32 vcc, 11, v2
	s_cbranch_vccnz .LBB111_816
; %bb.788:
	v_cmp_lt_i16_e32 vcc, 25, v2
	s_mov_b64 s[8:9], -1
	s_mov_b64 s[4:5], 0
	s_mov_b64 s[2:3], 0
	s_cbranch_vccz .LBB111_864
; %bb.789:
	v_cmp_lt_i16_e32 vcc, 28, v2
	s_cbranch_vccz .LBB111_805
; %bb.790:
	v_cmp_lt_i16_e32 vcc, 43, v2
	;; [unrolled: 3-line block ×3, first 2 shown]
	s_cbranch_vccz .LBB111_795
; %bb.792:
	v_cmp_eq_u16_e32 vcc, 46, v2
	s_mov_b64 s[2:3], -1
	s_cbranch_vccz .LBB111_794
; %bb.793:
	s_and_b32 s2, 0xffff, s14
	v_mov_b32_e32 v3, s2
	global_store_dword v[0:1], v3, off
	s_mov_b64 s[2:3], 0
.LBB111_794:
	s_mov_b64 s[8:9], 0
.LBB111_795:
	s_and_b64 vcc, exec, s[8:9]
	s_cbranch_vccz .LBB111_800
; %bb.796:
	v_cmp_eq_u16_e32 vcc, 44, v2
	s_mov_b64 s[2:3], -1
	s_cbranch_vccz .LBB111_800
; %bb.797:
	s_and_b32 s3, 0xffff, s14
	s_bfe_u32 s2, s3, 0x80007
	s_cmpk_eq_i32 s2, 0xff
	v_mov_b32_e32 v3, 0xff
	s_cbranch_scc1 .LBB111_799
; %bb.798:
	s_lshr_b32 s10, s3, 7
	s_lshl_b32 s11, s3, 16
	s_bitcmp1_b32 s3, 6
	s_cselect_b64 s[8:9], -1, 0
	s_and_b32 s3, s11, 0x3f0000
	s_or_b32 s2, s2, s3
	s_cmp_lg_u32 s2, 0
	s_cselect_b64 s[2:3], -1, 0
	s_and_b64 s[2:3], s[8:9], s[2:3]
	v_cndmask_b32_e64 v3, 0, 1, s[2:3]
	v_add_u32_e32 v3, s10, v3
.LBB111_799:
	s_mov_b64 s[2:3], 0
	global_store_byte v[0:1], v3, off
.LBB111_800:
	s_mov_b64 s[8:9], 0
.LBB111_801:
	s_and_b64 vcc, exec, s[8:9]
	s_cbranch_vccz .LBB111_804
; %bb.802:
	v_cmp_eq_u16_e32 vcc, 29, v2
	s_mov_b64 s[2:3], -1
	s_cbranch_vccz .LBB111_804
; %bb.803:
	s_lshl_b32 s2, s14, 16
	v_trunc_f32_e32 v3, s2
	v_mul_f32_e32 v4, 0x2f800000, v3
	v_floor_f32_e32 v4, v4
	v_fmac_f32_e32 v3, 0xcf800000, v4
	v_cvt_u32_f32_e32 v5, v4
	v_cvt_u32_f32_e32 v4, v3
	s_mov_b64 s[2:3], 0
	global_store_dwordx2 v[0:1], v[4:5], off
.LBB111_804:
	s_mov_b64 s[8:9], 0
.LBB111_805:
	s_and_b64 vcc, exec, s[8:9]
	s_cbranch_vccz .LBB111_863
; %bb.806:
	v_cmp_gt_i16_e32 vcc, 27, v2
	s_mov_b64 s[8:9], -1
	s_cbranch_vccnz .LBB111_812
; %bb.807:
	v_cmp_lt_i16_e32 vcc, 27, v2
	s_cbranch_vccz .LBB111_809
; %bb.808:
	s_lshl_b32 s8, s14, 16
	v_cvt_u32_f32_e32 v3, s8
	s_mov_b64 s[8:9], 0
	global_store_dword v[0:1], v3, off
.LBB111_809:
	s_andn2_b64 vcc, exec, s[8:9]
	s_cbranch_vccnz .LBB111_811
; %bb.810:
	s_lshl_b32 s8, s14, 16
	v_cvt_u32_f32_e32 v3, s8
	global_store_short v[0:1], v3, off
.LBB111_811:
	s_mov_b64 s[8:9], 0
.LBB111_812:
	s_andn2_b64 vcc, exec, s[8:9]
	s_cbranch_vccnz .LBB111_863
; %bb.813:
	s_lshl_b32 s13, s14, 16
	s_and_b32 s8, s13, 0x7fffffff
	s_cmp_gt_u32 s8, 0x437fffff
	v_mov_b32_e32 v4, 0x80
	s_cbranch_scc1 .LBB111_862
; %bb.814:
	s_and_b32 s12, 0xffff, s14
	s_cmp_gt_u32 s8, 0x3bffffff
	s_cbranch_scc0 .LBB111_857
; %bb.815:
	s_bfe_u32 s8, s12, 0x10004
	s_add_i32 s8, s13, s8
	s_add_i32 s8, s8, 0x487ffff
	s_lshr_b32 s15, s8, 20
	s_mov_b64 s[10:11], 0
	s_mov_b64 s[8:9], -1
	s_branch .LBB111_858
.LBB111_816:
	s_mov_b64 s[4:5], 0
	s_mov_b64 s[2:3], -1
	s_branch .LBB111_953
.LBB111_817:
	s_mov_b64 s[4:5], 0
	s_branch .LBB111_831
.LBB111_818:
	s_mov_b64 s[4:5], 0
	s_branch .LBB111_827
.LBB111_819:
	s_trap 2
	s_or_b64 s[0:1], s[0:1], exec
	s_cbranch_execz .LBB111_738
	s_branch .LBB111_739
.LBB111_820:
	s_mov_b64 s[4:5], 0
.LBB111_821:
	s_and_b64 vcc, exec, s[12:13]
	s_cbranch_vccz .LBB111_826
; %bb.822:
	v_mov_b32_e32 v1, 44
	v_cmp_eq_u16_sdwa s[12:13], s15, v1 src0_sel:BYTE_0 src1_sel:DWORD
	s_mov_b64 s[4:5], -1
	s_and_b64 vcc, exec, s[12:13]
	s_cbranch_vccz .LBB111_826
; %bb.823:
	s_and_b32 s5, 0xffff, s14
	s_bfe_u32 s4, s5, 0x80007
	s_cmpk_eq_i32 s4, 0xff
	v_mov_b32_e32 v1, 0xff
	s_cbranch_scc1 .LBB111_825
; %bb.824:
	s_lshr_b32 s12, s5, 7
	s_lshl_b32 s13, s5, 16
	s_bitcmp1_b32 s5, 6
	s_cselect_b64 s[10:11], -1, 0
	s_and_b32 s5, s13, 0x3f0000
	s_or_b32 s4, s4, s5
	s_cmp_lg_u32 s4, 0
	s_cselect_b64 s[4:5], -1, 0
	s_and_b64 s[4:5], s[10:11], s[4:5]
	v_cndmask_b32_e64 v1, 0, 1, s[4:5]
	v_add_u32_e32 v1, s12, v1
.LBB111_825:
	s_mov_b64 s[4:5], 0
	s_mov_b64 s[10:11], -1
	global_store_byte v[2:3], v1, off
.LBB111_826:
	s_mov_b64 s[12:13], 0
.LBB111_827:
	s_and_b64 vcc, exec, s[12:13]
	s_cbranch_vccz .LBB111_830
; %bb.828:
	v_mov_b32_e32 v1, 29
	v_cmp_eq_u16_sdwa s[12:13], s15, v1 src0_sel:BYTE_0 src1_sel:DWORD
	s_mov_b64 s[4:5], -1
	s_and_b64 vcc, exec, s[12:13]
	s_cbranch_vccz .LBB111_830
; %bb.829:
	s_lshl_b32 s4, s14, 16
	v_trunc_f32_e32 v1, s4
	v_mul_f32_e32 v4, 0x2f800000, v1
	v_floor_f32_e32 v4, v4
	v_fmac_f32_e32 v1, 0xcf800000, v4
	v_cvt_u32_f32_e32 v5, v4
	v_cvt_u32_f32_e32 v4, v1
	s_mov_b64 s[4:5], 0
	s_mov_b64 s[10:11], -1
	s_mov_b64 s[12:13], 0
	global_store_dwordx2 v[2:3], v[4:5], off
	s_branch .LBB111_831
.LBB111_830:
	s_mov_b64 s[12:13], 0
.LBB111_831:
	s_and_b64 vcc, exec, s[12:13]
	s_cbranch_vccz .LBB111_849
; %bb.832:
	v_mov_b32_e32 v1, 27
	v_cmp_lt_i16_sdwa s[12:13], s15, v1 src0_sel:BYTE_0 src1_sel:DWORD
	s_mov_b64 s[10:11], -1
	s_and_b64 vcc, exec, s[12:13]
	s_cbranch_vccnz .LBB111_838
; %bb.833:
	v_cmp_gt_i16_sdwa s[12:13], s15, v1 src0_sel:BYTE_0 src1_sel:DWORD
	s_and_b64 vcc, exec, s[12:13]
	s_cbranch_vccz .LBB111_835
; %bb.834:
	s_lshl_b32 s10, s14, 16
	v_cvt_u32_f32_e32 v1, s10
	s_mov_b64 s[10:11], 0
	global_store_dword v[2:3], v1, off
.LBB111_835:
	s_andn2_b64 vcc, exec, s[10:11]
	s_cbranch_vccnz .LBB111_837
; %bb.836:
	s_lshl_b32 s10, s14, 16
	v_cvt_u32_f32_e32 v1, s10
	global_store_short v[2:3], v1, off
.LBB111_837:
	s_mov_b64 s[10:11], 0
.LBB111_838:
	s_andn2_b64 vcc, exec, s[10:11]
	s_cbranch_vccnz .LBB111_848
; %bb.839:
	s_lshl_b32 s17, s14, 16
	s_and_b32 s10, s17, 0x7fffffff
	s_cmp_gt_u32 s10, 0x437fffff
	v_mov_b32_e32 v4, 0x80
	s_cbranch_scc1 .LBB111_847
; %bb.840:
	s_and_b32 s16, 0xffff, s14
	s_cmp_gt_u32 s10, 0x3bffffff
	s_cbranch_scc0 .LBB111_842
; %bb.841:
	s_bfe_u32 s10, s16, 0x10004
	s_add_i32 s10, s17, s10
	s_add_i32 s10, s10, 0x487ffff
	s_lshr_b32 s18, s10, 20
	s_mov_b64 s[12:13], 0
	s_mov_b64 s[10:11], -1
	s_branch .LBB111_843
.LBB111_842:
	s_mov_b64 s[12:13], -1
	s_mov_b64 s[10:11], 0
                                        ; implicit-def: $sgpr18
.LBB111_843:
	s_andn2_b64 vcc, exec, s[12:13]
	v_mov_b32_e32 v1, s18
                                        ; implicit-def: $sgpr12
	s_cbranch_vccnz .LBB111_845
; %bb.844:
	v_mov_b32_e32 v1, 0x46000000
	v_add_f32_e64 v1, |s17|, v1
	v_and_b32_e32 v1, 0xff, v1
	s_mov_b32 s12, 0
	v_cmp_ne_u32_e64 s[10:11], 0, v1
.LBB111_845:
	s_andn2_b64 vcc, exec, s[10:11]
	v_mov_b32_e32 v4, s12
	s_cbranch_vccnz .LBB111_847
; %bb.846:
	s_lshr_b32 s10, s16, 8
	s_and_b32 s10, s10, 0x80
	v_or_b32_e32 v4, s10, v1
.LBB111_847:
	global_store_byte v[2:3], v4, off
.LBB111_848:
	s_mov_b64 s[10:11], -1
.LBB111_849:
	s_mov_b64 s[12:13], 0
.LBB111_850:
	s_and_b64 vcc, exec, s[12:13]
	s_cbranch_vccz .LBB111_910
; %bb.851:
	v_mov_b32_e32 v1, 22
	v_cmp_gt_i16_sdwa s[12:13], s15, v1 src0_sel:BYTE_0 src1_sel:DWORD
	s_mov_b64 s[8:9], -1
	s_and_b64 vcc, exec, s[12:13]
	s_cbranch_vccz .LBB111_903
; %bb.852:
	v_mov_b32_e32 v1, 24
	v_cmp_lt_i16_sdwa s[10:11], s15, v1 src0_sel:BYTE_0 src1_sel:DWORD
	s_and_b64 vcc, exec, s[10:11]
	s_cbranch_vccnz .LBB111_890
; %bb.853:
	v_cmp_gt_i16_sdwa s[10:11], s15, v1 src0_sel:BYTE_0 src1_sel:DWORD
	s_and_b64 vcc, exec, s[10:11]
	s_cbranch_vccz .LBB111_877
; %bb.854:
	s_lshl_b32 s13, s14, 16
	s_and_b32 s8, s13, 0x7fffffff
	s_cmp_gt_u32 s8, 0x477fffff
	v_mov_b32_e32 v4, 0x80
	s_cbranch_scc1 .LBB111_876
; %bb.855:
	s_and_b32 s12, 0xffff, s14
	s_cmp_gt_u32 s8, 0x37ffffff
	s_cbranch_scc0 .LBB111_871
; %bb.856:
	s_bfe_u32 s8, s12, 0x10005
	s_add_i32 s8, s13, s8
	s_add_i32 s8, s8, 0x88fffff
	s_lshr_b32 s16, s8, 21
	s_mov_b64 s[10:11], 0
	s_mov_b64 s[8:9], -1
	s_branch .LBB111_872
.LBB111_857:
	s_mov_b64 s[10:11], -1
	s_mov_b64 s[8:9], 0
                                        ; implicit-def: $sgpr15
.LBB111_858:
	s_andn2_b64 vcc, exec, s[10:11]
	v_mov_b32_e32 v3, s15
                                        ; implicit-def: $sgpr10
	s_cbranch_vccnz .LBB111_860
; %bb.859:
	v_mov_b32_e32 v3, 0x46000000
	v_add_f32_e64 v3, |s13|, v3
	v_and_b32_e32 v3, 0xff, v3
	s_mov_b32 s10, 0
	v_cmp_ne_u32_e64 s[8:9], 0, v3
.LBB111_860:
	s_andn2_b64 vcc, exec, s[8:9]
	v_mov_b32_e32 v4, s10
	s_cbranch_vccnz .LBB111_862
; %bb.861:
	s_lshr_b32 s8, s12, 8
	s_and_b32 s8, s8, 0x80
	v_or_b32_e32 v4, s8, v3
.LBB111_862:
	global_store_byte v[0:1], v4, off
.LBB111_863:
	s_mov_b64 s[8:9], 0
.LBB111_864:
	s_and_b64 vcc, exec, s[8:9]
	s_cbranch_vccz .LBB111_1037
; %bb.865:
	v_cmp_lt_i16_e32 vcc, 22, v2
	s_mov_b64 s[4:5], -1
	s_cbranch_vccz .LBB111_1030
; %bb.866:
	v_cmp_gt_i16_e32 vcc, 24, v2
	s_cbranch_vccnz .LBB111_1017
; %bb.867:
	v_cmp_lt_i16_e32 vcc, 24, v2
	s_cbranch_vccz .LBB111_1004
; %bb.868:
	s_lshl_b32 s11, s14, 16
	s_and_b32 s4, s11, 0x7fffffff
	s_cmp_gt_u32 s4, 0x477fffff
	v_mov_b32_e32 v4, 0x80
	s_cbranch_scc1 .LBB111_1003
; %bb.869:
	s_and_b32 s10, 0xffff, s14
	s_cmp_gt_u32 s4, 0x37ffffff
	s_cbranch_scc0 .LBB111_998
; %bb.870:
	s_bfe_u32 s4, s10, 0x10005
	s_add_i32 s4, s11, s4
	s_add_i32 s4, s4, 0x88fffff
	s_lshr_b32 s12, s4, 21
	s_mov_b64 s[8:9], 0
	s_mov_b64 s[4:5], -1
	s_branch .LBB111_999
.LBB111_871:
	s_mov_b64 s[10:11], -1
	s_mov_b64 s[8:9], 0
                                        ; implicit-def: $sgpr16
.LBB111_872:
	s_andn2_b64 vcc, exec, s[10:11]
	v_mov_b32_e32 v1, s16
                                        ; implicit-def: $sgpr10
	s_cbranch_vccnz .LBB111_874
; %bb.873:
	v_mov_b32_e32 v1, 0x42800000
	v_add_f32_e64 v1, |s13|, v1
	v_and_b32_e32 v1, 0xff, v1
	s_mov_b32 s10, 0
	v_cmp_ne_u32_e64 s[8:9], 0, v1
.LBB111_874:
	s_andn2_b64 vcc, exec, s[8:9]
	v_mov_b32_e32 v4, s10
	s_cbranch_vccnz .LBB111_876
; %bb.875:
	s_lshr_b32 s8, s12, 8
	s_and_b32 s8, s8, 0x80
	v_or_b32_e32 v4, s8, v1
.LBB111_876:
	s_mov_b64 s[8:9], 0
	global_store_byte v[2:3], v4, off
.LBB111_877:
	s_and_b64 vcc, exec, s[8:9]
	s_cbranch_vccz .LBB111_889
; %bb.878:
	s_lshl_b32 s12, s14, 16
	s_and_b32 s10, 0xffff, s14
	s_and_b32 s11, s12, 0x7fffffff
	s_cmp_lt_u32 s11, 0x43f00000
	s_cbranch_scc0 .LBB111_881
; %bb.879:
	s_cmp_gt_u32 s11, 0x3c7fffff
	s_cbranch_scc0 .LBB111_882
; %bb.880:
	s_bfe_u32 s8, s10, 0x10004
	s_add_i32 s8, s12, s8
	s_add_i32 s8, s8, 0x407ffff
	s_lshr_b32 s9, s8, 20
	s_and_b32 s8, s8, 0xff00000
	s_cmp_lg_u32 s8, 0x7f00000
	s_cselect_b32 s13, s9, 0x7e
	s_mov_b64 s[8:9], 0
	s_branch .LBB111_883
.LBB111_881:
	s_mov_b64 s[8:9], -1
                                        ; implicit-def: $vgpr1
	s_branch .LBB111_886
.LBB111_882:
	s_mov_b64 s[8:9], -1
                                        ; implicit-def: $sgpr13
.LBB111_883:
	s_andn2_b64 vcc, exec, s[8:9]
	v_mov_b32_e32 v1, s13
	s_cbranch_vccnz .LBB111_885
; %bb.884:
	v_mov_b32_e32 v1, 0x46800000
	v_add_f32_e64 v1, |s12|, v1
.LBB111_885:
	s_mov_b64 s[8:9], 0
.LBB111_886:
	s_andn2_b64 vcc, exec, s[8:9]
	s_cbranch_vccnz .LBB111_888
; %bb.887:
	s_cmp_gt_u32 s11, 0x7f800000
	s_movk_i32 s8, 0x7f
	s_cselect_b32 s8, s8, 0x7e
	v_mov_b32_e32 v1, s8
.LBB111_888:
	s_lshr_b32 s8, s10, 8
	s_and_b32 s8, s8, 0x80
	v_or_b32_e32 v1, s8, v1
	global_store_byte v[2:3], v1, off
.LBB111_889:
	s_mov_b64 s[8:9], 0
.LBB111_890:
	s_andn2_b64 vcc, exec, s[8:9]
	s_cbranch_vccnz .LBB111_902
; %bb.891:
	s_lshl_b32 s12, s14, 16
	s_and_b32 s10, 0xffff, s14
	s_and_b32 s11, s12, 0x7fffffff
	s_cmp_lt_u32 s11, 0x47800000
	s_cbranch_scc0 .LBB111_894
; %bb.892:
	s_cmp_gt_u32 s11, 0x387fffff
	s_cbranch_scc0 .LBB111_895
; %bb.893:
	s_bfe_u32 s8, s10, 0x10005
	s_add_i32 s8, s12, s8
	s_add_i32 s8, s8, 0x80fffff
	s_lshr_b32 s13, s8, 21
	s_mov_b64 s[8:9], 0
	s_branch .LBB111_896
.LBB111_894:
	s_mov_b64 s[8:9], -1
                                        ; implicit-def: $vgpr1
	s_branch .LBB111_899
.LBB111_895:
	s_mov_b64 s[8:9], -1
                                        ; implicit-def: $sgpr13
.LBB111_896:
	s_andn2_b64 vcc, exec, s[8:9]
	v_mov_b32_e32 v1, s13
	s_cbranch_vccnz .LBB111_898
; %bb.897:
	v_mov_b32_e32 v1, 0x43000000
	v_add_f32_e64 v1, |s12|, v1
.LBB111_898:
	s_mov_b64 s[8:9], 0
.LBB111_899:
	s_andn2_b64 vcc, exec, s[8:9]
	s_cbranch_vccnz .LBB111_901
; %bb.900:
	s_cmp_gt_u32 s11, 0x7f800000
	s_movk_i32 s8, 0x7f
	s_cselect_b32 s8, s8, 0x7c
	v_mov_b32_e32 v1, s8
.LBB111_901:
	s_lshr_b32 s8, s10, 8
	s_and_b32 s8, s8, 0x80
	v_or_b32_e32 v1, s8, v1
	global_store_byte v[2:3], v1, off
.LBB111_902:
	s_mov_b64 s[8:9], 0
	s_mov_b64 s[10:11], -1
.LBB111_903:
	s_andn2_b64 vcc, exec, s[8:9]
	s_mov_b64 s[8:9], 0
	s_cbranch_vccnz .LBB111_910
; %bb.904:
	v_mov_b32_e32 v1, 14
	v_cmp_gt_i16_sdwa s[8:9], s15, v1 src0_sel:BYTE_0 src1_sel:DWORD
	s_mov_b64 s[12:13], -1
	s_and_b64 vcc, exec, s[8:9]
	s_cbranch_vccz .LBB111_908
; %bb.905:
	v_mov_b32_e32 v1, 15
	v_cmp_eq_u16_sdwa s[8:9], s15, v1 src0_sel:BYTE_0 src1_sel:DWORD
	s_mov_b64 s[4:5], -1
	s_and_b64 vcc, exec, s[8:9]
	s_cbranch_vccz .LBB111_907
; %bb.906:
	v_mov_b32_e32 v1, s14
	global_store_short v[2:3], v1, off
	s_mov_b64 s[4:5], 0
	s_mov_b64 s[10:11], -1
.LBB111_907:
	s_mov_b64 s[12:13], 0
.LBB111_908:
	s_mov_b64 s[8:9], 0
	s_and_b64 vcc, exec, s[12:13]
	s_cbranch_vccz .LBB111_910
; %bb.909:
	v_mov_b32_e32 v1, 11
	v_cmp_ne_u16_sdwa s[4:5], s15, v1 src0_sel:BYTE_0 src1_sel:DWORD
	s_mov_b64 s[8:9], -1
.LBB111_910:
	s_and_b64 vcc, exec, s[4:5]
	s_cbranch_vccnz .LBB111_997
; %bb.911:
	s_andn2_b64 vcc, exec, s[8:9]
	s_cbranch_vccnz .LBB111_913
.LBB111_912:
	v_mov_b32_e32 v1, 0x7fff
	v_and_b32_e32 v1, s14, v1
	v_cmp_ne_u16_e32 vcc, 0, v1
	v_cndmask_b32_e64 v1, 0, 1, vcc
	s_mov_b64 s[10:11], -1
	global_store_byte v[2:3], v1, off
.LBB111_913:
	s_branch .LBB111_786
.LBB111_914:
	v_mov_b32_e32 v1, 5
	v_cmp_lt_i16_sdwa s[8:9], s15, v1 src0_sel:BYTE_0 src1_sel:DWORD
	s_mov_b64 s[4:5], -1
	s_and_b64 vcc, exec, s[8:9]
	s_cbranch_vccnz .LBB111_935
; %bb.915:
	v_mov_b32_e32 v1, 8
	v_cmp_lt_i16_sdwa s[8:9], s15, v1 src0_sel:BYTE_0 src1_sel:DWORD
	s_and_b64 vcc, exec, s[8:9]
	s_cbranch_vccnz .LBB111_925
; %bb.916:
	v_mov_b32_e32 v1, 9
	v_cmp_lt_i16_sdwa s[8:9], s15, v1 src0_sel:BYTE_0 src1_sel:DWORD
	s_and_b64 vcc, exec, s[8:9]
	s_cbranch_vccnz .LBB111_922
; %bb.917:
	v_cmp_gt_i16_sdwa s[8:9], s15, v1 src0_sel:BYTE_0 src1_sel:DWORD
	s_and_b64 vcc, exec, s[8:9]
	s_cbranch_vccz .LBB111_919
; %bb.918:
	s_lshl_b32 s4, s14, 16
	v_mov_b32_e32 v6, 0
	v_cvt_f64_f32_e32 v[4:5], s4
	v_mov_b32_e32 v7, v6
	global_store_dwordx4 v[2:3], v[4:7], off
	s_mov_b64 s[4:5], 0
.LBB111_919:
	s_andn2_b64 vcc, exec, s[4:5]
	s_cbranch_vccnz .LBB111_921
; %bb.920:
	s_lshl_b32 s4, s14, 16
	v_mov_b32_e32 v4, s4
	v_mov_b32_e32 v5, 0
	global_store_dwordx2 v[2:3], v[4:5], off
.LBB111_921:
	s_mov_b64 s[4:5], 0
.LBB111_922:
	s_andn2_b64 vcc, exec, s[4:5]
	s_cbranch_vccnz .LBB111_924
; %bb.923:
	s_lshl_b32 s4, s14, 16
	v_cvt_f16_f32_e32 v1, s4
	global_store_dword v[2:3], v1, off
.LBB111_924:
	s_mov_b64 s[4:5], 0
.LBB111_925:
	s_andn2_b64 vcc, exec, s[4:5]
	s_cbranch_vccnz .LBB111_934
; %bb.926:
	v_mov_b32_e32 v1, 6
	v_cmp_lt_i16_sdwa s[8:9], s15, v1 src0_sel:BYTE_0 src1_sel:DWORD
	s_mov_b64 s[4:5], -1
	s_and_b64 vcc, exec, s[8:9]
	s_cbranch_vccnz .LBB111_932
; %bb.927:
	v_cmp_gt_i16_sdwa s[8:9], s15, v1 src0_sel:BYTE_0 src1_sel:DWORD
	s_and_b64 vcc, exec, s[8:9]
	s_cbranch_vccz .LBB111_929
; %bb.928:
	s_lshl_b32 s4, s14, 16
	v_cvt_f64_f32_e32 v[4:5], s4
	global_store_dwordx2 v[2:3], v[4:5], off
	s_mov_b64 s[4:5], 0
.LBB111_929:
	s_andn2_b64 vcc, exec, s[4:5]
	s_cbranch_vccnz .LBB111_931
; %bb.930:
	s_lshl_b32 s4, s14, 16
	v_mov_b32_e32 v1, s4
	global_store_dword v[2:3], v1, off
.LBB111_931:
	s_mov_b64 s[4:5], 0
.LBB111_932:
	s_andn2_b64 vcc, exec, s[4:5]
	s_cbranch_vccnz .LBB111_934
; %bb.933:
	s_lshl_b32 s4, s14, 16
	v_cvt_f16_f32_e32 v1, s4
	global_store_short v[2:3], v1, off
.LBB111_934:
	s_mov_b64 s[4:5], 0
.LBB111_935:
	s_andn2_b64 vcc, exec, s[4:5]
	s_cbranch_vccnz .LBB111_951
; %bb.936:
	v_mov_b32_e32 v1, 2
	v_cmp_lt_i16_sdwa s[8:9], s15, v1 src0_sel:BYTE_0 src1_sel:DWORD
	s_mov_b64 s[4:5], -1
	s_and_b64 vcc, exec, s[8:9]
	s_cbranch_vccnz .LBB111_946
; %bb.937:
	v_mov_b32_e32 v1, 3
	v_cmp_lt_i16_sdwa s[8:9], s15, v1 src0_sel:BYTE_0 src1_sel:DWORD
	s_and_b64 vcc, exec, s[8:9]
	s_cbranch_vccnz .LBB111_943
; %bb.938:
	v_cmp_gt_i16_sdwa s[8:9], s15, v1 src0_sel:BYTE_0 src1_sel:DWORD
	s_and_b64 vcc, exec, s[8:9]
	s_cbranch_vccz .LBB111_940
; %bb.939:
	s_lshl_b32 s4, s14, 16
	v_trunc_f32_e32 v1, s4
	s_mov_b32 s4, 0x2f800000
	v_mul_f32_e64 v4, |v1|, s4
	v_floor_f32_e32 v4, v4
	s_mov_b32 s4, 0xcf800000
	v_fma_f32 v5, v4, s4, |v1|
	v_cvt_u32_f32_e32 v5, v5
	v_cvt_u32_f32_e32 v4, v4
	v_ashrrev_i32_e32 v1, 31, v1
	s_mov_b64 s[4:5], 0
	v_xor_b32_e32 v5, v5, v1
	v_xor_b32_e32 v6, v4, v1
	v_sub_co_u32_e32 v4, vcc, v5, v1
	v_subb_co_u32_e32 v5, vcc, v6, v1, vcc
	global_store_dwordx2 v[2:3], v[4:5], off
.LBB111_940:
	s_andn2_b64 vcc, exec, s[4:5]
	s_cbranch_vccnz .LBB111_942
; %bb.941:
	s_lshl_b32 s4, s14, 16
	v_cvt_i32_f32_e32 v1, s4
	global_store_dword v[2:3], v1, off
.LBB111_942:
	s_mov_b64 s[4:5], 0
.LBB111_943:
	s_andn2_b64 vcc, exec, s[4:5]
	s_cbranch_vccnz .LBB111_945
; %bb.944:
	s_lshl_b32 s4, s14, 16
	v_cvt_i32_f32_e32 v1, s4
	global_store_short v[2:3], v1, off
.LBB111_945:
	s_mov_b64 s[4:5], 0
.LBB111_946:
	s_andn2_b64 vcc, exec, s[4:5]
	s_cbranch_vccnz .LBB111_951
; %bb.947:
	v_mov_b32_e32 v1, 0
	v_cmp_gt_i16_sdwa s[8:9], s15, v1 src0_sel:BYTE_0 src1_sel:DWORD
	s_mov_b64 s[4:5], -1
	s_and_b64 vcc, exec, s[8:9]
	s_cbranch_vccz .LBB111_949
; %bb.948:
	s_lshl_b32 s4, s14, 16
	v_cvt_i32_f32_e32 v1, s4
	s_mov_b64 s[4:5], 0
	global_store_byte v[2:3], v1, off
.LBB111_949:
	s_andn2_b64 vcc, exec, s[4:5]
	s_cbranch_vccnz .LBB111_951
; %bb.950:
	s_lshl_b32 s4, s14, 16
	v_trunc_f32_e32 v1, s4
	s_mov_b32 s4, 0x2f800000
	v_mul_f32_e64 v4, |v1|, s4
	v_floor_f32_e32 v4, v4
	s_mov_b32 s4, 0xcf800000
	v_fma_f32 v4, v4, s4, |v1|
	v_cvt_u32_f32_e32 v4, v4
	v_ashrrev_i32_e32 v1, 31, v1
	v_xor_b32_e32 v4, v4, v1
	v_sub_u32_e32 v1, v4, v1
	global_store_byte v[2:3], v1, off
.LBB111_951:
	s_branch .LBB111_787
.LBB111_952:
	s_mov_b64 s[2:3], 0
	s_mov_b64 s[4:5], 0
                                        ; implicit-def: $vgpr2
                                        ; implicit-def: $vgpr0_vgpr1
.LBB111_953:
	s_and_b64 s[8:9], s[2:3], exec
	s_and_b64 s[2:3], s[4:5], exec
	s_andn2_b64 s[4:5], s[6:7], exec
	s_and_b64 s[0:1], s[0:1], exec
	s_or_b64 s[6:7], s[4:5], s[0:1]
.LBB111_954:
	s_or_b64 exec, exec, s[24:25]
	s_and_saveexec_b64 s[0:1], s[6:7]
	s_cbranch_execz .LBB111_957
; %bb.955:
	; divergent unreachable
	s_or_b64 exec, exec, s[0:1]
	s_and_saveexec_b64 s[0:1], s[2:3]
	s_xor_b64 s[0:1], exec, s[0:1]
	s_cbranch_execnz .LBB111_958
.LBB111_956:
	s_or_b64 exec, exec, s[0:1]
	s_and_saveexec_b64 s[0:1], s[8:9]
	s_cbranch_execnz .LBB111_959
	s_branch .LBB111_996
.LBB111_957:
	s_or_b64 exec, exec, s[0:1]
	s_and_saveexec_b64 s[0:1], s[2:3]
	s_xor_b64 s[0:1], exec, s[0:1]
	s_cbranch_execz .LBB111_956
.LBB111_958:
	v_mov_b32_e32 v3, 0x7fff
	v_and_b32_e32 v3, s14, v3
	v_cmp_ne_u16_e32 vcc, 0, v3
	v_cndmask_b32_e64 v3, 0, 1, vcc
	global_store_byte v[0:1], v3, off
	s_or_b64 exec, exec, s[0:1]
	s_and_saveexec_b64 s[0:1], s[8:9]
	s_cbranch_execz .LBB111_996
.LBB111_959:
	v_cmp_gt_i16_e32 vcc, 5, v2
	s_mov_b64 s[0:1], -1
	s_cbranch_vccnz .LBB111_980
; %bb.960:
	v_cmp_gt_i16_e32 vcc, 8, v2
	s_cbranch_vccnz .LBB111_970
; %bb.961:
	v_cmp_gt_i16_e32 vcc, 9, v2
	s_cbranch_vccnz .LBB111_967
; %bb.962:
	v_cmp_lt_i16_e32 vcc, 9, v2
	s_cbranch_vccz .LBB111_964
; %bb.963:
	s_lshl_b32 s0, s14, 16
	v_mov_b32_e32 v6, 0
	v_cvt_f64_f32_e32 v[4:5], s0
	v_mov_b32_e32 v7, v6
	global_store_dwordx4 v[0:1], v[4:7], off
	s_mov_b64 s[0:1], 0
.LBB111_964:
	s_andn2_b64 vcc, exec, s[0:1]
	s_cbranch_vccnz .LBB111_966
; %bb.965:
	s_lshl_b32 s0, s14, 16
	v_mov_b32_e32 v4, s0
	v_mov_b32_e32 v5, 0
	global_store_dwordx2 v[0:1], v[4:5], off
.LBB111_966:
	s_mov_b64 s[0:1], 0
.LBB111_967:
	s_andn2_b64 vcc, exec, s[0:1]
	s_cbranch_vccnz .LBB111_969
; %bb.968:
	s_lshl_b32 s0, s14, 16
	v_cvt_f16_f32_e32 v3, s0
	global_store_dword v[0:1], v3, off
.LBB111_969:
	s_mov_b64 s[0:1], 0
.LBB111_970:
	s_andn2_b64 vcc, exec, s[0:1]
	s_cbranch_vccnz .LBB111_979
; %bb.971:
	v_cmp_gt_i16_e32 vcc, 6, v2
	s_mov_b64 s[0:1], -1
	s_cbranch_vccnz .LBB111_977
; %bb.972:
	v_cmp_lt_i16_e32 vcc, 6, v2
	s_cbranch_vccz .LBB111_974
; %bb.973:
	s_lshl_b32 s0, s14, 16
	v_cvt_f64_f32_e32 v[4:5], s0
	global_store_dwordx2 v[0:1], v[4:5], off
	s_mov_b64 s[0:1], 0
.LBB111_974:
	s_andn2_b64 vcc, exec, s[0:1]
	s_cbranch_vccnz .LBB111_976
; %bb.975:
	s_lshl_b32 s0, s14, 16
	v_mov_b32_e32 v3, s0
	global_store_dword v[0:1], v3, off
.LBB111_976:
	s_mov_b64 s[0:1], 0
.LBB111_977:
	s_andn2_b64 vcc, exec, s[0:1]
	s_cbranch_vccnz .LBB111_979
; %bb.978:
	s_lshl_b32 s0, s14, 16
	v_cvt_f16_f32_e32 v3, s0
	global_store_short v[0:1], v3, off
.LBB111_979:
	s_mov_b64 s[0:1], 0
.LBB111_980:
	s_andn2_b64 vcc, exec, s[0:1]
	s_cbranch_vccnz .LBB111_996
; %bb.981:
	v_cmp_gt_i16_e32 vcc, 2, v2
	s_mov_b64 s[0:1], -1
	s_cbranch_vccnz .LBB111_991
; %bb.982:
	v_cmp_gt_i16_e32 vcc, 3, v2
	s_cbranch_vccnz .LBB111_988
; %bb.983:
	v_cmp_lt_i16_e32 vcc, 3, v2
	s_cbranch_vccz .LBB111_985
; %bb.984:
	s_lshl_b32 s0, s14, 16
	v_trunc_f32_e32 v3, s0
	s_mov_b32 s0, 0x2f800000
	v_mul_f32_e64 v4, |v3|, s0
	v_floor_f32_e32 v4, v4
	s_mov_b32 s0, 0xcf800000
	v_fma_f32 v5, v4, s0, |v3|
	v_cvt_u32_f32_e32 v5, v5
	v_cvt_u32_f32_e32 v4, v4
	v_ashrrev_i32_e32 v3, 31, v3
	s_mov_b64 s[0:1], 0
	v_xor_b32_e32 v5, v5, v3
	v_xor_b32_e32 v6, v4, v3
	v_sub_co_u32_e32 v4, vcc, v5, v3
	v_subb_co_u32_e32 v5, vcc, v6, v3, vcc
	global_store_dwordx2 v[0:1], v[4:5], off
.LBB111_985:
	s_andn2_b64 vcc, exec, s[0:1]
	s_cbranch_vccnz .LBB111_987
; %bb.986:
	s_lshl_b32 s0, s14, 16
	v_cvt_i32_f32_e32 v3, s0
	global_store_dword v[0:1], v3, off
.LBB111_987:
	s_mov_b64 s[0:1], 0
.LBB111_988:
	s_andn2_b64 vcc, exec, s[0:1]
	s_cbranch_vccnz .LBB111_990
; %bb.989:
	s_lshl_b32 s0, s14, 16
	v_cvt_i32_f32_e32 v3, s0
	global_store_short v[0:1], v3, off
.LBB111_990:
	s_mov_b64 s[0:1], 0
.LBB111_991:
	s_andn2_b64 vcc, exec, s[0:1]
	s_cbranch_vccnz .LBB111_996
; %bb.992:
	v_cmp_lt_i16_e32 vcc, 0, v2
	s_mov_b64 s[0:1], -1
	s_cbranch_vccz .LBB111_994
; %bb.993:
	s_lshl_b32 s0, s14, 16
	v_cvt_i32_f32_e32 v2, s0
	s_mov_b64 s[0:1], 0
	global_store_byte v[0:1], v2, off
.LBB111_994:
	s_andn2_b64 vcc, exec, s[0:1]
	s_cbranch_vccnz .LBB111_996
; %bb.995:
	s_lshl_b32 s0, s14, 16
	v_trunc_f32_e32 v2, s0
	s_mov_b32 s0, 0x2f800000
	v_mul_f32_e64 v3, |v2|, s0
	v_floor_f32_e32 v3, v3
	s_mov_b32 s0, 0xcf800000
	v_fma_f32 v3, v3, s0, |v2|
	v_cvt_u32_f32_e32 v3, v3
	v_ashrrev_i32_e32 v2, 31, v2
	v_xor_b32_e32 v3, v3, v2
	v_sub_u32_e32 v2, v3, v2
	global_store_byte v[0:1], v2, off
	s_endpgm
.LBB111_996:
	s_endpgm
.LBB111_997:
	s_trap 2
	s_or_b64 s[0:1], s[0:1], exec
	s_cbranch_execz .LBB111_912
	s_branch .LBB111_913
.LBB111_998:
	s_mov_b64 s[8:9], -1
	s_mov_b64 s[4:5], 0
                                        ; implicit-def: $sgpr12
.LBB111_999:
	s_andn2_b64 vcc, exec, s[8:9]
	v_mov_b32_e32 v3, s12
                                        ; implicit-def: $sgpr8
	s_cbranch_vccnz .LBB111_1001
; %bb.1000:
	v_mov_b32_e32 v3, 0x42800000
	v_add_f32_e64 v3, |s11|, v3
	v_and_b32_e32 v3, 0xff, v3
	s_mov_b32 s8, 0
	v_cmp_ne_u32_e64 s[4:5], 0, v3
.LBB111_1001:
	s_andn2_b64 vcc, exec, s[4:5]
	v_mov_b32_e32 v4, s8
	s_cbranch_vccnz .LBB111_1003
; %bb.1002:
	s_lshr_b32 s4, s10, 8
	s_and_b32 s4, s4, 0x80
	v_or_b32_e32 v4, s4, v3
.LBB111_1003:
	s_mov_b64 s[4:5], 0
	global_store_byte v[0:1], v4, off
.LBB111_1004:
	s_and_b64 vcc, exec, s[4:5]
	s_cbranch_vccz .LBB111_1016
; %bb.1005:
	s_lshl_b32 s10, s14, 16
	s_and_b32 s8, 0xffff, s14
	s_and_b32 s9, s10, 0x7fffffff
	s_cmp_lt_u32 s9, 0x43f00000
	s_cbranch_scc0 .LBB111_1008
; %bb.1006:
	s_cmp_gt_u32 s9, 0x3c7fffff
	s_cbranch_scc0 .LBB111_1009
; %bb.1007:
	s_bfe_u32 s4, s8, 0x10004
	s_add_i32 s4, s10, s4
	s_add_i32 s4, s4, 0x407ffff
	s_lshr_b32 s5, s4, 20
	s_and_b32 s4, s4, 0xff00000
	s_cmp_lg_u32 s4, 0x7f00000
	s_cselect_b32 s11, s5, 0x7e
	s_mov_b64 s[4:5], 0
	s_branch .LBB111_1010
.LBB111_1008:
	s_mov_b64 s[4:5], -1
                                        ; implicit-def: $vgpr3
	s_branch .LBB111_1013
.LBB111_1009:
	s_mov_b64 s[4:5], -1
                                        ; implicit-def: $sgpr11
.LBB111_1010:
	s_andn2_b64 vcc, exec, s[4:5]
	v_mov_b32_e32 v3, s11
	s_cbranch_vccnz .LBB111_1012
; %bb.1011:
	v_mov_b32_e32 v3, 0x46800000
	v_add_f32_e64 v3, |s10|, v3
.LBB111_1012:
	s_mov_b64 s[4:5], 0
.LBB111_1013:
	s_andn2_b64 vcc, exec, s[4:5]
	s_cbranch_vccnz .LBB111_1015
; %bb.1014:
	s_cmp_gt_u32 s9, 0x7f800000
	s_movk_i32 s4, 0x7f
	s_cselect_b32 s4, s4, 0x7e
	v_mov_b32_e32 v3, s4
.LBB111_1015:
	s_lshr_b32 s4, s8, 8
	s_and_b32 s4, s4, 0x80
	v_or_b32_e32 v3, s4, v3
	global_store_byte v[0:1], v3, off
.LBB111_1016:
	s_mov_b64 s[4:5], 0
.LBB111_1017:
	s_andn2_b64 vcc, exec, s[4:5]
	s_cbranch_vccnz .LBB111_1029
; %bb.1018:
	s_lshl_b32 s10, s14, 16
	s_and_b32 s8, 0xffff, s14
	s_and_b32 s9, s10, 0x7fffffff
	s_cmp_lt_u32 s9, 0x47800000
	s_cbranch_scc0 .LBB111_1021
; %bb.1019:
	s_cmp_gt_u32 s9, 0x387fffff
	s_cbranch_scc0 .LBB111_1022
; %bb.1020:
	s_bfe_u32 s4, s8, 0x10005
	s_add_i32 s4, s10, s4
	s_add_i32 s4, s4, 0x80fffff
	s_lshr_b32 s11, s4, 21
	s_mov_b64 s[4:5], 0
	s_branch .LBB111_1023
.LBB111_1021:
	s_mov_b64 s[4:5], -1
                                        ; implicit-def: $vgpr3
	s_branch .LBB111_1026
.LBB111_1022:
	s_mov_b64 s[4:5], -1
                                        ; implicit-def: $sgpr11
.LBB111_1023:
	s_andn2_b64 vcc, exec, s[4:5]
	v_mov_b32_e32 v3, s11
	s_cbranch_vccnz .LBB111_1025
; %bb.1024:
	v_mov_b32_e32 v3, 0x43000000
	v_add_f32_e64 v3, |s10|, v3
.LBB111_1025:
	s_mov_b64 s[4:5], 0
.LBB111_1026:
	s_andn2_b64 vcc, exec, s[4:5]
	s_cbranch_vccnz .LBB111_1028
; %bb.1027:
	s_cmp_gt_u32 s9, 0x7f800000
	s_movk_i32 s4, 0x7f
	s_cselect_b32 s4, s4, 0x7c
	v_mov_b32_e32 v3, s4
.LBB111_1028:
	s_lshr_b32 s4, s8, 8
	s_and_b32 s4, s4, 0x80
	v_or_b32_e32 v3, s4, v3
	global_store_byte v[0:1], v3, off
.LBB111_1029:
	s_mov_b64 s[4:5], 0
.LBB111_1030:
	s_andn2_b64 vcc, exec, s[4:5]
	s_mov_b64 s[4:5], 0
	s_cbranch_vccnz .LBB111_1037
; %bb.1031:
	v_cmp_lt_i16_e32 vcc, 14, v2
	s_mov_b64 s[8:9], -1
	s_cbranch_vccz .LBB111_1035
; %bb.1032:
	v_cmp_eq_u16_e32 vcc, 15, v2
	s_mov_b64 s[2:3], -1
	s_cbranch_vccz .LBB111_1034
; %bb.1033:
	v_mov_b32_e32 v3, s14
	global_store_short v[0:1], v3, off
	s_mov_b64 s[2:3], 0
.LBB111_1034:
	s_mov_b64 s[8:9], 0
.LBB111_1035:
	s_and_b64 vcc, exec, s[8:9]
	s_cbranch_vccz .LBB111_1037
; %bb.1036:
	v_cmp_ne_u16_e64 s[2:3], 11, v2
	s_mov_b64 s[4:5], -1
.LBB111_1037:
	s_and_b64 vcc, exec, s[2:3]
	s_cbranch_vccnz .LBB111_1039
.LBB111_1038:
	s_mov_b64 s[2:3], 0
	s_branch .LBB111_953
.LBB111_1039:
	s_mov_b64 s[4:5], 0
	s_or_b64 s[0:1], s[0:1], exec
	s_trap 2
	s_branch .LBB111_1038
	.section	.rodata,"a",@progbits
	.p2align	6, 0x0
	.amdhsa_kernel _ZN2at6native32elementwise_kernel_manual_unrollILi128ELi4EZNS0_15gpu_kernel_implINS0_11FillFunctorIN3c108BFloat16EEEEEvRNS_18TensorIteratorBaseERKT_EUlibE0_EEviT1_
		.amdhsa_group_segment_fixed_size 0
		.amdhsa_private_segment_fixed_size 0
		.amdhsa_kernarg_size 288
		.amdhsa_user_sgpr_count 6
		.amdhsa_user_sgpr_private_segment_buffer 1
		.amdhsa_user_sgpr_dispatch_ptr 0
		.amdhsa_user_sgpr_queue_ptr 0
		.amdhsa_user_sgpr_kernarg_segment_ptr 1
		.amdhsa_user_sgpr_dispatch_id 0
		.amdhsa_user_sgpr_flat_scratch_init 0
		.amdhsa_user_sgpr_kernarg_preload_length 0
		.amdhsa_user_sgpr_kernarg_preload_offset 0
		.amdhsa_user_sgpr_private_segment_size 0
		.amdhsa_uses_dynamic_stack 0
		.amdhsa_system_sgpr_private_segment_wavefront_offset 0
		.amdhsa_system_sgpr_workgroup_id_x 1
		.amdhsa_system_sgpr_workgroup_id_y 0
		.amdhsa_system_sgpr_workgroup_id_z 0
		.amdhsa_system_sgpr_workgroup_info 0
		.amdhsa_system_vgpr_workitem_id 0
		.amdhsa_next_free_vgpr 19
		.amdhsa_next_free_sgpr 96
		.amdhsa_accum_offset 20
		.amdhsa_reserve_vcc 1
		.amdhsa_reserve_flat_scratch 0
		.amdhsa_float_round_mode_32 0
		.amdhsa_float_round_mode_16_64 0
		.amdhsa_float_denorm_mode_32 3
		.amdhsa_float_denorm_mode_16_64 3
		.amdhsa_dx10_clamp 1
		.amdhsa_ieee_mode 1
		.amdhsa_fp16_overflow 0
		.amdhsa_tg_split 0
		.amdhsa_exception_fp_ieee_invalid_op 0
		.amdhsa_exception_fp_denorm_src 0
		.amdhsa_exception_fp_ieee_div_zero 0
		.amdhsa_exception_fp_ieee_overflow 0
		.amdhsa_exception_fp_ieee_underflow 0
		.amdhsa_exception_fp_ieee_inexact 0
		.amdhsa_exception_int_div_zero 0
	.end_amdhsa_kernel
	.section	.text._ZN2at6native32elementwise_kernel_manual_unrollILi128ELi4EZNS0_15gpu_kernel_implINS0_11FillFunctorIN3c108BFloat16EEEEEvRNS_18TensorIteratorBaseERKT_EUlibE0_EEviT1_,"axG",@progbits,_ZN2at6native32elementwise_kernel_manual_unrollILi128ELi4EZNS0_15gpu_kernel_implINS0_11FillFunctorIN3c108BFloat16EEEEEvRNS_18TensorIteratorBaseERKT_EUlibE0_EEviT1_,comdat
.Lfunc_end111:
	.size	_ZN2at6native32elementwise_kernel_manual_unrollILi128ELi4EZNS0_15gpu_kernel_implINS0_11FillFunctorIN3c108BFloat16EEEEEvRNS_18TensorIteratorBaseERKT_EUlibE0_EEviT1_, .Lfunc_end111-_ZN2at6native32elementwise_kernel_manual_unrollILi128ELi4EZNS0_15gpu_kernel_implINS0_11FillFunctorIN3c108BFloat16EEEEEvRNS_18TensorIteratorBaseERKT_EUlibE0_EEviT1_
                                        ; -- End function
	.section	.AMDGPU.csdata,"",@progbits
; Kernel info:
; codeLenInByte = 19748
; NumSgprs: 100
; NumVgprs: 19
; NumAgprs: 0
; TotalNumVgprs: 19
; ScratchSize: 0
; MemoryBound: 0
; FloatMode: 240
; IeeeMode: 1
; LDSByteSize: 0 bytes/workgroup (compile time only)
; SGPRBlocks: 12
; VGPRBlocks: 2
; NumSGPRsForWavesPerEU: 100
; NumVGPRsForWavesPerEU: 19
; AccumOffset: 20
; Occupancy: 8
; WaveLimiterHint : 1
; COMPUTE_PGM_RSRC2:SCRATCH_EN: 0
; COMPUTE_PGM_RSRC2:USER_SGPR: 6
; COMPUTE_PGM_RSRC2:TRAP_HANDLER: 0
; COMPUTE_PGM_RSRC2:TGID_X_EN: 1
; COMPUTE_PGM_RSRC2:TGID_Y_EN: 0
; COMPUTE_PGM_RSRC2:TGID_Z_EN: 0
; COMPUTE_PGM_RSRC2:TIDIG_COMP_CNT: 0
; COMPUTE_PGM_RSRC3_GFX90A:ACCUM_OFFSET: 4
; COMPUTE_PGM_RSRC3_GFX90A:TG_SPLIT: 0
	.section	.text._ZN2at6native29vectorized_elementwise_kernelILi16ENS0_11FillFunctorIN3c1011Float8_e5m2EEESt5arrayIPcLm1EEEEviT0_T1_,"axG",@progbits,_ZN2at6native29vectorized_elementwise_kernelILi16ENS0_11FillFunctorIN3c1011Float8_e5m2EEESt5arrayIPcLm1EEEEviT0_T1_,comdat
	.protected	_ZN2at6native29vectorized_elementwise_kernelILi16ENS0_11FillFunctorIN3c1011Float8_e5m2EEESt5arrayIPcLm1EEEEviT0_T1_ ; -- Begin function _ZN2at6native29vectorized_elementwise_kernelILi16ENS0_11FillFunctorIN3c1011Float8_e5m2EEESt5arrayIPcLm1EEEEviT0_T1_
	.globl	_ZN2at6native29vectorized_elementwise_kernelILi16ENS0_11FillFunctorIN3c1011Float8_e5m2EEESt5arrayIPcLm1EEEEviT0_T1_
	.p2align	8
	.type	_ZN2at6native29vectorized_elementwise_kernelILi16ENS0_11FillFunctorIN3c1011Float8_e5m2EEESt5arrayIPcLm1EEEEviT0_T1_,@function
_ZN2at6native29vectorized_elementwise_kernelILi16ENS0_11FillFunctorIN3c1011Float8_e5m2EEESt5arrayIPcLm1EEEEviT0_T1_: ; @_ZN2at6native29vectorized_elementwise_kernelILi16ENS0_11FillFunctorIN3c1011Float8_e5m2EEESt5arrayIPcLm1EEEEviT0_T1_
; %bb.0:
	s_load_dwordx4 s[0:3], s[4:5], 0x0
	s_lshl_b32 s8, s6, 12
	s_waitcnt lgkmcnt(0)
	s_sub_i32 s0, s0, s8
	s_cmpk_gt_i32 s0, 0xfff
	s_cbranch_scc0 .LBB112_4
; %bb.1:
	s_ashr_i32 s5, s8, 31
	s_add_u32 s4, s2, s8
	s_addc_u32 s5, s3, s5
	v_lshlrev_b32_e32 v1, 4, v0
	v_mov_b32_e32 v2, s5
	v_add_co_u32_e32 v5, vcc, s4, v1
	v_addc_co_u32_e32 v6, vcc, 0, v2, vcc
	v_lshlrev_b16_e64 v2, 8, s1
	v_or_b32_sdwa v7, s1, v2 dst_sel:DWORD dst_unused:UNUSED_PAD src0_sel:BYTE_0 src1_sel:DWORD
	v_lshlrev_b32_e32 v2, 16, v7
	v_mov_b32_e32 v4, s1
	v_or_b32_sdwa v2, v7, v2 dst_sel:DWORD dst_unused:UNUSED_PAD src0_sel:WORD_0 src1_sel:DWORD
	v_mov_b32_e32 v3, v2
	global_store_byte v1, v4, s[4:5] offset:14
	global_store_short v1, v7, s[4:5] offset:12
	v_mov_b32_e32 v4, v2
	global_store_dwordx3 v1, v[2:4], s[4:5]
	s_nop 0
	v_add_co_u32_e32 v2, vcc, 15, v5
	v_addc_co_u32_e32 v3, vcc, 0, v6, vcc
	s_mov_b64 s[4:5], -1
	s_cbranch_execz .LBB112_5
; %bb.2:
	s_and_saveexec_b64 s[2:3], s[4:5]
	s_cbranch_execz .LBB112_24
.LBB112_3:
	v_mov_b32_e32 v0, s1
	global_store_byte v[2:3], v0, off
	s_endpgm
.LBB112_4:
	s_mov_b64 s[4:5], 0
                                        ; implicit-def: $vgpr2_vgpr3
.LBB112_5:
	v_cmp_gt_i32_e32 vcc, s0, v0
	s_and_saveexec_b64 s[6:7], vcc
	s_cbranch_execz .LBB112_25
; %bb.6:
	v_or_b32_e32 v1, 0x100, v0
	v_or_b32_e32 v0, s8, v0
	v_mov_b32_e32 v2, s1
	global_store_byte v0, v2, s[2:3]
	v_mov_b32_e32 v0, v1
	s_or_b64 exec, exec, s[6:7]
	v_cmp_gt_i32_e32 vcc, s0, v0
	s_and_saveexec_b64 s[6:7], vcc
	s_cbranch_execnz .LBB112_26
.LBB112_7:
	s_or_b64 exec, exec, s[6:7]
	v_cmp_gt_i32_e32 vcc, s0, v0
	s_and_saveexec_b64 s[6:7], vcc
	s_cbranch_execz .LBB112_27
.LBB112_8:
	v_add_u32_e32 v1, s8, v0
	v_add_u32_e32 v0, 0x100, v0
	v_mov_b32_e32 v2, s1
	global_store_byte v1, v2, s[2:3]
	s_or_b64 exec, exec, s[6:7]
	v_cmp_gt_i32_e32 vcc, s0, v0
	s_and_saveexec_b64 s[6:7], vcc
	s_cbranch_execnz .LBB112_28
.LBB112_9:
	s_or_b64 exec, exec, s[6:7]
	v_cmp_gt_i32_e32 vcc, s0, v0
	s_and_saveexec_b64 s[6:7], vcc
	s_cbranch_execz .LBB112_29
.LBB112_10:
	v_add_u32_e32 v1, s8, v0
	v_add_u32_e32 v0, 0x100, v0
	v_mov_b32_e32 v2, s1
	global_store_byte v1, v2, s[2:3]
	s_or_b64 exec, exec, s[6:7]
	v_cmp_gt_i32_e32 vcc, s0, v0
	s_and_saveexec_b64 s[6:7], vcc
	s_cbranch_execnz .LBB112_30
.LBB112_11:
	s_or_b64 exec, exec, s[6:7]
	v_cmp_gt_i32_e32 vcc, s0, v0
	s_and_saveexec_b64 s[6:7], vcc
	s_cbranch_execz .LBB112_31
.LBB112_12:
	v_add_u32_e32 v1, s8, v0
	v_add_u32_e32 v0, 0x100, v0
	v_mov_b32_e32 v2, s1
	global_store_byte v1, v2, s[2:3]
	s_or_b64 exec, exec, s[6:7]
	v_cmp_gt_i32_e32 vcc, s0, v0
	s_and_saveexec_b64 s[6:7], vcc
	s_cbranch_execnz .LBB112_32
.LBB112_13:
	s_or_b64 exec, exec, s[6:7]
	v_cmp_gt_i32_e32 vcc, s0, v0
	s_and_saveexec_b64 s[6:7], vcc
	s_cbranch_execz .LBB112_33
.LBB112_14:
	v_add_u32_e32 v1, s8, v0
	v_add_u32_e32 v0, 0x100, v0
	v_mov_b32_e32 v2, s1
	global_store_byte v1, v2, s[2:3]
	s_or_b64 exec, exec, s[6:7]
	v_cmp_gt_i32_e32 vcc, s0, v0
	s_and_saveexec_b64 s[6:7], vcc
	s_cbranch_execnz .LBB112_34
.LBB112_15:
	s_or_b64 exec, exec, s[6:7]
	v_cmp_gt_i32_e32 vcc, s0, v0
	s_and_saveexec_b64 s[6:7], vcc
	s_cbranch_execz .LBB112_35
.LBB112_16:
	v_add_u32_e32 v1, s8, v0
	v_add_u32_e32 v0, 0x100, v0
	v_mov_b32_e32 v2, s1
	global_store_byte v1, v2, s[2:3]
	s_or_b64 exec, exec, s[6:7]
	v_cmp_gt_i32_e32 vcc, s0, v0
	s_and_saveexec_b64 s[6:7], vcc
	s_cbranch_execnz .LBB112_36
.LBB112_17:
	s_or_b64 exec, exec, s[6:7]
	v_cmp_gt_i32_e32 vcc, s0, v0
	s_and_saveexec_b64 s[6:7], vcc
	s_cbranch_execz .LBB112_37
.LBB112_18:
	v_add_u32_e32 v1, s8, v0
	v_add_u32_e32 v0, 0x100, v0
	v_mov_b32_e32 v2, s1
	global_store_byte v1, v2, s[2:3]
	s_or_b64 exec, exec, s[6:7]
	v_cmp_gt_i32_e32 vcc, s0, v0
	s_and_saveexec_b64 s[6:7], vcc
	s_cbranch_execnz .LBB112_38
.LBB112_19:
	s_or_b64 exec, exec, s[6:7]
	v_cmp_gt_i32_e32 vcc, s0, v0
	s_and_saveexec_b64 s[6:7], vcc
	s_cbranch_execz .LBB112_21
.LBB112_20:
	v_add_u32_e32 v1, s8, v0
	v_add_u32_e32 v0, 0x100, v0
	v_mov_b32_e32 v2, s1
	global_store_byte v1, v2, s[2:3]
.LBB112_21:
	s_or_b64 exec, exec, s[6:7]
	v_cmp_gt_i32_e32 vcc, s0, v0
                                        ; implicit-def: $vgpr2_vgpr3
	s_and_saveexec_b64 s[6:7], vcc
; %bb.22:
	v_add_u32_e32 v0, s8, v0
	v_mov_b32_e32 v1, s3
	v_add_co_u32_e32 v2, vcc, s2, v0
	v_addc_co_u32_e32 v3, vcc, 0, v1, vcc
	s_or_b64 s[4:5], s[4:5], exec
; %bb.23:
	s_or_b64 exec, exec, s[6:7]
	s_and_saveexec_b64 s[2:3], s[4:5]
	s_cbranch_execnz .LBB112_3
.LBB112_24:
	s_endpgm
.LBB112_25:
	s_or_b64 exec, exec, s[6:7]
	v_cmp_gt_i32_e32 vcc, s0, v0
	s_and_saveexec_b64 s[6:7], vcc
	s_cbranch_execz .LBB112_7
.LBB112_26:
	v_add_u32_e32 v1, s8, v0
	v_add_u32_e32 v0, 0x100, v0
	v_mov_b32_e32 v2, s1
	global_store_byte v1, v2, s[2:3]
	s_or_b64 exec, exec, s[6:7]
	v_cmp_gt_i32_e32 vcc, s0, v0
	s_and_saveexec_b64 s[6:7], vcc
	s_cbranch_execnz .LBB112_8
.LBB112_27:
	s_or_b64 exec, exec, s[6:7]
	v_cmp_gt_i32_e32 vcc, s0, v0
	s_and_saveexec_b64 s[6:7], vcc
	s_cbranch_execz .LBB112_9
.LBB112_28:
	v_add_u32_e32 v1, s8, v0
	v_add_u32_e32 v0, 0x100, v0
	v_mov_b32_e32 v2, s1
	global_store_byte v1, v2, s[2:3]
	s_or_b64 exec, exec, s[6:7]
	v_cmp_gt_i32_e32 vcc, s0, v0
	s_and_saveexec_b64 s[6:7], vcc
	s_cbranch_execnz .LBB112_10
.LBB112_29:
	s_or_b64 exec, exec, s[6:7]
	v_cmp_gt_i32_e32 vcc, s0, v0
	s_and_saveexec_b64 s[6:7], vcc
	s_cbranch_execz .LBB112_11
.LBB112_30:
	v_add_u32_e32 v1, s8, v0
	v_add_u32_e32 v0, 0x100, v0
	v_mov_b32_e32 v2, s1
	global_store_byte v1, v2, s[2:3]
	s_or_b64 exec, exec, s[6:7]
	v_cmp_gt_i32_e32 vcc, s0, v0
	s_and_saveexec_b64 s[6:7], vcc
	s_cbranch_execnz .LBB112_12
.LBB112_31:
	s_or_b64 exec, exec, s[6:7]
	v_cmp_gt_i32_e32 vcc, s0, v0
	s_and_saveexec_b64 s[6:7], vcc
	s_cbranch_execz .LBB112_13
.LBB112_32:
	v_add_u32_e32 v1, s8, v0
	v_add_u32_e32 v0, 0x100, v0
	v_mov_b32_e32 v2, s1
	global_store_byte v1, v2, s[2:3]
	s_or_b64 exec, exec, s[6:7]
	v_cmp_gt_i32_e32 vcc, s0, v0
	s_and_saveexec_b64 s[6:7], vcc
	s_cbranch_execnz .LBB112_14
.LBB112_33:
	s_or_b64 exec, exec, s[6:7]
	v_cmp_gt_i32_e32 vcc, s0, v0
	s_and_saveexec_b64 s[6:7], vcc
	s_cbranch_execz .LBB112_15
.LBB112_34:
	v_add_u32_e32 v1, s8, v0
	v_add_u32_e32 v0, 0x100, v0
	v_mov_b32_e32 v2, s1
	global_store_byte v1, v2, s[2:3]
	s_or_b64 exec, exec, s[6:7]
	v_cmp_gt_i32_e32 vcc, s0, v0
	s_and_saveexec_b64 s[6:7], vcc
	s_cbranch_execnz .LBB112_16
.LBB112_35:
	s_or_b64 exec, exec, s[6:7]
	v_cmp_gt_i32_e32 vcc, s0, v0
	s_and_saveexec_b64 s[6:7], vcc
	s_cbranch_execz .LBB112_17
.LBB112_36:
	v_add_u32_e32 v1, s8, v0
	v_add_u32_e32 v0, 0x100, v0
	v_mov_b32_e32 v2, s1
	global_store_byte v1, v2, s[2:3]
	s_or_b64 exec, exec, s[6:7]
	v_cmp_gt_i32_e32 vcc, s0, v0
	s_and_saveexec_b64 s[6:7], vcc
	s_cbranch_execnz .LBB112_18
.LBB112_37:
	s_or_b64 exec, exec, s[6:7]
	v_cmp_gt_i32_e32 vcc, s0, v0
	s_and_saveexec_b64 s[6:7], vcc
	s_cbranch_execz .LBB112_19
.LBB112_38:
	v_add_u32_e32 v1, s8, v0
	v_add_u32_e32 v0, 0x100, v0
	v_mov_b32_e32 v2, s1
	global_store_byte v1, v2, s[2:3]
	s_or_b64 exec, exec, s[6:7]
	v_cmp_gt_i32_e32 vcc, s0, v0
	s_and_saveexec_b64 s[6:7], vcc
	s_cbranch_execz .LBB112_21
	s_branch .LBB112_20
	.section	.rodata,"a",@progbits
	.p2align	6, 0x0
	.amdhsa_kernel _ZN2at6native29vectorized_elementwise_kernelILi16ENS0_11FillFunctorIN3c1011Float8_e5m2EEESt5arrayIPcLm1EEEEviT0_T1_
		.amdhsa_group_segment_fixed_size 0
		.amdhsa_private_segment_fixed_size 0
		.amdhsa_kernarg_size 16
		.amdhsa_user_sgpr_count 6
		.amdhsa_user_sgpr_private_segment_buffer 1
		.amdhsa_user_sgpr_dispatch_ptr 0
		.amdhsa_user_sgpr_queue_ptr 0
		.amdhsa_user_sgpr_kernarg_segment_ptr 1
		.amdhsa_user_sgpr_dispatch_id 0
		.amdhsa_user_sgpr_flat_scratch_init 0
		.amdhsa_user_sgpr_kernarg_preload_length 0
		.amdhsa_user_sgpr_kernarg_preload_offset 0
		.amdhsa_user_sgpr_private_segment_size 0
		.amdhsa_uses_dynamic_stack 0
		.amdhsa_system_sgpr_private_segment_wavefront_offset 0
		.amdhsa_system_sgpr_workgroup_id_x 1
		.amdhsa_system_sgpr_workgroup_id_y 0
		.amdhsa_system_sgpr_workgroup_id_z 0
		.amdhsa_system_sgpr_workgroup_info 0
		.amdhsa_system_vgpr_workitem_id 0
		.amdhsa_next_free_vgpr 8
		.amdhsa_next_free_sgpr 9
		.amdhsa_accum_offset 8
		.amdhsa_reserve_vcc 1
		.amdhsa_reserve_flat_scratch 0
		.amdhsa_float_round_mode_32 0
		.amdhsa_float_round_mode_16_64 0
		.amdhsa_float_denorm_mode_32 3
		.amdhsa_float_denorm_mode_16_64 3
		.amdhsa_dx10_clamp 1
		.amdhsa_ieee_mode 1
		.amdhsa_fp16_overflow 0
		.amdhsa_tg_split 0
		.amdhsa_exception_fp_ieee_invalid_op 0
		.amdhsa_exception_fp_denorm_src 0
		.amdhsa_exception_fp_ieee_div_zero 0
		.amdhsa_exception_fp_ieee_overflow 0
		.amdhsa_exception_fp_ieee_underflow 0
		.amdhsa_exception_fp_ieee_inexact 0
		.amdhsa_exception_int_div_zero 0
	.end_amdhsa_kernel
	.section	.text._ZN2at6native29vectorized_elementwise_kernelILi16ENS0_11FillFunctorIN3c1011Float8_e5m2EEESt5arrayIPcLm1EEEEviT0_T1_,"axG",@progbits,_ZN2at6native29vectorized_elementwise_kernelILi16ENS0_11FillFunctorIN3c1011Float8_e5m2EEESt5arrayIPcLm1EEEEviT0_T1_,comdat
.Lfunc_end112:
	.size	_ZN2at6native29vectorized_elementwise_kernelILi16ENS0_11FillFunctorIN3c1011Float8_e5m2EEESt5arrayIPcLm1EEEEviT0_T1_, .Lfunc_end112-_ZN2at6native29vectorized_elementwise_kernelILi16ENS0_11FillFunctorIN3c1011Float8_e5m2EEESt5arrayIPcLm1EEEEviT0_T1_
                                        ; -- End function
	.section	.AMDGPU.csdata,"",@progbits
; Kernel info:
; codeLenInByte = 1044
; NumSgprs: 13
; NumVgprs: 8
; NumAgprs: 0
; TotalNumVgprs: 8
; ScratchSize: 0
; MemoryBound: 0
; FloatMode: 240
; IeeeMode: 1
; LDSByteSize: 0 bytes/workgroup (compile time only)
; SGPRBlocks: 1
; VGPRBlocks: 0
; NumSGPRsForWavesPerEU: 13
; NumVGPRsForWavesPerEU: 8
; AccumOffset: 8
; Occupancy: 8
; WaveLimiterHint : 0
; COMPUTE_PGM_RSRC2:SCRATCH_EN: 0
; COMPUTE_PGM_RSRC2:USER_SGPR: 6
; COMPUTE_PGM_RSRC2:TRAP_HANDLER: 0
; COMPUTE_PGM_RSRC2:TGID_X_EN: 1
; COMPUTE_PGM_RSRC2:TGID_Y_EN: 0
; COMPUTE_PGM_RSRC2:TGID_Z_EN: 0
; COMPUTE_PGM_RSRC2:TIDIG_COMP_CNT: 0
; COMPUTE_PGM_RSRC3_GFX90A:ACCUM_OFFSET: 1
; COMPUTE_PGM_RSRC3_GFX90A:TG_SPLIT: 0
	.section	.text._ZN2at6native29vectorized_elementwise_kernelILi8ENS0_11FillFunctorIN3c1011Float8_e5m2EEESt5arrayIPcLm1EEEEviT0_T1_,"axG",@progbits,_ZN2at6native29vectorized_elementwise_kernelILi8ENS0_11FillFunctorIN3c1011Float8_e5m2EEESt5arrayIPcLm1EEEEviT0_T1_,comdat
	.protected	_ZN2at6native29vectorized_elementwise_kernelILi8ENS0_11FillFunctorIN3c1011Float8_e5m2EEESt5arrayIPcLm1EEEEviT0_T1_ ; -- Begin function _ZN2at6native29vectorized_elementwise_kernelILi8ENS0_11FillFunctorIN3c1011Float8_e5m2EEESt5arrayIPcLm1EEEEviT0_T1_
	.globl	_ZN2at6native29vectorized_elementwise_kernelILi8ENS0_11FillFunctorIN3c1011Float8_e5m2EEESt5arrayIPcLm1EEEEviT0_T1_
	.p2align	8
	.type	_ZN2at6native29vectorized_elementwise_kernelILi8ENS0_11FillFunctorIN3c1011Float8_e5m2EEESt5arrayIPcLm1EEEEviT0_T1_,@function
_ZN2at6native29vectorized_elementwise_kernelILi8ENS0_11FillFunctorIN3c1011Float8_e5m2EEESt5arrayIPcLm1EEEEviT0_T1_: ; @_ZN2at6native29vectorized_elementwise_kernelILi8ENS0_11FillFunctorIN3c1011Float8_e5m2EEESt5arrayIPcLm1EEEEviT0_T1_
; %bb.0:
	s_load_dwordx4 s[0:3], s[4:5], 0x0
	s_lshl_b32 s6, s6, 12
	s_mov_b64 s[4:5], -1
	s_waitcnt lgkmcnt(0)
	s_sub_i32 s0, s0, s6
	s_cmpk_gt_i32 s0, 0xfff
	s_cbranch_scc0 .LBB113_2
; %bb.1:
	s_ashr_i32 s5, s6, 31
	s_add_u32 s4, s2, s6
	s_addc_u32 s5, s3, s5
	s_and_b32 s7, s1, 0xff
	s_mul_i32 s8, s7, 0x1010101
	s_mov_b32 s9, s8
	v_lshlrev_b32_e32 v1, 3, v0
	v_pk_mov_b32 v[2:3], s[8:9], s[8:9] op_sel:[0,1]
	global_store_dwordx2 v1, v[2:3], s[4:5]
	global_store_dwordx2 v1, v[2:3], s[4:5] offset:2048
	s_mov_b64 s[4:5], 0
.LBB113_2:
	s_andn2_b64 vcc, exec, s[4:5]
	s_cbranch_vccnz .LBB113_20
; %bb.3:
	v_cmp_gt_i32_e32 vcc, s0, v0
	s_and_saveexec_b64 s[4:5], vcc
	s_cbranch_execnz .LBB113_21
; %bb.4:
	s_or_b64 exec, exec, s[4:5]
	v_cmp_gt_i32_e32 vcc, s0, v0
	s_and_saveexec_b64 s[4:5], vcc
	s_cbranch_execnz .LBB113_22
.LBB113_5:
	s_or_b64 exec, exec, s[4:5]
	v_cmp_gt_i32_e32 vcc, s0, v0
	s_and_saveexec_b64 s[4:5], vcc
	s_cbranch_execnz .LBB113_23
.LBB113_6:
	s_or_b64 exec, exec, s[4:5]
	v_cmp_gt_i32_e32 vcc, s0, v0
	s_and_saveexec_b64 s[4:5], vcc
	s_cbranch_execnz .LBB113_24
.LBB113_7:
	s_or_b64 exec, exec, s[4:5]
	v_cmp_gt_i32_e32 vcc, s0, v0
	s_and_saveexec_b64 s[4:5], vcc
	s_cbranch_execnz .LBB113_25
.LBB113_8:
	s_or_b64 exec, exec, s[4:5]
	v_cmp_gt_i32_e32 vcc, s0, v0
	s_and_saveexec_b64 s[4:5], vcc
	s_cbranch_execnz .LBB113_26
.LBB113_9:
	s_or_b64 exec, exec, s[4:5]
	v_cmp_gt_i32_e32 vcc, s0, v0
	s_and_saveexec_b64 s[4:5], vcc
	s_cbranch_execnz .LBB113_27
.LBB113_10:
	s_or_b64 exec, exec, s[4:5]
	v_cmp_gt_i32_e32 vcc, s0, v0
	s_and_saveexec_b64 s[4:5], vcc
	s_cbranch_execnz .LBB113_28
.LBB113_11:
	s_or_b64 exec, exec, s[4:5]
	v_cmp_gt_i32_e32 vcc, s0, v0
	s_and_saveexec_b64 s[4:5], vcc
	s_cbranch_execnz .LBB113_29
.LBB113_12:
	s_or_b64 exec, exec, s[4:5]
	v_cmp_gt_i32_e32 vcc, s0, v0
	s_and_saveexec_b64 s[4:5], vcc
	s_cbranch_execnz .LBB113_30
.LBB113_13:
	s_or_b64 exec, exec, s[4:5]
	v_cmp_gt_i32_e32 vcc, s0, v0
	s_and_saveexec_b64 s[4:5], vcc
	s_cbranch_execnz .LBB113_31
.LBB113_14:
	s_or_b64 exec, exec, s[4:5]
	v_cmp_gt_i32_e32 vcc, s0, v0
	s_and_saveexec_b64 s[4:5], vcc
	s_cbranch_execnz .LBB113_32
.LBB113_15:
	s_or_b64 exec, exec, s[4:5]
	v_cmp_gt_i32_e32 vcc, s0, v0
	s_and_saveexec_b64 s[4:5], vcc
	s_cbranch_execnz .LBB113_33
.LBB113_16:
	s_or_b64 exec, exec, s[4:5]
	v_cmp_gt_i32_e32 vcc, s0, v0
	s_and_saveexec_b64 s[4:5], vcc
	s_cbranch_execnz .LBB113_34
.LBB113_17:
	s_or_b64 exec, exec, s[4:5]
	v_cmp_gt_i32_e32 vcc, s0, v0
	s_and_saveexec_b64 s[4:5], vcc
	s_cbranch_execnz .LBB113_35
.LBB113_18:
	s_or_b64 exec, exec, s[4:5]
	v_cmp_gt_i32_e32 vcc, s0, v0
	s_and_saveexec_b64 s[4:5], vcc
	s_cbranch_execz .LBB113_20
.LBB113_19:
	v_add_u32_e32 v0, s6, v0
	v_mov_b32_e32 v1, s1
	global_store_byte v0, v1, s[2:3]
.LBB113_20:
	s_endpgm
.LBB113_21:
	v_or_b32_e32 v1, 0x100, v0
	v_or_b32_e32 v0, s6, v0
	v_mov_b32_e32 v2, s1
	global_store_byte v0, v2, s[2:3]
	v_mov_b32_e32 v0, v1
	s_or_b64 exec, exec, s[4:5]
	v_cmp_gt_i32_e32 vcc, s0, v0
	s_and_saveexec_b64 s[4:5], vcc
	s_cbranch_execz .LBB113_5
.LBB113_22:
	v_add_u32_e32 v1, s6, v0
	v_add_u32_e32 v0, 0x100, v0
	v_mov_b32_e32 v2, s1
	global_store_byte v1, v2, s[2:3]
	s_or_b64 exec, exec, s[4:5]
	v_cmp_gt_i32_e32 vcc, s0, v0
	s_and_saveexec_b64 s[4:5], vcc
	s_cbranch_execz .LBB113_6
.LBB113_23:
	v_add_u32_e32 v1, s6, v0
	v_add_u32_e32 v0, 0x100, v0
	v_mov_b32_e32 v2, s1
	global_store_byte v1, v2, s[2:3]
	s_or_b64 exec, exec, s[4:5]
	v_cmp_gt_i32_e32 vcc, s0, v0
	s_and_saveexec_b64 s[4:5], vcc
	s_cbranch_execz .LBB113_7
.LBB113_24:
	v_add_u32_e32 v1, s6, v0
	v_add_u32_e32 v0, 0x100, v0
	v_mov_b32_e32 v2, s1
	global_store_byte v1, v2, s[2:3]
	s_or_b64 exec, exec, s[4:5]
	v_cmp_gt_i32_e32 vcc, s0, v0
	s_and_saveexec_b64 s[4:5], vcc
	s_cbranch_execz .LBB113_8
.LBB113_25:
	v_add_u32_e32 v1, s6, v0
	v_add_u32_e32 v0, 0x100, v0
	v_mov_b32_e32 v2, s1
	global_store_byte v1, v2, s[2:3]
	s_or_b64 exec, exec, s[4:5]
	v_cmp_gt_i32_e32 vcc, s0, v0
	s_and_saveexec_b64 s[4:5], vcc
	s_cbranch_execz .LBB113_9
.LBB113_26:
	v_add_u32_e32 v1, s6, v0
	v_add_u32_e32 v0, 0x100, v0
	v_mov_b32_e32 v2, s1
	global_store_byte v1, v2, s[2:3]
	s_or_b64 exec, exec, s[4:5]
	v_cmp_gt_i32_e32 vcc, s0, v0
	s_and_saveexec_b64 s[4:5], vcc
	s_cbranch_execz .LBB113_10
.LBB113_27:
	v_add_u32_e32 v1, s6, v0
	v_add_u32_e32 v0, 0x100, v0
	v_mov_b32_e32 v2, s1
	global_store_byte v1, v2, s[2:3]
	s_or_b64 exec, exec, s[4:5]
	v_cmp_gt_i32_e32 vcc, s0, v0
	s_and_saveexec_b64 s[4:5], vcc
	s_cbranch_execz .LBB113_11
.LBB113_28:
	v_add_u32_e32 v1, s6, v0
	v_add_u32_e32 v0, 0x100, v0
	v_mov_b32_e32 v2, s1
	global_store_byte v1, v2, s[2:3]
	s_or_b64 exec, exec, s[4:5]
	v_cmp_gt_i32_e32 vcc, s0, v0
	s_and_saveexec_b64 s[4:5], vcc
	s_cbranch_execz .LBB113_12
.LBB113_29:
	v_add_u32_e32 v1, s6, v0
	v_add_u32_e32 v0, 0x100, v0
	v_mov_b32_e32 v2, s1
	global_store_byte v1, v2, s[2:3]
	s_or_b64 exec, exec, s[4:5]
	v_cmp_gt_i32_e32 vcc, s0, v0
	s_and_saveexec_b64 s[4:5], vcc
	s_cbranch_execz .LBB113_13
.LBB113_30:
	v_add_u32_e32 v1, s6, v0
	v_add_u32_e32 v0, 0x100, v0
	v_mov_b32_e32 v2, s1
	global_store_byte v1, v2, s[2:3]
	s_or_b64 exec, exec, s[4:5]
	v_cmp_gt_i32_e32 vcc, s0, v0
	s_and_saveexec_b64 s[4:5], vcc
	s_cbranch_execz .LBB113_14
.LBB113_31:
	v_add_u32_e32 v1, s6, v0
	v_add_u32_e32 v0, 0x100, v0
	v_mov_b32_e32 v2, s1
	global_store_byte v1, v2, s[2:3]
	s_or_b64 exec, exec, s[4:5]
	v_cmp_gt_i32_e32 vcc, s0, v0
	s_and_saveexec_b64 s[4:5], vcc
	s_cbranch_execz .LBB113_15
.LBB113_32:
	v_add_u32_e32 v1, s6, v0
	v_add_u32_e32 v0, 0x100, v0
	v_mov_b32_e32 v2, s1
	global_store_byte v1, v2, s[2:3]
	s_or_b64 exec, exec, s[4:5]
	v_cmp_gt_i32_e32 vcc, s0, v0
	s_and_saveexec_b64 s[4:5], vcc
	s_cbranch_execz .LBB113_16
.LBB113_33:
	v_add_u32_e32 v1, s6, v0
	v_add_u32_e32 v0, 0x100, v0
	v_mov_b32_e32 v2, s1
	global_store_byte v1, v2, s[2:3]
	s_or_b64 exec, exec, s[4:5]
	v_cmp_gt_i32_e32 vcc, s0, v0
	s_and_saveexec_b64 s[4:5], vcc
	s_cbranch_execz .LBB113_17
.LBB113_34:
	v_add_u32_e32 v1, s6, v0
	v_add_u32_e32 v0, 0x100, v0
	v_mov_b32_e32 v2, s1
	global_store_byte v1, v2, s[2:3]
	s_or_b64 exec, exec, s[4:5]
	v_cmp_gt_i32_e32 vcc, s0, v0
	s_and_saveexec_b64 s[4:5], vcc
	s_cbranch_execz .LBB113_18
.LBB113_35:
	v_add_u32_e32 v1, s6, v0
	v_add_u32_e32 v0, 0x100, v0
	v_mov_b32_e32 v2, s1
	global_store_byte v1, v2, s[2:3]
	s_or_b64 exec, exec, s[4:5]
	v_cmp_gt_i32_e32 vcc, s0, v0
	s_and_saveexec_b64 s[4:5], vcc
	s_cbranch_execnz .LBB113_19
	s_branch .LBB113_20
	.section	.rodata,"a",@progbits
	.p2align	6, 0x0
	.amdhsa_kernel _ZN2at6native29vectorized_elementwise_kernelILi8ENS0_11FillFunctorIN3c1011Float8_e5m2EEESt5arrayIPcLm1EEEEviT0_T1_
		.amdhsa_group_segment_fixed_size 0
		.amdhsa_private_segment_fixed_size 0
		.amdhsa_kernarg_size 16
		.amdhsa_user_sgpr_count 6
		.amdhsa_user_sgpr_private_segment_buffer 1
		.amdhsa_user_sgpr_dispatch_ptr 0
		.amdhsa_user_sgpr_queue_ptr 0
		.amdhsa_user_sgpr_kernarg_segment_ptr 1
		.amdhsa_user_sgpr_dispatch_id 0
		.amdhsa_user_sgpr_flat_scratch_init 0
		.amdhsa_user_sgpr_kernarg_preload_length 0
		.amdhsa_user_sgpr_kernarg_preload_offset 0
		.amdhsa_user_sgpr_private_segment_size 0
		.amdhsa_uses_dynamic_stack 0
		.amdhsa_system_sgpr_private_segment_wavefront_offset 0
		.amdhsa_system_sgpr_workgroup_id_x 1
		.amdhsa_system_sgpr_workgroup_id_y 0
		.amdhsa_system_sgpr_workgroup_id_z 0
		.amdhsa_system_sgpr_workgroup_info 0
		.amdhsa_system_vgpr_workitem_id 0
		.amdhsa_next_free_vgpr 4
		.amdhsa_next_free_sgpr 10
		.amdhsa_accum_offset 4
		.amdhsa_reserve_vcc 1
		.amdhsa_reserve_flat_scratch 0
		.amdhsa_float_round_mode_32 0
		.amdhsa_float_round_mode_16_64 0
		.amdhsa_float_denorm_mode_32 3
		.amdhsa_float_denorm_mode_16_64 3
		.amdhsa_dx10_clamp 1
		.amdhsa_ieee_mode 1
		.amdhsa_fp16_overflow 0
		.amdhsa_tg_split 0
		.amdhsa_exception_fp_ieee_invalid_op 0
		.amdhsa_exception_fp_denorm_src 0
		.amdhsa_exception_fp_ieee_div_zero 0
		.amdhsa_exception_fp_ieee_overflow 0
		.amdhsa_exception_fp_ieee_underflow 0
		.amdhsa_exception_fp_ieee_inexact 0
		.amdhsa_exception_int_div_zero 0
	.end_amdhsa_kernel
	.section	.text._ZN2at6native29vectorized_elementwise_kernelILi8ENS0_11FillFunctorIN3c1011Float8_e5m2EEESt5arrayIPcLm1EEEEviT0_T1_,"axG",@progbits,_ZN2at6native29vectorized_elementwise_kernelILi8ENS0_11FillFunctorIN3c1011Float8_e5m2EEESt5arrayIPcLm1EEEEviT0_T1_,comdat
.Lfunc_end113:
	.size	_ZN2at6native29vectorized_elementwise_kernelILi8ENS0_11FillFunctorIN3c1011Float8_e5m2EEESt5arrayIPcLm1EEEEviT0_T1_, .Lfunc_end113-_ZN2at6native29vectorized_elementwise_kernelILi8ENS0_11FillFunctorIN3c1011Float8_e5m2EEESt5arrayIPcLm1EEEEviT0_T1_
                                        ; -- End function
	.section	.AMDGPU.csdata,"",@progbits
; Kernel info:
; codeLenInByte = 984
; NumSgprs: 14
; NumVgprs: 4
; NumAgprs: 0
; TotalNumVgprs: 4
; ScratchSize: 0
; MemoryBound: 0
; FloatMode: 240
; IeeeMode: 1
; LDSByteSize: 0 bytes/workgroup (compile time only)
; SGPRBlocks: 1
; VGPRBlocks: 0
; NumSGPRsForWavesPerEU: 14
; NumVGPRsForWavesPerEU: 4
; AccumOffset: 4
; Occupancy: 8
; WaveLimiterHint : 1
; COMPUTE_PGM_RSRC2:SCRATCH_EN: 0
; COMPUTE_PGM_RSRC2:USER_SGPR: 6
; COMPUTE_PGM_RSRC2:TRAP_HANDLER: 0
; COMPUTE_PGM_RSRC2:TGID_X_EN: 1
; COMPUTE_PGM_RSRC2:TGID_Y_EN: 0
; COMPUTE_PGM_RSRC2:TGID_Z_EN: 0
; COMPUTE_PGM_RSRC2:TIDIG_COMP_CNT: 0
; COMPUTE_PGM_RSRC3_GFX90A:ACCUM_OFFSET: 0
; COMPUTE_PGM_RSRC3_GFX90A:TG_SPLIT: 0
	.section	.text._ZN2at6native29vectorized_elementwise_kernelILi4ENS0_11FillFunctorIN3c1011Float8_e5m2EEESt5arrayIPcLm1EEEEviT0_T1_,"axG",@progbits,_ZN2at6native29vectorized_elementwise_kernelILi4ENS0_11FillFunctorIN3c1011Float8_e5m2EEESt5arrayIPcLm1EEEEviT0_T1_,comdat
	.protected	_ZN2at6native29vectorized_elementwise_kernelILi4ENS0_11FillFunctorIN3c1011Float8_e5m2EEESt5arrayIPcLm1EEEEviT0_T1_ ; -- Begin function _ZN2at6native29vectorized_elementwise_kernelILi4ENS0_11FillFunctorIN3c1011Float8_e5m2EEESt5arrayIPcLm1EEEEviT0_T1_
	.globl	_ZN2at6native29vectorized_elementwise_kernelILi4ENS0_11FillFunctorIN3c1011Float8_e5m2EEESt5arrayIPcLm1EEEEviT0_T1_
	.p2align	8
	.type	_ZN2at6native29vectorized_elementwise_kernelILi4ENS0_11FillFunctorIN3c1011Float8_e5m2EEESt5arrayIPcLm1EEEEviT0_T1_,@function
_ZN2at6native29vectorized_elementwise_kernelILi4ENS0_11FillFunctorIN3c1011Float8_e5m2EEESt5arrayIPcLm1EEEEviT0_T1_: ; @_ZN2at6native29vectorized_elementwise_kernelILi4ENS0_11FillFunctorIN3c1011Float8_e5m2EEESt5arrayIPcLm1EEEEviT0_T1_
; %bb.0:
	s_load_dwordx4 s[0:3], s[4:5], 0x0
	s_lshl_b32 s6, s6, 12
	s_mov_b64 s[4:5], -1
	s_waitcnt lgkmcnt(0)
	s_sub_i32 s0, s0, s6
	s_cmpk_gt_i32 s0, 0xfff
	s_cbranch_scc0 .LBB114_2
; %bb.1:
	s_ashr_i32 s5, s6, 31
	s_add_u32 s4, s2, s6
	s_addc_u32 s5, s3, s5
	s_and_b32 s7, s1, 0xff
	s_mul_i32 s7, s7, 0x1010101
	v_lshlrev_b32_e32 v1, 2, v0
	v_mov_b32_e32 v2, s7
	global_store_dword v1, v2, s[4:5]
	global_store_dword v1, v2, s[4:5] offset:1024
	global_store_dword v1, v2, s[4:5] offset:2048
	;; [unrolled: 1-line block ×3, first 2 shown]
	s_mov_b64 s[4:5], 0
.LBB114_2:
	s_andn2_b64 vcc, exec, s[4:5]
	s_cbranch_vccnz .LBB114_20
; %bb.3:
	v_cmp_gt_i32_e32 vcc, s0, v0
	s_and_saveexec_b64 s[4:5], vcc
	s_cbranch_execnz .LBB114_21
; %bb.4:
	s_or_b64 exec, exec, s[4:5]
	v_cmp_gt_i32_e32 vcc, s0, v0
	s_and_saveexec_b64 s[4:5], vcc
	s_cbranch_execnz .LBB114_22
.LBB114_5:
	s_or_b64 exec, exec, s[4:5]
	v_cmp_gt_i32_e32 vcc, s0, v0
	s_and_saveexec_b64 s[4:5], vcc
	s_cbranch_execnz .LBB114_23
.LBB114_6:
	s_or_b64 exec, exec, s[4:5]
	v_cmp_gt_i32_e32 vcc, s0, v0
	s_and_saveexec_b64 s[4:5], vcc
	s_cbranch_execnz .LBB114_24
.LBB114_7:
	s_or_b64 exec, exec, s[4:5]
	v_cmp_gt_i32_e32 vcc, s0, v0
	s_and_saveexec_b64 s[4:5], vcc
	s_cbranch_execnz .LBB114_25
.LBB114_8:
	s_or_b64 exec, exec, s[4:5]
	v_cmp_gt_i32_e32 vcc, s0, v0
	s_and_saveexec_b64 s[4:5], vcc
	s_cbranch_execnz .LBB114_26
.LBB114_9:
	s_or_b64 exec, exec, s[4:5]
	v_cmp_gt_i32_e32 vcc, s0, v0
	s_and_saveexec_b64 s[4:5], vcc
	s_cbranch_execnz .LBB114_27
.LBB114_10:
	s_or_b64 exec, exec, s[4:5]
	v_cmp_gt_i32_e32 vcc, s0, v0
	s_and_saveexec_b64 s[4:5], vcc
	s_cbranch_execnz .LBB114_28
.LBB114_11:
	s_or_b64 exec, exec, s[4:5]
	v_cmp_gt_i32_e32 vcc, s0, v0
	s_and_saveexec_b64 s[4:5], vcc
	s_cbranch_execnz .LBB114_29
.LBB114_12:
	s_or_b64 exec, exec, s[4:5]
	v_cmp_gt_i32_e32 vcc, s0, v0
	s_and_saveexec_b64 s[4:5], vcc
	s_cbranch_execnz .LBB114_30
.LBB114_13:
	s_or_b64 exec, exec, s[4:5]
	v_cmp_gt_i32_e32 vcc, s0, v0
	s_and_saveexec_b64 s[4:5], vcc
	s_cbranch_execnz .LBB114_31
.LBB114_14:
	s_or_b64 exec, exec, s[4:5]
	v_cmp_gt_i32_e32 vcc, s0, v0
	s_and_saveexec_b64 s[4:5], vcc
	s_cbranch_execnz .LBB114_32
.LBB114_15:
	s_or_b64 exec, exec, s[4:5]
	v_cmp_gt_i32_e32 vcc, s0, v0
	s_and_saveexec_b64 s[4:5], vcc
	s_cbranch_execnz .LBB114_33
.LBB114_16:
	s_or_b64 exec, exec, s[4:5]
	v_cmp_gt_i32_e32 vcc, s0, v0
	s_and_saveexec_b64 s[4:5], vcc
	s_cbranch_execnz .LBB114_34
.LBB114_17:
	s_or_b64 exec, exec, s[4:5]
	v_cmp_gt_i32_e32 vcc, s0, v0
	s_and_saveexec_b64 s[4:5], vcc
	s_cbranch_execnz .LBB114_35
.LBB114_18:
	s_or_b64 exec, exec, s[4:5]
	v_cmp_gt_i32_e32 vcc, s0, v0
	s_and_saveexec_b64 s[4:5], vcc
	s_cbranch_execz .LBB114_20
.LBB114_19:
	v_add_u32_e32 v0, s6, v0
	v_mov_b32_e32 v1, s1
	global_store_byte v0, v1, s[2:3]
.LBB114_20:
	s_endpgm
.LBB114_21:
	v_or_b32_e32 v1, 0x100, v0
	v_or_b32_e32 v0, s6, v0
	v_mov_b32_e32 v2, s1
	global_store_byte v0, v2, s[2:3]
	v_mov_b32_e32 v0, v1
	s_or_b64 exec, exec, s[4:5]
	v_cmp_gt_i32_e32 vcc, s0, v0
	s_and_saveexec_b64 s[4:5], vcc
	s_cbranch_execz .LBB114_5
.LBB114_22:
	v_add_u32_e32 v1, s6, v0
	v_add_u32_e32 v0, 0x100, v0
	v_mov_b32_e32 v2, s1
	global_store_byte v1, v2, s[2:3]
	s_or_b64 exec, exec, s[4:5]
	v_cmp_gt_i32_e32 vcc, s0, v0
	s_and_saveexec_b64 s[4:5], vcc
	s_cbranch_execz .LBB114_6
.LBB114_23:
	v_add_u32_e32 v1, s6, v0
	v_add_u32_e32 v0, 0x100, v0
	v_mov_b32_e32 v2, s1
	global_store_byte v1, v2, s[2:3]
	s_or_b64 exec, exec, s[4:5]
	v_cmp_gt_i32_e32 vcc, s0, v0
	s_and_saveexec_b64 s[4:5], vcc
	s_cbranch_execz .LBB114_7
.LBB114_24:
	v_add_u32_e32 v1, s6, v0
	v_add_u32_e32 v0, 0x100, v0
	v_mov_b32_e32 v2, s1
	global_store_byte v1, v2, s[2:3]
	s_or_b64 exec, exec, s[4:5]
	v_cmp_gt_i32_e32 vcc, s0, v0
	s_and_saveexec_b64 s[4:5], vcc
	s_cbranch_execz .LBB114_8
.LBB114_25:
	v_add_u32_e32 v1, s6, v0
	v_add_u32_e32 v0, 0x100, v0
	v_mov_b32_e32 v2, s1
	global_store_byte v1, v2, s[2:3]
	s_or_b64 exec, exec, s[4:5]
	v_cmp_gt_i32_e32 vcc, s0, v0
	s_and_saveexec_b64 s[4:5], vcc
	s_cbranch_execz .LBB114_9
.LBB114_26:
	v_add_u32_e32 v1, s6, v0
	v_add_u32_e32 v0, 0x100, v0
	v_mov_b32_e32 v2, s1
	global_store_byte v1, v2, s[2:3]
	s_or_b64 exec, exec, s[4:5]
	v_cmp_gt_i32_e32 vcc, s0, v0
	s_and_saveexec_b64 s[4:5], vcc
	s_cbranch_execz .LBB114_10
.LBB114_27:
	v_add_u32_e32 v1, s6, v0
	v_add_u32_e32 v0, 0x100, v0
	v_mov_b32_e32 v2, s1
	global_store_byte v1, v2, s[2:3]
	s_or_b64 exec, exec, s[4:5]
	v_cmp_gt_i32_e32 vcc, s0, v0
	s_and_saveexec_b64 s[4:5], vcc
	s_cbranch_execz .LBB114_11
.LBB114_28:
	v_add_u32_e32 v1, s6, v0
	v_add_u32_e32 v0, 0x100, v0
	v_mov_b32_e32 v2, s1
	global_store_byte v1, v2, s[2:3]
	s_or_b64 exec, exec, s[4:5]
	v_cmp_gt_i32_e32 vcc, s0, v0
	s_and_saveexec_b64 s[4:5], vcc
	s_cbranch_execz .LBB114_12
.LBB114_29:
	v_add_u32_e32 v1, s6, v0
	v_add_u32_e32 v0, 0x100, v0
	v_mov_b32_e32 v2, s1
	global_store_byte v1, v2, s[2:3]
	s_or_b64 exec, exec, s[4:5]
	v_cmp_gt_i32_e32 vcc, s0, v0
	s_and_saveexec_b64 s[4:5], vcc
	s_cbranch_execz .LBB114_13
.LBB114_30:
	v_add_u32_e32 v1, s6, v0
	v_add_u32_e32 v0, 0x100, v0
	v_mov_b32_e32 v2, s1
	global_store_byte v1, v2, s[2:3]
	s_or_b64 exec, exec, s[4:5]
	v_cmp_gt_i32_e32 vcc, s0, v0
	s_and_saveexec_b64 s[4:5], vcc
	s_cbranch_execz .LBB114_14
.LBB114_31:
	v_add_u32_e32 v1, s6, v0
	v_add_u32_e32 v0, 0x100, v0
	v_mov_b32_e32 v2, s1
	global_store_byte v1, v2, s[2:3]
	s_or_b64 exec, exec, s[4:5]
	v_cmp_gt_i32_e32 vcc, s0, v0
	s_and_saveexec_b64 s[4:5], vcc
	s_cbranch_execz .LBB114_15
.LBB114_32:
	v_add_u32_e32 v1, s6, v0
	v_add_u32_e32 v0, 0x100, v0
	v_mov_b32_e32 v2, s1
	global_store_byte v1, v2, s[2:3]
	s_or_b64 exec, exec, s[4:5]
	v_cmp_gt_i32_e32 vcc, s0, v0
	s_and_saveexec_b64 s[4:5], vcc
	s_cbranch_execz .LBB114_16
.LBB114_33:
	v_add_u32_e32 v1, s6, v0
	v_add_u32_e32 v0, 0x100, v0
	v_mov_b32_e32 v2, s1
	global_store_byte v1, v2, s[2:3]
	s_or_b64 exec, exec, s[4:5]
	v_cmp_gt_i32_e32 vcc, s0, v0
	s_and_saveexec_b64 s[4:5], vcc
	s_cbranch_execz .LBB114_17
.LBB114_34:
	v_add_u32_e32 v1, s6, v0
	v_add_u32_e32 v0, 0x100, v0
	v_mov_b32_e32 v2, s1
	global_store_byte v1, v2, s[2:3]
	s_or_b64 exec, exec, s[4:5]
	v_cmp_gt_i32_e32 vcc, s0, v0
	s_and_saveexec_b64 s[4:5], vcc
	s_cbranch_execz .LBB114_18
.LBB114_35:
	v_add_u32_e32 v1, s6, v0
	v_add_u32_e32 v0, 0x100, v0
	v_mov_b32_e32 v2, s1
	global_store_byte v1, v2, s[2:3]
	s_or_b64 exec, exec, s[4:5]
	v_cmp_gt_i32_e32 vcc, s0, v0
	s_and_saveexec_b64 s[4:5], vcc
	s_cbranch_execnz .LBB114_19
	s_branch .LBB114_20
	.section	.rodata,"a",@progbits
	.p2align	6, 0x0
	.amdhsa_kernel _ZN2at6native29vectorized_elementwise_kernelILi4ENS0_11FillFunctorIN3c1011Float8_e5m2EEESt5arrayIPcLm1EEEEviT0_T1_
		.amdhsa_group_segment_fixed_size 0
		.amdhsa_private_segment_fixed_size 0
		.amdhsa_kernarg_size 16
		.amdhsa_user_sgpr_count 6
		.amdhsa_user_sgpr_private_segment_buffer 1
		.amdhsa_user_sgpr_dispatch_ptr 0
		.amdhsa_user_sgpr_queue_ptr 0
		.amdhsa_user_sgpr_kernarg_segment_ptr 1
		.amdhsa_user_sgpr_dispatch_id 0
		.amdhsa_user_sgpr_flat_scratch_init 0
		.amdhsa_user_sgpr_kernarg_preload_length 0
		.amdhsa_user_sgpr_kernarg_preload_offset 0
		.amdhsa_user_sgpr_private_segment_size 0
		.amdhsa_uses_dynamic_stack 0
		.amdhsa_system_sgpr_private_segment_wavefront_offset 0
		.amdhsa_system_sgpr_workgroup_id_x 1
		.amdhsa_system_sgpr_workgroup_id_y 0
		.amdhsa_system_sgpr_workgroup_id_z 0
		.amdhsa_system_sgpr_workgroup_info 0
		.amdhsa_system_vgpr_workitem_id 0
		.amdhsa_next_free_vgpr 3
		.amdhsa_next_free_sgpr 8
		.amdhsa_accum_offset 4
		.amdhsa_reserve_vcc 1
		.amdhsa_reserve_flat_scratch 0
		.amdhsa_float_round_mode_32 0
		.amdhsa_float_round_mode_16_64 0
		.amdhsa_float_denorm_mode_32 3
		.amdhsa_float_denorm_mode_16_64 3
		.amdhsa_dx10_clamp 1
		.amdhsa_ieee_mode 1
		.amdhsa_fp16_overflow 0
		.amdhsa_tg_split 0
		.amdhsa_exception_fp_ieee_invalid_op 0
		.amdhsa_exception_fp_denorm_src 0
		.amdhsa_exception_fp_ieee_div_zero 0
		.amdhsa_exception_fp_ieee_overflow 0
		.amdhsa_exception_fp_ieee_underflow 0
		.amdhsa_exception_fp_ieee_inexact 0
		.amdhsa_exception_int_div_zero 0
	.end_amdhsa_kernel
	.section	.text._ZN2at6native29vectorized_elementwise_kernelILi4ENS0_11FillFunctorIN3c1011Float8_e5m2EEESt5arrayIPcLm1EEEEviT0_T1_,"axG",@progbits,_ZN2at6native29vectorized_elementwise_kernelILi4ENS0_11FillFunctorIN3c1011Float8_e5m2EEESt5arrayIPcLm1EEEEviT0_T1_,comdat
.Lfunc_end114:
	.size	_ZN2at6native29vectorized_elementwise_kernelILi4ENS0_11FillFunctorIN3c1011Float8_e5m2EEESt5arrayIPcLm1EEEEviT0_T1_, .Lfunc_end114-_ZN2at6native29vectorized_elementwise_kernelILi4ENS0_11FillFunctorIN3c1011Float8_e5m2EEESt5arrayIPcLm1EEEEviT0_T1_
                                        ; -- End function
	.section	.AMDGPU.csdata,"",@progbits
; Kernel info:
; codeLenInByte = 992
; NumSgprs: 12
; NumVgprs: 3
; NumAgprs: 0
; TotalNumVgprs: 3
; ScratchSize: 0
; MemoryBound: 0
; FloatMode: 240
; IeeeMode: 1
; LDSByteSize: 0 bytes/workgroup (compile time only)
; SGPRBlocks: 1
; VGPRBlocks: 0
; NumSGPRsForWavesPerEU: 12
; NumVGPRsForWavesPerEU: 3
; AccumOffset: 4
; Occupancy: 8
; WaveLimiterHint : 1
; COMPUTE_PGM_RSRC2:SCRATCH_EN: 0
; COMPUTE_PGM_RSRC2:USER_SGPR: 6
; COMPUTE_PGM_RSRC2:TRAP_HANDLER: 0
; COMPUTE_PGM_RSRC2:TGID_X_EN: 1
; COMPUTE_PGM_RSRC2:TGID_Y_EN: 0
; COMPUTE_PGM_RSRC2:TGID_Z_EN: 0
; COMPUTE_PGM_RSRC2:TIDIG_COMP_CNT: 0
; COMPUTE_PGM_RSRC3_GFX90A:ACCUM_OFFSET: 0
; COMPUTE_PGM_RSRC3_GFX90A:TG_SPLIT: 0
	.section	.text._ZN2at6native29vectorized_elementwise_kernelILi2ENS0_11FillFunctorIN3c1011Float8_e5m2EEESt5arrayIPcLm1EEEEviT0_T1_,"axG",@progbits,_ZN2at6native29vectorized_elementwise_kernelILi2ENS0_11FillFunctorIN3c1011Float8_e5m2EEESt5arrayIPcLm1EEEEviT0_T1_,comdat
	.protected	_ZN2at6native29vectorized_elementwise_kernelILi2ENS0_11FillFunctorIN3c1011Float8_e5m2EEESt5arrayIPcLm1EEEEviT0_T1_ ; -- Begin function _ZN2at6native29vectorized_elementwise_kernelILi2ENS0_11FillFunctorIN3c1011Float8_e5m2EEESt5arrayIPcLm1EEEEviT0_T1_
	.globl	_ZN2at6native29vectorized_elementwise_kernelILi2ENS0_11FillFunctorIN3c1011Float8_e5m2EEESt5arrayIPcLm1EEEEviT0_T1_
	.p2align	8
	.type	_ZN2at6native29vectorized_elementwise_kernelILi2ENS0_11FillFunctorIN3c1011Float8_e5m2EEESt5arrayIPcLm1EEEEviT0_T1_,@function
_ZN2at6native29vectorized_elementwise_kernelILi2ENS0_11FillFunctorIN3c1011Float8_e5m2EEESt5arrayIPcLm1EEEEviT0_T1_: ; @_ZN2at6native29vectorized_elementwise_kernelILi2ENS0_11FillFunctorIN3c1011Float8_e5m2EEESt5arrayIPcLm1EEEEviT0_T1_
; %bb.0:
	s_load_dwordx4 s[0:3], s[4:5], 0x0
	s_lshl_b32 s6, s6, 12
	s_mov_b64 s[4:5], -1
	s_waitcnt lgkmcnt(0)
	s_sub_i32 s0, s0, s6
	s_cmpk_gt_i32 s0, 0xfff
	s_cbranch_scc0 .LBB115_2
; %bb.1:
	s_ashr_i32 s5, s6, 31
	s_add_u32 s4, s2, s6
	v_mov_b32_e32 v2, 0x101
	s_addc_u32 s5, s3, s5
	v_lshlrev_b32_e32 v1, 1, v0
	v_mul_lo_u16_sdwa v2, s1, v2 dst_sel:DWORD dst_unused:UNUSED_PAD src0_sel:BYTE_0 src1_sel:DWORD
	global_store_short v1, v2, s[4:5]
	global_store_short v1, v2, s[4:5] offset:512
	global_store_short v1, v2, s[4:5] offset:1024
	;; [unrolled: 1-line block ×7, first 2 shown]
	s_mov_b64 s[4:5], 0
.LBB115_2:
	s_andn2_b64 vcc, exec, s[4:5]
	s_cbranch_vccnz .LBB115_20
; %bb.3:
	v_cmp_gt_i32_e32 vcc, s0, v0
	s_and_saveexec_b64 s[4:5], vcc
	s_cbranch_execnz .LBB115_21
; %bb.4:
	s_or_b64 exec, exec, s[4:5]
	v_cmp_gt_i32_e32 vcc, s0, v0
	s_and_saveexec_b64 s[4:5], vcc
	s_cbranch_execnz .LBB115_22
.LBB115_5:
	s_or_b64 exec, exec, s[4:5]
	v_cmp_gt_i32_e32 vcc, s0, v0
	s_and_saveexec_b64 s[4:5], vcc
	s_cbranch_execnz .LBB115_23
.LBB115_6:
	s_or_b64 exec, exec, s[4:5]
	v_cmp_gt_i32_e32 vcc, s0, v0
	s_and_saveexec_b64 s[4:5], vcc
	s_cbranch_execnz .LBB115_24
.LBB115_7:
	s_or_b64 exec, exec, s[4:5]
	v_cmp_gt_i32_e32 vcc, s0, v0
	s_and_saveexec_b64 s[4:5], vcc
	s_cbranch_execnz .LBB115_25
.LBB115_8:
	s_or_b64 exec, exec, s[4:5]
	v_cmp_gt_i32_e32 vcc, s0, v0
	s_and_saveexec_b64 s[4:5], vcc
	s_cbranch_execnz .LBB115_26
.LBB115_9:
	s_or_b64 exec, exec, s[4:5]
	v_cmp_gt_i32_e32 vcc, s0, v0
	s_and_saveexec_b64 s[4:5], vcc
	s_cbranch_execnz .LBB115_27
.LBB115_10:
	s_or_b64 exec, exec, s[4:5]
	v_cmp_gt_i32_e32 vcc, s0, v0
	s_and_saveexec_b64 s[4:5], vcc
	s_cbranch_execnz .LBB115_28
.LBB115_11:
	s_or_b64 exec, exec, s[4:5]
	v_cmp_gt_i32_e32 vcc, s0, v0
	s_and_saveexec_b64 s[4:5], vcc
	s_cbranch_execnz .LBB115_29
.LBB115_12:
	s_or_b64 exec, exec, s[4:5]
	v_cmp_gt_i32_e32 vcc, s0, v0
	s_and_saveexec_b64 s[4:5], vcc
	s_cbranch_execnz .LBB115_30
.LBB115_13:
	s_or_b64 exec, exec, s[4:5]
	v_cmp_gt_i32_e32 vcc, s0, v0
	s_and_saveexec_b64 s[4:5], vcc
	s_cbranch_execnz .LBB115_31
.LBB115_14:
	s_or_b64 exec, exec, s[4:5]
	v_cmp_gt_i32_e32 vcc, s0, v0
	s_and_saveexec_b64 s[4:5], vcc
	s_cbranch_execnz .LBB115_32
.LBB115_15:
	s_or_b64 exec, exec, s[4:5]
	v_cmp_gt_i32_e32 vcc, s0, v0
	s_and_saveexec_b64 s[4:5], vcc
	s_cbranch_execnz .LBB115_33
.LBB115_16:
	s_or_b64 exec, exec, s[4:5]
	v_cmp_gt_i32_e32 vcc, s0, v0
	s_and_saveexec_b64 s[4:5], vcc
	s_cbranch_execnz .LBB115_34
.LBB115_17:
	s_or_b64 exec, exec, s[4:5]
	v_cmp_gt_i32_e32 vcc, s0, v0
	s_and_saveexec_b64 s[4:5], vcc
	s_cbranch_execnz .LBB115_35
.LBB115_18:
	s_or_b64 exec, exec, s[4:5]
	v_cmp_gt_i32_e32 vcc, s0, v0
	s_and_saveexec_b64 s[4:5], vcc
	s_cbranch_execz .LBB115_20
.LBB115_19:
	v_add_u32_e32 v0, s6, v0
	v_mov_b32_e32 v1, s1
	global_store_byte v0, v1, s[2:3]
.LBB115_20:
	s_endpgm
.LBB115_21:
	v_or_b32_e32 v1, 0x100, v0
	v_or_b32_e32 v0, s6, v0
	v_mov_b32_e32 v2, s1
	global_store_byte v0, v2, s[2:3]
	v_mov_b32_e32 v0, v1
	s_or_b64 exec, exec, s[4:5]
	v_cmp_gt_i32_e32 vcc, s0, v0
	s_and_saveexec_b64 s[4:5], vcc
	s_cbranch_execz .LBB115_5
.LBB115_22:
	v_add_u32_e32 v1, s6, v0
	v_add_u32_e32 v0, 0x100, v0
	v_mov_b32_e32 v2, s1
	global_store_byte v1, v2, s[2:3]
	s_or_b64 exec, exec, s[4:5]
	v_cmp_gt_i32_e32 vcc, s0, v0
	s_and_saveexec_b64 s[4:5], vcc
	s_cbranch_execz .LBB115_6
.LBB115_23:
	v_add_u32_e32 v1, s6, v0
	v_add_u32_e32 v0, 0x100, v0
	v_mov_b32_e32 v2, s1
	global_store_byte v1, v2, s[2:3]
	s_or_b64 exec, exec, s[4:5]
	v_cmp_gt_i32_e32 vcc, s0, v0
	s_and_saveexec_b64 s[4:5], vcc
	s_cbranch_execz .LBB115_7
.LBB115_24:
	v_add_u32_e32 v1, s6, v0
	v_add_u32_e32 v0, 0x100, v0
	v_mov_b32_e32 v2, s1
	global_store_byte v1, v2, s[2:3]
	s_or_b64 exec, exec, s[4:5]
	v_cmp_gt_i32_e32 vcc, s0, v0
	s_and_saveexec_b64 s[4:5], vcc
	s_cbranch_execz .LBB115_8
.LBB115_25:
	v_add_u32_e32 v1, s6, v0
	v_add_u32_e32 v0, 0x100, v0
	v_mov_b32_e32 v2, s1
	global_store_byte v1, v2, s[2:3]
	s_or_b64 exec, exec, s[4:5]
	v_cmp_gt_i32_e32 vcc, s0, v0
	s_and_saveexec_b64 s[4:5], vcc
	s_cbranch_execz .LBB115_9
.LBB115_26:
	v_add_u32_e32 v1, s6, v0
	v_add_u32_e32 v0, 0x100, v0
	v_mov_b32_e32 v2, s1
	global_store_byte v1, v2, s[2:3]
	s_or_b64 exec, exec, s[4:5]
	v_cmp_gt_i32_e32 vcc, s0, v0
	s_and_saveexec_b64 s[4:5], vcc
	s_cbranch_execz .LBB115_10
.LBB115_27:
	v_add_u32_e32 v1, s6, v0
	v_add_u32_e32 v0, 0x100, v0
	v_mov_b32_e32 v2, s1
	global_store_byte v1, v2, s[2:3]
	s_or_b64 exec, exec, s[4:5]
	v_cmp_gt_i32_e32 vcc, s0, v0
	s_and_saveexec_b64 s[4:5], vcc
	s_cbranch_execz .LBB115_11
.LBB115_28:
	v_add_u32_e32 v1, s6, v0
	v_add_u32_e32 v0, 0x100, v0
	v_mov_b32_e32 v2, s1
	global_store_byte v1, v2, s[2:3]
	s_or_b64 exec, exec, s[4:5]
	v_cmp_gt_i32_e32 vcc, s0, v0
	s_and_saveexec_b64 s[4:5], vcc
	s_cbranch_execz .LBB115_12
.LBB115_29:
	v_add_u32_e32 v1, s6, v0
	v_add_u32_e32 v0, 0x100, v0
	v_mov_b32_e32 v2, s1
	global_store_byte v1, v2, s[2:3]
	s_or_b64 exec, exec, s[4:5]
	v_cmp_gt_i32_e32 vcc, s0, v0
	s_and_saveexec_b64 s[4:5], vcc
	s_cbranch_execz .LBB115_13
.LBB115_30:
	v_add_u32_e32 v1, s6, v0
	v_add_u32_e32 v0, 0x100, v0
	v_mov_b32_e32 v2, s1
	global_store_byte v1, v2, s[2:3]
	s_or_b64 exec, exec, s[4:5]
	v_cmp_gt_i32_e32 vcc, s0, v0
	s_and_saveexec_b64 s[4:5], vcc
	s_cbranch_execz .LBB115_14
.LBB115_31:
	v_add_u32_e32 v1, s6, v0
	v_add_u32_e32 v0, 0x100, v0
	v_mov_b32_e32 v2, s1
	global_store_byte v1, v2, s[2:3]
	s_or_b64 exec, exec, s[4:5]
	v_cmp_gt_i32_e32 vcc, s0, v0
	s_and_saveexec_b64 s[4:5], vcc
	s_cbranch_execz .LBB115_15
.LBB115_32:
	v_add_u32_e32 v1, s6, v0
	v_add_u32_e32 v0, 0x100, v0
	v_mov_b32_e32 v2, s1
	global_store_byte v1, v2, s[2:3]
	s_or_b64 exec, exec, s[4:5]
	v_cmp_gt_i32_e32 vcc, s0, v0
	s_and_saveexec_b64 s[4:5], vcc
	s_cbranch_execz .LBB115_16
.LBB115_33:
	v_add_u32_e32 v1, s6, v0
	v_add_u32_e32 v0, 0x100, v0
	v_mov_b32_e32 v2, s1
	global_store_byte v1, v2, s[2:3]
	s_or_b64 exec, exec, s[4:5]
	v_cmp_gt_i32_e32 vcc, s0, v0
	s_and_saveexec_b64 s[4:5], vcc
	s_cbranch_execz .LBB115_17
.LBB115_34:
	v_add_u32_e32 v1, s6, v0
	v_add_u32_e32 v0, 0x100, v0
	v_mov_b32_e32 v2, s1
	global_store_byte v1, v2, s[2:3]
	s_or_b64 exec, exec, s[4:5]
	v_cmp_gt_i32_e32 vcc, s0, v0
	s_and_saveexec_b64 s[4:5], vcc
	s_cbranch_execz .LBB115_18
.LBB115_35:
	v_add_u32_e32 v1, s6, v0
	v_add_u32_e32 v0, 0x100, v0
	v_mov_b32_e32 v2, s1
	global_store_byte v1, v2, s[2:3]
	s_or_b64 exec, exec, s[4:5]
	v_cmp_gt_i32_e32 vcc, s0, v0
	s_and_saveexec_b64 s[4:5], vcc
	s_cbranch_execnz .LBB115_19
	s_branch .LBB115_20
	.section	.rodata,"a",@progbits
	.p2align	6, 0x0
	.amdhsa_kernel _ZN2at6native29vectorized_elementwise_kernelILi2ENS0_11FillFunctorIN3c1011Float8_e5m2EEESt5arrayIPcLm1EEEEviT0_T1_
		.amdhsa_group_segment_fixed_size 0
		.amdhsa_private_segment_fixed_size 0
		.amdhsa_kernarg_size 16
		.amdhsa_user_sgpr_count 6
		.amdhsa_user_sgpr_private_segment_buffer 1
		.amdhsa_user_sgpr_dispatch_ptr 0
		.amdhsa_user_sgpr_queue_ptr 0
		.amdhsa_user_sgpr_kernarg_segment_ptr 1
		.amdhsa_user_sgpr_dispatch_id 0
		.amdhsa_user_sgpr_flat_scratch_init 0
		.amdhsa_user_sgpr_kernarg_preload_length 0
		.amdhsa_user_sgpr_kernarg_preload_offset 0
		.amdhsa_user_sgpr_private_segment_size 0
		.amdhsa_uses_dynamic_stack 0
		.amdhsa_system_sgpr_private_segment_wavefront_offset 0
		.amdhsa_system_sgpr_workgroup_id_x 1
		.amdhsa_system_sgpr_workgroup_id_y 0
		.amdhsa_system_sgpr_workgroup_id_z 0
		.amdhsa_system_sgpr_workgroup_info 0
		.amdhsa_system_vgpr_workitem_id 0
		.amdhsa_next_free_vgpr 3
		.amdhsa_next_free_sgpr 7
		.amdhsa_accum_offset 4
		.amdhsa_reserve_vcc 1
		.amdhsa_reserve_flat_scratch 0
		.amdhsa_float_round_mode_32 0
		.amdhsa_float_round_mode_16_64 0
		.amdhsa_float_denorm_mode_32 3
		.amdhsa_float_denorm_mode_16_64 3
		.amdhsa_dx10_clamp 1
		.amdhsa_ieee_mode 1
		.amdhsa_fp16_overflow 0
		.amdhsa_tg_split 0
		.amdhsa_exception_fp_ieee_invalid_op 0
		.amdhsa_exception_fp_denorm_src 0
		.amdhsa_exception_fp_ieee_div_zero 0
		.amdhsa_exception_fp_ieee_overflow 0
		.amdhsa_exception_fp_ieee_underflow 0
		.amdhsa_exception_fp_ieee_inexact 0
		.amdhsa_exception_int_div_zero 0
	.end_amdhsa_kernel
	.section	.text._ZN2at6native29vectorized_elementwise_kernelILi2ENS0_11FillFunctorIN3c1011Float8_e5m2EEESt5arrayIPcLm1EEEEviT0_T1_,"axG",@progbits,_ZN2at6native29vectorized_elementwise_kernelILi2ENS0_11FillFunctorIN3c1011Float8_e5m2EEESt5arrayIPcLm1EEEEviT0_T1_,comdat
.Lfunc_end115:
	.size	_ZN2at6native29vectorized_elementwise_kernelILi2ENS0_11FillFunctorIN3c1011Float8_e5m2EEESt5arrayIPcLm1EEEEviT0_T1_, .Lfunc_end115-_ZN2at6native29vectorized_elementwise_kernelILi2ENS0_11FillFunctorIN3c1011Float8_e5m2EEESt5arrayIPcLm1EEEEviT0_T1_
                                        ; -- End function
	.section	.AMDGPU.csdata,"",@progbits
; Kernel info:
; codeLenInByte = 1020
; NumSgprs: 11
; NumVgprs: 3
; NumAgprs: 0
; TotalNumVgprs: 3
; ScratchSize: 0
; MemoryBound: 0
; FloatMode: 240
; IeeeMode: 1
; LDSByteSize: 0 bytes/workgroup (compile time only)
; SGPRBlocks: 1
; VGPRBlocks: 0
; NumSGPRsForWavesPerEU: 11
; NumVGPRsForWavesPerEU: 3
; AccumOffset: 4
; Occupancy: 8
; WaveLimiterHint : 1
; COMPUTE_PGM_RSRC2:SCRATCH_EN: 0
; COMPUTE_PGM_RSRC2:USER_SGPR: 6
; COMPUTE_PGM_RSRC2:TRAP_HANDLER: 0
; COMPUTE_PGM_RSRC2:TGID_X_EN: 1
; COMPUTE_PGM_RSRC2:TGID_Y_EN: 0
; COMPUTE_PGM_RSRC2:TGID_Z_EN: 0
; COMPUTE_PGM_RSRC2:TIDIG_COMP_CNT: 0
; COMPUTE_PGM_RSRC3_GFX90A:ACCUM_OFFSET: 0
; COMPUTE_PGM_RSRC3_GFX90A:TG_SPLIT: 0
	.section	.text._ZN2at6native27unrolled_elementwise_kernelINS0_11FillFunctorIN3c1011Float8_e5m2EEESt5arrayIPcLm1EELi4E23TrivialOffsetCalculatorILi0EjES9_ILi1EjENS0_6memory15LoadWithoutCastENSC_16StoreWithoutCastEEEviT_T0_T2_T3_T4_T5_,"axG",@progbits,_ZN2at6native27unrolled_elementwise_kernelINS0_11FillFunctorIN3c1011Float8_e5m2EEESt5arrayIPcLm1EELi4E23TrivialOffsetCalculatorILi0EjES9_ILi1EjENS0_6memory15LoadWithoutCastENSC_16StoreWithoutCastEEEviT_T0_T2_T3_T4_T5_,comdat
	.protected	_ZN2at6native27unrolled_elementwise_kernelINS0_11FillFunctorIN3c1011Float8_e5m2EEESt5arrayIPcLm1EELi4E23TrivialOffsetCalculatorILi0EjES9_ILi1EjENS0_6memory15LoadWithoutCastENSC_16StoreWithoutCastEEEviT_T0_T2_T3_T4_T5_ ; -- Begin function _ZN2at6native27unrolled_elementwise_kernelINS0_11FillFunctorIN3c1011Float8_e5m2EEESt5arrayIPcLm1EELi4E23TrivialOffsetCalculatorILi0EjES9_ILi1EjENS0_6memory15LoadWithoutCastENSC_16StoreWithoutCastEEEviT_T0_T2_T3_T4_T5_
	.globl	_ZN2at6native27unrolled_elementwise_kernelINS0_11FillFunctorIN3c1011Float8_e5m2EEESt5arrayIPcLm1EELi4E23TrivialOffsetCalculatorILi0EjES9_ILi1EjENS0_6memory15LoadWithoutCastENSC_16StoreWithoutCastEEEviT_T0_T2_T3_T4_T5_
	.p2align	8
	.type	_ZN2at6native27unrolled_elementwise_kernelINS0_11FillFunctorIN3c1011Float8_e5m2EEESt5arrayIPcLm1EELi4E23TrivialOffsetCalculatorILi0EjES9_ILi1EjENS0_6memory15LoadWithoutCastENSC_16StoreWithoutCastEEEviT_T0_T2_T3_T4_T5_,@function
_ZN2at6native27unrolled_elementwise_kernelINS0_11FillFunctorIN3c1011Float8_e5m2EEESt5arrayIPcLm1EELi4E23TrivialOffsetCalculatorILi0EjES9_ILi1EjENS0_6memory15LoadWithoutCastENSC_16StoreWithoutCastEEEviT_T0_T2_T3_T4_T5_: ; @_ZN2at6native27unrolled_elementwise_kernelINS0_11FillFunctorIN3c1011Float8_e5m2EEESt5arrayIPcLm1EELi4E23TrivialOffsetCalculatorILi0EjES9_ILi1EjENS0_6memory15LoadWithoutCastENSC_16StoreWithoutCastEEEviT_T0_T2_T3_T4_T5_
; %bb.0:
	s_load_dwordx4 s[0:3], s[4:5], 0x0
	s_lshl_b32 s6, s6, 10
	s_waitcnt lgkmcnt(0)
	s_sub_i32 s0, s0, s6
	v_cmp_gt_i32_e32 vcc, s0, v0
	s_and_saveexec_b64 s[4:5], vcc
	s_cbranch_execnz .LBB116_5
; %bb.1:
	s_or_b64 exec, exec, s[4:5]
	v_cmp_gt_i32_e32 vcc, s0, v0
	s_and_saveexec_b64 s[4:5], vcc
	s_cbranch_execnz .LBB116_6
.LBB116_2:
	s_or_b64 exec, exec, s[4:5]
	v_cmp_gt_i32_e32 vcc, s0, v0
	s_and_saveexec_b64 s[4:5], vcc
	s_cbranch_execnz .LBB116_7
.LBB116_3:
	s_or_b64 exec, exec, s[4:5]
	v_cmp_gt_i32_e32 vcc, s0, v0
	s_and_saveexec_b64 s[4:5], vcc
	s_cbranch_execnz .LBB116_8
.LBB116_4:
	s_endpgm
.LBB116_5:
	v_or_b32_e32 v1, s6, v0
	v_or_b32_e32 v0, 0x100, v0
	v_mov_b32_e32 v2, s1
	global_store_byte v1, v2, s[2:3]
	s_or_b64 exec, exec, s[4:5]
	v_cmp_gt_i32_e32 vcc, s0, v0
	s_and_saveexec_b64 s[4:5], vcc
	s_cbranch_execz .LBB116_2
.LBB116_6:
	v_add_u32_e32 v1, 0x100, v0
	v_add_u32_e32 v0, s6, v0
	v_mov_b32_e32 v2, s1
	global_store_byte v0, v2, s[2:3]
	v_mov_b32_e32 v0, v1
	s_or_b64 exec, exec, s[4:5]
	v_cmp_gt_i32_e32 vcc, s0, v0
	s_and_saveexec_b64 s[4:5], vcc
	s_cbranch_execz .LBB116_3
.LBB116_7:
	v_add_u32_e32 v1, 0x100, v0
	v_add_u32_e32 v0, s6, v0
	v_mov_b32_e32 v2, s1
	global_store_byte v0, v2, s[2:3]
	v_mov_b32_e32 v0, v1
	s_or_b64 exec, exec, s[4:5]
	v_cmp_gt_i32_e32 vcc, s0, v0
	s_and_saveexec_b64 s[4:5], vcc
	s_cbranch_execz .LBB116_4
.LBB116_8:
	v_add_u32_e32 v0, s6, v0
	v_mov_b32_e32 v1, s1
	global_store_byte v0, v1, s[2:3]
	s_endpgm
	.section	.rodata,"a",@progbits
	.p2align	6, 0x0
	.amdhsa_kernel _ZN2at6native27unrolled_elementwise_kernelINS0_11FillFunctorIN3c1011Float8_e5m2EEESt5arrayIPcLm1EELi4E23TrivialOffsetCalculatorILi0EjES9_ILi1EjENS0_6memory15LoadWithoutCastENSC_16StoreWithoutCastEEEviT_T0_T2_T3_T4_T5_
		.amdhsa_group_segment_fixed_size 0
		.amdhsa_private_segment_fixed_size 0
		.amdhsa_kernarg_size 20
		.amdhsa_user_sgpr_count 6
		.amdhsa_user_sgpr_private_segment_buffer 1
		.amdhsa_user_sgpr_dispatch_ptr 0
		.amdhsa_user_sgpr_queue_ptr 0
		.amdhsa_user_sgpr_kernarg_segment_ptr 1
		.amdhsa_user_sgpr_dispatch_id 0
		.amdhsa_user_sgpr_flat_scratch_init 0
		.amdhsa_user_sgpr_kernarg_preload_length 0
		.amdhsa_user_sgpr_kernarg_preload_offset 0
		.amdhsa_user_sgpr_private_segment_size 0
		.amdhsa_uses_dynamic_stack 0
		.amdhsa_system_sgpr_private_segment_wavefront_offset 0
		.amdhsa_system_sgpr_workgroup_id_x 1
		.amdhsa_system_sgpr_workgroup_id_y 0
		.amdhsa_system_sgpr_workgroup_id_z 0
		.amdhsa_system_sgpr_workgroup_info 0
		.amdhsa_system_vgpr_workitem_id 0
		.amdhsa_next_free_vgpr 3
		.amdhsa_next_free_sgpr 7
		.amdhsa_accum_offset 4
		.amdhsa_reserve_vcc 1
		.amdhsa_reserve_flat_scratch 0
		.amdhsa_float_round_mode_32 0
		.amdhsa_float_round_mode_16_64 0
		.amdhsa_float_denorm_mode_32 3
		.amdhsa_float_denorm_mode_16_64 3
		.amdhsa_dx10_clamp 1
		.amdhsa_ieee_mode 1
		.amdhsa_fp16_overflow 0
		.amdhsa_tg_split 0
		.amdhsa_exception_fp_ieee_invalid_op 0
		.amdhsa_exception_fp_denorm_src 0
		.amdhsa_exception_fp_ieee_div_zero 0
		.amdhsa_exception_fp_ieee_overflow 0
		.amdhsa_exception_fp_ieee_underflow 0
		.amdhsa_exception_fp_ieee_inexact 0
		.amdhsa_exception_int_div_zero 0
	.end_amdhsa_kernel
	.section	.text._ZN2at6native27unrolled_elementwise_kernelINS0_11FillFunctorIN3c1011Float8_e5m2EEESt5arrayIPcLm1EELi4E23TrivialOffsetCalculatorILi0EjES9_ILi1EjENS0_6memory15LoadWithoutCastENSC_16StoreWithoutCastEEEviT_T0_T2_T3_T4_T5_,"axG",@progbits,_ZN2at6native27unrolled_elementwise_kernelINS0_11FillFunctorIN3c1011Float8_e5m2EEESt5arrayIPcLm1EELi4E23TrivialOffsetCalculatorILi0EjES9_ILi1EjENS0_6memory15LoadWithoutCastENSC_16StoreWithoutCastEEEviT_T0_T2_T3_T4_T5_,comdat
.Lfunc_end116:
	.size	_ZN2at6native27unrolled_elementwise_kernelINS0_11FillFunctorIN3c1011Float8_e5m2EEESt5arrayIPcLm1EELi4E23TrivialOffsetCalculatorILi0EjES9_ILi1EjENS0_6memory15LoadWithoutCastENSC_16StoreWithoutCastEEEviT_T0_T2_T3_T4_T5_, .Lfunc_end116-_ZN2at6native27unrolled_elementwise_kernelINS0_11FillFunctorIN3c1011Float8_e5m2EEESt5arrayIPcLm1EELi4E23TrivialOffsetCalculatorILi0EjES9_ILi1EjENS0_6memory15LoadWithoutCastENSC_16StoreWithoutCastEEEviT_T0_T2_T3_T4_T5_
                                        ; -- End function
	.section	.AMDGPU.csdata,"",@progbits
; Kernel info:
; codeLenInByte = 232
; NumSgprs: 11
; NumVgprs: 3
; NumAgprs: 0
; TotalNumVgprs: 3
; ScratchSize: 0
; MemoryBound: 0
; FloatMode: 240
; IeeeMode: 1
; LDSByteSize: 0 bytes/workgroup (compile time only)
; SGPRBlocks: 1
; VGPRBlocks: 0
; NumSGPRsForWavesPerEU: 11
; NumVGPRsForWavesPerEU: 3
; AccumOffset: 4
; Occupancy: 8
; WaveLimiterHint : 0
; COMPUTE_PGM_RSRC2:SCRATCH_EN: 0
; COMPUTE_PGM_RSRC2:USER_SGPR: 6
; COMPUTE_PGM_RSRC2:TRAP_HANDLER: 0
; COMPUTE_PGM_RSRC2:TGID_X_EN: 1
; COMPUTE_PGM_RSRC2:TGID_Y_EN: 0
; COMPUTE_PGM_RSRC2:TGID_Z_EN: 0
; COMPUTE_PGM_RSRC2:TIDIG_COMP_CNT: 0
; COMPUTE_PGM_RSRC3_GFX90A:ACCUM_OFFSET: 0
; COMPUTE_PGM_RSRC3_GFX90A:TG_SPLIT: 0
	.section	.text._ZN2at6native32elementwise_kernel_manual_unrollILi128ELi8EZNS0_22gpu_kernel_impl_nocastINS0_11FillFunctorIN3c1011Float8_e5m2EEEEEvRNS_18TensorIteratorBaseERKT_EUlibE_EEviT1_,"axG",@progbits,_ZN2at6native32elementwise_kernel_manual_unrollILi128ELi8EZNS0_22gpu_kernel_impl_nocastINS0_11FillFunctorIN3c1011Float8_e5m2EEEEEvRNS_18TensorIteratorBaseERKT_EUlibE_EEviT1_,comdat
	.protected	_ZN2at6native32elementwise_kernel_manual_unrollILi128ELi8EZNS0_22gpu_kernel_impl_nocastINS0_11FillFunctorIN3c1011Float8_e5m2EEEEEvRNS_18TensorIteratorBaseERKT_EUlibE_EEviT1_ ; -- Begin function _ZN2at6native32elementwise_kernel_manual_unrollILi128ELi8EZNS0_22gpu_kernel_impl_nocastINS0_11FillFunctorIN3c1011Float8_e5m2EEEEEvRNS_18TensorIteratorBaseERKT_EUlibE_EEviT1_
	.globl	_ZN2at6native32elementwise_kernel_manual_unrollILi128ELi8EZNS0_22gpu_kernel_impl_nocastINS0_11FillFunctorIN3c1011Float8_e5m2EEEEEvRNS_18TensorIteratorBaseERKT_EUlibE_EEviT1_
	.p2align	8
	.type	_ZN2at6native32elementwise_kernel_manual_unrollILi128ELi8EZNS0_22gpu_kernel_impl_nocastINS0_11FillFunctorIN3c1011Float8_e5m2EEEEEvRNS_18TensorIteratorBaseERKT_EUlibE_EEviT1_,@function
_ZN2at6native32elementwise_kernel_manual_unrollILi128ELi8EZNS0_22gpu_kernel_impl_nocastINS0_11FillFunctorIN3c1011Float8_e5m2EEEEEvRNS_18TensorIteratorBaseERKT_EUlibE_EEviT1_: ; @_ZN2at6native32elementwise_kernel_manual_unrollILi128ELi8EZNS0_22gpu_kernel_impl_nocastINS0_11FillFunctorIN3c1011Float8_e5m2EEEEEvRNS_18TensorIteratorBaseERKT_EUlibE_EEviT1_
; %bb.0:
	s_load_dword s48, s[4:5], 0x0
	s_load_dword s33, s[4:5], 0x8
	s_or_b32 s4, s4, 8
	v_lshl_or_b32 v12, s6, 10, v0
	v_or_b32_e32 v16, 0x380, v12
	s_waitcnt lgkmcnt(0)
	v_cmp_le_i32_e32 vcc, s48, v16
	s_add_i32 s46, s33, -1
	s_cmp_gt_u32 s46, 1
	s_cselect_b64 s[6:7], -1, 0
	s_and_saveexec_b64 s[0:1], vcc
	s_xor_b64 s[24:25], exec, s[0:1]
	s_cbranch_execz .LBB117_7
; %bb.1:
	s_load_dwordx4 s[0:3], s[4:5], 0x4
	s_load_dwordx2 s[30:31], s[4:5], 0x14
	s_load_dwordx2 s[28:29], s[4:5], 0xc4
	s_load_dwordx2 s[26:27], s[4:5], 0x108
	s_load_dword s47, s[4:5], 0x110
	s_cmp_lg_u32 s33, 0
	s_cselect_b64 s[38:39], -1, 0
	s_add_u32 s36, s4, 0xc4
	s_addc_u32 s37, s5, 0
	s_min_u32 s49, s46, 15
	s_cmp_gt_u32 s33, 1
	s_cselect_b64 s[34:35], -1, 0
	v_cmp_gt_i32_e32 vcc, s48, v12
	s_and_saveexec_b64 s[40:41], vcc
	s_cbranch_execz .LBB117_14
; %bb.2:
	s_andn2_b64 vcc, exec, s[6:7]
	s_cbranch_vccnz .LBB117_21
; %bb.3:
	s_andn2_b64 vcc, exec, s[38:39]
	s_cbranch_vccnz .LBB117_121
; %bb.4:
	s_add_i32 s51, s49, 1
	s_mov_b32 s50, 0
	s_cmp_eq_u32 s46, 2
	v_mov_b32_e32 v0, 0
	s_cbranch_scc1 .LBB117_123
; %bb.5:
	s_and_b32 s50, s51, 28
	s_mov_b32 s52, 0
	v_mov_b32_e32 v0, 0
	s_mov_b64 s[42:43], s[4:5]
	s_mov_b64 s[44:45], s[36:37]
	v_mov_b32_e32 v2, v12
.LBB117_6:                              ; =>This Inner Loop Header: Depth=1
	s_load_dwordx8 s[8:15], s[42:43], 0x4
	s_load_dwordx4 s[16:19], s[42:43], 0x24
	s_load_dwordx4 s[20:23], s[44:45], 0x0
	s_add_u32 s42, s42, 48
	s_addc_u32 s43, s43, 0
	s_waitcnt lgkmcnt(0)
	v_mul_hi_u32 v1, s9, v2
	v_add_u32_e32 v1, v2, v1
	v_lshrrev_b32_e32 v1, s10, v1
	v_mul_lo_u32 v3, v1, s8
	v_mul_hi_u32 v4, s12, v1
	v_sub_u32_e32 v2, v2, v3
	v_add_u32_e32 v3, v1, v4
	v_lshrrev_b32_e32 v3, s13, v3
	v_mul_lo_u32 v4, v3, s11
	v_mul_hi_u32 v5, s15, v3
	v_sub_u32_e32 v1, v1, v4
	v_add_u32_e32 v4, v3, v5
	v_mul_lo_u32 v2, v2, s20
	v_mul_lo_u32 v1, v1, s21
	v_lshrrev_b32_e32 v4, s16, v4
	v_add3_u32 v0, v2, v0, v1
	v_mul_hi_u32 v2, s18, v4
	v_add_u32_e32 v2, v4, v2
	v_mul_lo_u32 v1, v4, s14
	v_lshrrev_b32_e32 v2, s19, v2
	s_add_i32 s52, s52, 4
	v_sub_u32_e32 v1, v3, v1
	v_mul_lo_u32 v3, v2, s17
	s_add_u32 s44, s44, 16
	v_sub_u32_e32 v3, v4, v3
	s_addc_u32 s45, s45, 0
	v_mul_lo_u32 v1, v1, s22
	v_mul_lo_u32 v3, v3, s23
	s_cmp_lg_u32 s50, s52
	v_add3_u32 v0, v1, v0, v3
	s_cbranch_scc1 .LBB117_6
	s_branch .LBB117_124
.LBB117_7:
	s_andn2_saveexec_b64 s[0:1], s[24:25]
	s_cbranch_execz .LBB117_213
.LBB117_8:
	v_cndmask_b32_e64 v0, 0, 1, s[6:7]
	v_cmp_ne_u32_e64 s[0:1], 1, v0
	s_andn2_b64 vcc, exec, s[6:7]
	s_cbranch_vccnz .LBB117_20
; %bb.9:
	s_mov_b32 s24, 0
	s_cmp_eq_u32 s33, 0
	v_mov_b32_e32 v0, 0
	s_cbranch_scc1 .LBB117_26
; %bb.10:
	s_min_u32 s25, s46, 15
	s_add_i32 s25, s25, 1
	s_cmp_eq_u32 s46, 2
	v_mov_b32_e32 v0, 0
	s_cbranch_scc1 .LBB117_23
; %bb.11:
	s_add_u32 s2, s4, 0xc4
	s_addc_u32 s3, s5, 0
	s_and_b32 s24, s25, 28
	s_mov_b32 s26, 0
	v_mov_b32_e32 v0, 0
	s_mov_b64 s[6:7], s[4:5]
	v_mov_b32_e32 v2, v12
.LBB117_12:                             ; =>This Inner Loop Header: Depth=1
	s_load_dwordx8 s[8:15], s[6:7], 0x4
	s_load_dwordx4 s[16:19], s[6:7], 0x24
	s_load_dwordx4 s[20:23], s[2:3], 0x0
	s_add_u32 s6, s6, 48
	s_addc_u32 s7, s7, 0
	s_waitcnt lgkmcnt(0)
	v_mul_hi_u32 v1, s9, v2
	v_add_u32_e32 v1, v2, v1
	v_lshrrev_b32_e32 v1, s10, v1
	v_mul_lo_u32 v3, v1, s8
	v_mul_hi_u32 v4, s12, v1
	v_sub_u32_e32 v2, v2, v3
	v_add_u32_e32 v3, v1, v4
	v_lshrrev_b32_e32 v3, s13, v3
	v_mul_lo_u32 v4, v3, s11
	v_mul_hi_u32 v5, s15, v3
	v_sub_u32_e32 v1, v1, v4
	v_add_u32_e32 v4, v3, v5
	v_mul_lo_u32 v2, v2, s20
	v_mul_lo_u32 v1, v1, s21
	v_lshrrev_b32_e32 v4, s16, v4
	v_add3_u32 v0, v2, v0, v1
	v_mul_hi_u32 v2, s18, v4
	v_add_u32_e32 v2, v4, v2
	v_mul_lo_u32 v1, v4, s14
	v_lshrrev_b32_e32 v2, s19, v2
	s_add_i32 s26, s26, 4
	v_sub_u32_e32 v1, v3, v1
	v_mul_lo_u32 v3, v2, s17
	s_add_u32 s2, s2, 16
	v_sub_u32_e32 v3, v4, v3
	s_addc_u32 s3, s3, 0
	v_mul_lo_u32 v1, v1, s22
	v_mul_lo_u32 v3, v3, s23
	s_cmp_lg_u32 s24, s26
	v_add3_u32 v0, v1, v0, v3
	s_cbranch_scc1 .LBB117_12
; %bb.13:
	s_and_b32 s8, s25, 3
	s_cmp_eq_u32 s8, 0
	s_cbranch_scc0 .LBB117_24
	s_branch .LBB117_26
.LBB117_14:
	s_or_b64 exec, exec, s[40:41]
	v_cmp_gt_i32_e32 vcc, s48, v12
	s_and_saveexec_b64 s[40:41], vcc
	s_cbranch_execz .LBB117_131
.LBB117_15:
	s_andn2_b64 vcc, exec, s[6:7]
	s_cbranch_vccnz .LBB117_22
; %bb.16:
	s_andn2_b64 vcc, exec, s[38:39]
	s_cbranch_vccnz .LBB117_122
; %bb.17:
	s_add_i32 s51, s49, 1
	s_mov_b32 s50, 0
	s_cmp_eq_u32 s46, 2
	v_mov_b32_e32 v0, 0
	s_cbranch_scc1 .LBB117_139
; %bb.18:
	s_and_b32 s50, s51, 28
	s_mov_b32 s52, 0
	v_mov_b32_e32 v0, 0
	s_mov_b64 s[42:43], s[4:5]
	s_mov_b64 s[44:45], s[36:37]
	v_mov_b32_e32 v2, v12
.LBB117_19:                             ; =>This Inner Loop Header: Depth=1
	s_load_dwordx8 s[8:15], s[42:43], 0x4
	s_load_dwordx4 s[16:19], s[42:43], 0x24
	s_load_dwordx4 s[20:23], s[44:45], 0x0
	s_add_u32 s42, s42, 48
	s_addc_u32 s43, s43, 0
	s_waitcnt lgkmcnt(0)
	v_mul_hi_u32 v1, s9, v2
	v_add_u32_e32 v1, v2, v1
	v_lshrrev_b32_e32 v1, s10, v1
	v_mul_lo_u32 v3, v1, s8
	v_mul_hi_u32 v4, s12, v1
	v_sub_u32_e32 v2, v2, v3
	v_add_u32_e32 v3, v1, v4
	v_lshrrev_b32_e32 v3, s13, v3
	v_mul_lo_u32 v4, v3, s11
	v_mul_hi_u32 v5, s15, v3
	v_sub_u32_e32 v1, v1, v4
	v_add_u32_e32 v4, v3, v5
	v_mul_lo_u32 v2, v2, s20
	v_mul_lo_u32 v1, v1, s21
	v_lshrrev_b32_e32 v4, s16, v4
	v_add3_u32 v0, v2, v0, v1
	v_mul_hi_u32 v2, s18, v4
	v_add_u32_e32 v2, v4, v2
	v_mul_lo_u32 v1, v4, s14
	v_lshrrev_b32_e32 v2, s19, v2
	s_add_i32 s52, s52, 4
	v_sub_u32_e32 v1, v3, v1
	v_mul_lo_u32 v3, v2, s17
	s_add_u32 s44, s44, 16
	v_sub_u32_e32 v3, v4, v3
	s_addc_u32 s45, s45, 0
	v_mul_lo_u32 v1, v1, s22
	v_mul_lo_u32 v3, v3, s23
	s_cmp_eq_u32 s50, s52
	v_add3_u32 v0, v1, v0, v3
	s_cbranch_scc0 .LBB117_19
	s_branch .LBB117_140
.LBB117_20:
                                        ; implicit-def: $vgpr0
	s_branch .LBB117_27
.LBB117_21:
                                        ; implicit-def: $vgpr0
	s_branch .LBB117_128
.LBB117_22:
                                        ; implicit-def: $vgpr0
	s_branch .LBB117_144
.LBB117_23:
	v_mov_b32_e32 v2, v12
	s_and_b32 s8, s25, 3
	s_cmp_eq_u32 s8, 0
	s_cbranch_scc1 .LBB117_26
.LBB117_24:
	s_lshl_b32 s2, s24, 2
	s_add_u32 s2, s2, s4
	s_addc_u32 s3, 0, s5
	s_add_u32 s2, s2, 0xc4
	s_addc_u32 s3, s3, 0
	s_mul_i32 s6, s24, 12
	s_add_u32 s6, s4, s6
	s_addc_u32 s7, 0, s5
.LBB117_25:                             ; =>This Inner Loop Header: Depth=1
	s_load_dwordx2 s[10:11], s[6:7], 0x4
	s_load_dword s9, s[6:7], 0xc
	s_load_dword s12, s[2:3], 0x0
	s_add_u32 s6, s6, 12
	s_addc_u32 s7, s7, 0
	s_waitcnt lgkmcnt(0)
	v_mul_hi_u32 v1, s11, v2
	v_add_u32_e32 v1, v2, v1
	v_lshrrev_b32_e32 v1, s9, v1
	s_add_u32 s2, s2, 4
	v_mul_lo_u32 v3, v1, s10
	s_addc_u32 s3, s3, 0
	s_add_i32 s8, s8, -1
	v_sub_u32_e32 v3, v2, v3
	s_cmp_lg_u32 s8, 0
	v_mov_b32_e32 v2, v1
	v_mad_u64_u32 v[0:1], s[10:11], v3, s12, v[0:1]
	s_cbranch_scc1 .LBB117_25
.LBB117_26:
	s_cbranch_execnz .LBB117_29
.LBB117_27:
	s_load_dwordx4 s[8:11], s[4:5], 0x4
	s_load_dword s2, s[4:5], 0xc4
	s_cmp_lt_u32 s33, 2
	s_waitcnt lgkmcnt(0)
	v_mul_hi_u32 v0, s9, v12
	v_add_u32_e32 v0, v12, v0
	v_lshrrev_b32_e32 v1, s10, v0
	v_mul_lo_u32 v0, v1, s8
	v_sub_u32_e32 v0, v12, v0
	v_mul_lo_u32 v0, v0, s2
	s_cbranch_scc1 .LBB117_29
; %bb.28:
	s_load_dwordx4 s[8:11], s[4:5], 0x10
	s_load_dword s2, s[4:5], 0xc8
	s_waitcnt lgkmcnt(0)
	v_mul_hi_u32 v2, s9, v1
	v_add_u32_e32 v2, v1, v2
	v_lshrrev_b32_e32 v2, s10, v2
	v_mul_lo_u32 v2, v2, s8
	v_sub_u32_e32 v1, v1, v2
	v_mad_u64_u32 v[0:1], s[2:3], v1, s2, v[0:1]
.LBB117_29:
	s_and_b64 vcc, exec, s[0:1]
	v_add_u32_e32 v1, 0x80, v12
	s_cbranch_vccnz .LBB117_35
; %bb.30:
	s_mov_b32 s24, 0
	s_cmp_eq_u32 s33, 0
	v_mov_b32_e32 v2, 0
	s_cbranch_scc1 .LBB117_39
; %bb.31:
	s_min_u32 s25, s46, 15
	s_add_i32 s25, s25, 1
	s_cmp_eq_u32 s46, 2
	v_mov_b32_e32 v2, 0
	s_cbranch_scc1 .LBB117_36
; %bb.32:
	s_add_u32 s2, s4, 0xc4
	s_addc_u32 s3, s5, 0
	s_and_b32 s24, s25, 28
	s_mov_b32 s26, 0
	v_mov_b32_e32 v2, 0
	s_mov_b64 s[6:7], s[4:5]
	v_mov_b32_e32 v4, v1
.LBB117_33:                             ; =>This Inner Loop Header: Depth=1
	s_load_dwordx8 s[8:15], s[6:7], 0x4
	s_load_dwordx4 s[16:19], s[6:7], 0x24
	s_load_dwordx4 s[20:23], s[2:3], 0x0
	s_add_u32 s6, s6, 48
	s_addc_u32 s7, s7, 0
	s_waitcnt lgkmcnt(0)
	v_mul_hi_u32 v3, s9, v4
	v_add_u32_e32 v3, v4, v3
	v_lshrrev_b32_e32 v3, s10, v3
	v_mul_lo_u32 v5, v3, s8
	v_mul_hi_u32 v6, s12, v3
	v_sub_u32_e32 v4, v4, v5
	v_add_u32_e32 v5, v3, v6
	v_lshrrev_b32_e32 v5, s13, v5
	v_mul_lo_u32 v6, v5, s11
	v_mul_hi_u32 v7, s15, v5
	v_sub_u32_e32 v3, v3, v6
	v_add_u32_e32 v6, v5, v7
	v_mul_lo_u32 v4, v4, s20
	v_mul_lo_u32 v3, v3, s21
	v_lshrrev_b32_e32 v6, s16, v6
	v_add3_u32 v2, v4, v2, v3
	v_mul_hi_u32 v4, s18, v6
	v_add_u32_e32 v4, v6, v4
	v_mul_lo_u32 v3, v6, s14
	v_lshrrev_b32_e32 v4, s19, v4
	s_add_i32 s26, s26, 4
	v_sub_u32_e32 v3, v5, v3
	v_mul_lo_u32 v5, v4, s17
	s_add_u32 s2, s2, 16
	v_sub_u32_e32 v5, v6, v5
	s_addc_u32 s3, s3, 0
	v_mul_lo_u32 v3, v3, s22
	v_mul_lo_u32 v5, v5, s23
	s_cmp_lg_u32 s24, s26
	v_add3_u32 v2, v3, v2, v5
	s_cbranch_scc1 .LBB117_33
; %bb.34:
	s_and_b32 s8, s25, 3
	s_cmp_eq_u32 s8, 0
	s_cbranch_scc0 .LBB117_37
	s_branch .LBB117_39
.LBB117_35:
                                        ; implicit-def: $vgpr2
	s_branch .LBB117_40
.LBB117_36:
	v_mov_b32_e32 v4, v1
	s_and_b32 s8, s25, 3
	s_cmp_eq_u32 s8, 0
	s_cbranch_scc1 .LBB117_39
.LBB117_37:
	s_lshl_b32 s2, s24, 2
	s_add_u32 s2, s2, s4
	s_addc_u32 s3, 0, s5
	s_add_u32 s2, s2, 0xc4
	s_addc_u32 s3, s3, 0
	s_mul_i32 s6, s24, 12
	s_add_u32 s6, s4, s6
	s_addc_u32 s7, 0, s5
.LBB117_38:                             ; =>This Inner Loop Header: Depth=1
	s_load_dwordx2 s[10:11], s[6:7], 0x4
	s_load_dword s9, s[6:7], 0xc
	s_load_dword s12, s[2:3], 0x0
	s_add_u32 s6, s6, 12
	s_addc_u32 s7, s7, 0
	s_waitcnt lgkmcnt(0)
	v_mul_hi_u32 v3, s11, v4
	v_add_u32_e32 v3, v4, v3
	v_lshrrev_b32_e32 v3, s9, v3
	s_add_u32 s2, s2, 4
	v_mul_lo_u32 v5, v3, s10
	s_addc_u32 s3, s3, 0
	s_add_i32 s8, s8, -1
	v_sub_u32_e32 v5, v4, v5
	s_cmp_lg_u32 s8, 0
	v_mov_b32_e32 v4, v3
	v_mad_u64_u32 v[2:3], s[10:11], v5, s12, v[2:3]
	s_cbranch_scc1 .LBB117_38
.LBB117_39:
	s_cbranch_execnz .LBB117_42
.LBB117_40:
	s_load_dwordx4 s[8:11], s[4:5], 0x4
	s_load_dword s2, s[4:5], 0xc4
	s_cmp_lt_u32 s33, 2
	s_waitcnt lgkmcnt(0)
	v_mul_hi_u32 v2, s9, v1
	v_add_u32_e32 v2, v1, v2
	v_lshrrev_b32_e32 v3, s10, v2
	v_mul_lo_u32 v2, v3, s8
	v_sub_u32_e32 v1, v1, v2
	v_mul_lo_u32 v2, v1, s2
	s_cbranch_scc1 .LBB117_42
; %bb.41:
	s_load_dwordx4 s[8:11], s[4:5], 0x10
	s_load_dword s2, s[4:5], 0xc8
	s_waitcnt lgkmcnt(0)
	v_mul_hi_u32 v1, s9, v3
	v_add_u32_e32 v1, v3, v1
	v_lshrrev_b32_e32 v1, s10, v1
	v_mul_lo_u32 v1, v1, s8
	v_sub_u32_e32 v1, v3, v1
	v_mad_u64_u32 v[2:3], s[2:3], v1, s2, v[2:3]
.LBB117_42:
	s_and_b64 vcc, exec, s[0:1]
	v_add_u32_e32 v1, 0x100, v12
	s_cbranch_vccnz .LBB117_48
; %bb.43:
	s_mov_b32 s24, 0
	s_cmp_eq_u32 s33, 0
	v_mov_b32_e32 v4, 0
	s_cbranch_scc1 .LBB117_52
; %bb.44:
	s_min_u32 s25, s46, 15
	s_add_i32 s25, s25, 1
	s_cmp_eq_u32 s46, 2
	v_mov_b32_e32 v4, 0
	s_cbranch_scc1 .LBB117_49
; %bb.45:
	s_add_u32 s2, s4, 0xc4
	s_addc_u32 s3, s5, 0
	s_and_b32 s24, s25, 28
	s_mov_b32 s26, 0
	v_mov_b32_e32 v4, 0
	s_mov_b64 s[6:7], s[4:5]
	v_mov_b32_e32 v3, v1
.LBB117_46:                             ; =>This Inner Loop Header: Depth=1
	s_load_dwordx8 s[8:15], s[6:7], 0x4
	s_load_dwordx4 s[16:19], s[6:7], 0x24
	s_load_dwordx4 s[20:23], s[2:3], 0x0
	s_add_u32 s6, s6, 48
	s_addc_u32 s7, s7, 0
	s_waitcnt lgkmcnt(0)
	v_mul_hi_u32 v5, s9, v3
	v_add_u32_e32 v5, v3, v5
	v_lshrrev_b32_e32 v5, s10, v5
	v_mul_lo_u32 v6, v5, s8
	v_mul_hi_u32 v7, s12, v5
	v_sub_u32_e32 v3, v3, v6
	v_add_u32_e32 v6, v5, v7
	v_lshrrev_b32_e32 v6, s13, v6
	v_mul_lo_u32 v7, v6, s11
	v_mul_hi_u32 v8, s15, v6
	v_sub_u32_e32 v5, v5, v7
	v_add_u32_e32 v7, v6, v8
	v_mul_lo_u32 v3, v3, s20
	v_mul_lo_u32 v5, v5, s21
	v_lshrrev_b32_e32 v7, s16, v7
	v_add3_u32 v4, v3, v4, v5
	v_mul_lo_u32 v3, v7, s14
	v_mul_hi_u32 v5, s18, v7
	v_sub_u32_e32 v3, v6, v3
	v_add_u32_e32 v5, v7, v5
	v_mul_lo_u32 v6, v3, s22
	v_lshrrev_b32_e32 v3, s19, v5
	s_add_i32 s26, s26, 4
	v_mul_lo_u32 v5, v3, s17
	s_add_u32 s2, s2, 16
	v_sub_u32_e32 v5, v7, v5
	s_addc_u32 s3, s3, 0
	v_mul_lo_u32 v5, v5, s23
	s_cmp_lg_u32 s24, s26
	v_add3_u32 v4, v6, v4, v5
	s_cbranch_scc1 .LBB117_46
; %bb.47:
	s_and_b32 s8, s25, 3
	s_cmp_eq_u32 s8, 0
	s_cbranch_scc0 .LBB117_50
	s_branch .LBB117_52
.LBB117_48:
                                        ; implicit-def: $vgpr4
	s_branch .LBB117_53
.LBB117_49:
	v_mov_b32_e32 v3, v1
	s_and_b32 s8, s25, 3
	s_cmp_eq_u32 s8, 0
	s_cbranch_scc1 .LBB117_52
.LBB117_50:
	s_lshl_b32 s2, s24, 2
	s_add_u32 s2, s2, s4
	s_addc_u32 s3, 0, s5
	s_add_u32 s2, s2, 0xc4
	s_addc_u32 s3, s3, 0
	s_mul_i32 s6, s24, 12
	s_add_u32 s6, s4, s6
	s_addc_u32 s7, 0, s5
.LBB117_51:                             ; =>This Inner Loop Header: Depth=1
	s_load_dwordx2 s[10:11], s[6:7], 0x4
	s_load_dword s9, s[6:7], 0xc
	s_load_dword s12, s[2:3], 0x0
	s_add_u32 s6, s6, 12
	s_addc_u32 s7, s7, 0
	s_waitcnt lgkmcnt(0)
	v_mul_hi_u32 v5, s11, v3
	v_add_u32_e32 v5, v3, v5
	v_lshrrev_b32_e32 v5, s9, v5
	s_add_u32 s2, s2, 4
	v_mul_lo_u32 v6, v5, s10
	s_addc_u32 s3, s3, 0
	s_add_i32 s8, s8, -1
	v_sub_u32_e32 v6, v3, v6
	s_cmp_lg_u32 s8, 0
	v_mov_b32_e32 v3, v5
	v_mad_u64_u32 v[4:5], s[10:11], v6, s12, v[4:5]
	s_cbranch_scc1 .LBB117_51
.LBB117_52:
	s_cbranch_execnz .LBB117_55
.LBB117_53:
	s_load_dwordx4 s[8:11], s[4:5], 0x4
	s_load_dword s2, s[4:5], 0xc4
	s_cmp_lt_u32 s33, 2
	s_waitcnt lgkmcnt(0)
	v_mul_hi_u32 v3, s9, v1
	v_add_u32_e32 v3, v1, v3
	v_lshrrev_b32_e32 v3, s10, v3
	v_mul_lo_u32 v4, v3, s8
	v_sub_u32_e32 v1, v1, v4
	v_mul_lo_u32 v4, v1, s2
	s_cbranch_scc1 .LBB117_55
; %bb.54:
	s_load_dwordx4 s[8:11], s[4:5], 0x10
	s_load_dword s2, s[4:5], 0xc8
	s_waitcnt lgkmcnt(0)
	v_mul_hi_u32 v1, s9, v3
	v_add_u32_e32 v1, v3, v1
	v_lshrrev_b32_e32 v1, s10, v1
	v_mul_lo_u32 v1, v1, s8
	v_sub_u32_e32 v1, v3, v1
	v_mad_u64_u32 v[4:5], s[2:3], v1, s2, v[4:5]
.LBB117_55:
	s_and_b64 vcc, exec, s[0:1]
	v_add_u32_e32 v1, 0x180, v12
	s_cbranch_vccnz .LBB117_61
; %bb.56:
	s_mov_b32 s24, 0
	s_cmp_eq_u32 s33, 0
	v_mov_b32_e32 v6, 0
	s_cbranch_scc1 .LBB117_65
; %bb.57:
	s_min_u32 s25, s46, 15
	s_add_i32 s25, s25, 1
	s_cmp_eq_u32 s46, 2
	v_mov_b32_e32 v6, 0
	s_cbranch_scc1 .LBB117_62
; %bb.58:
	s_add_u32 s2, s4, 0xc4
	s_addc_u32 s3, s5, 0
	s_and_b32 s24, s25, 28
	s_mov_b32 s26, 0
	v_mov_b32_e32 v6, 0
	s_mov_b64 s[6:7], s[4:5]
	v_mov_b32_e32 v3, v1
.LBB117_59:                             ; =>This Inner Loop Header: Depth=1
	s_load_dwordx8 s[8:15], s[6:7], 0x4
	s_load_dwordx4 s[16:19], s[6:7], 0x24
	s_load_dwordx4 s[20:23], s[2:3], 0x0
	s_add_u32 s6, s6, 48
	s_addc_u32 s7, s7, 0
	s_waitcnt lgkmcnt(0)
	v_mul_hi_u32 v5, s9, v3
	v_add_u32_e32 v5, v3, v5
	v_lshrrev_b32_e32 v5, s10, v5
	v_mul_lo_u32 v7, v5, s8
	v_mul_hi_u32 v8, s12, v5
	v_sub_u32_e32 v3, v3, v7
	v_add_u32_e32 v7, v5, v8
	v_lshrrev_b32_e32 v7, s13, v7
	v_mul_lo_u32 v8, v7, s11
	v_mul_hi_u32 v9, s15, v7
	v_sub_u32_e32 v5, v5, v8
	v_add_u32_e32 v8, v7, v9
	v_mul_lo_u32 v3, v3, s20
	v_mul_lo_u32 v5, v5, s21
	v_lshrrev_b32_e32 v8, s16, v8
	v_add3_u32 v5, v3, v6, v5
	v_mul_lo_u32 v3, v8, s14
	v_mul_hi_u32 v6, s18, v8
	v_sub_u32_e32 v3, v7, v3
	v_add_u32_e32 v6, v8, v6
	v_mul_lo_u32 v7, v3, s22
	v_lshrrev_b32_e32 v3, s19, v6
	s_add_i32 s26, s26, 4
	v_mul_lo_u32 v6, v3, s17
	s_add_u32 s2, s2, 16
	v_sub_u32_e32 v6, v8, v6
	s_addc_u32 s3, s3, 0
	v_mul_lo_u32 v6, v6, s23
	s_cmp_lg_u32 s24, s26
	v_add3_u32 v6, v7, v5, v6
	s_cbranch_scc1 .LBB117_59
; %bb.60:
	s_and_b32 s8, s25, 3
	s_cmp_eq_u32 s8, 0
	s_cbranch_scc0 .LBB117_63
	s_branch .LBB117_65
.LBB117_61:
                                        ; implicit-def: $vgpr6
	s_branch .LBB117_66
.LBB117_62:
	v_mov_b32_e32 v3, v1
	s_and_b32 s8, s25, 3
	s_cmp_eq_u32 s8, 0
	s_cbranch_scc1 .LBB117_65
.LBB117_63:
	s_lshl_b32 s2, s24, 2
	s_add_u32 s2, s2, s4
	s_addc_u32 s3, 0, s5
	s_add_u32 s2, s2, 0xc4
	s_addc_u32 s3, s3, 0
	s_mul_i32 s6, s24, 12
	s_add_u32 s6, s4, s6
	s_addc_u32 s7, 0, s5
.LBB117_64:                             ; =>This Inner Loop Header: Depth=1
	s_load_dwordx2 s[10:11], s[6:7], 0x4
	s_load_dword s9, s[6:7], 0xc
	s_load_dword s12, s[2:3], 0x0
	s_add_u32 s6, s6, 12
	s_addc_u32 s7, s7, 0
	s_waitcnt lgkmcnt(0)
	v_mul_hi_u32 v5, s11, v3
	v_add_u32_e32 v5, v3, v5
	v_lshrrev_b32_e32 v5, s9, v5
	s_add_u32 s2, s2, 4
	v_mul_lo_u32 v7, v5, s10
	s_addc_u32 s3, s3, 0
	s_add_i32 s8, s8, -1
	v_sub_u32_e32 v7, v3, v7
	s_cmp_lg_u32 s8, 0
	v_mov_b32_e32 v3, v5
	v_mad_u64_u32 v[6:7], s[10:11], v7, s12, v[6:7]
	s_cbranch_scc1 .LBB117_64
.LBB117_65:
	s_cbranch_execnz .LBB117_68
.LBB117_66:
	s_load_dwordx4 s[8:11], s[4:5], 0x4
	s_load_dword s2, s[4:5], 0xc4
	s_cmp_lt_u32 s33, 2
	s_waitcnt lgkmcnt(0)
	v_mul_hi_u32 v3, s9, v1
	v_add_u32_e32 v3, v1, v3
	v_lshrrev_b32_e32 v3, s10, v3
	v_mul_lo_u32 v5, v3, s8
	v_sub_u32_e32 v1, v1, v5
	v_mul_lo_u32 v6, v1, s2
	s_cbranch_scc1 .LBB117_68
; %bb.67:
	s_load_dwordx4 s[8:11], s[4:5], 0x10
	s_load_dword s2, s[4:5], 0xc8
	s_waitcnt lgkmcnt(0)
	v_mul_hi_u32 v1, s9, v3
	v_add_u32_e32 v1, v3, v1
	v_lshrrev_b32_e32 v1, s10, v1
	v_mul_lo_u32 v1, v1, s8
	v_sub_u32_e32 v1, v3, v1
	v_mad_u64_u32 v[6:7], s[2:3], v1, s2, v[6:7]
.LBB117_68:
	s_and_b64 vcc, exec, s[0:1]
	v_add_u32_e32 v1, 0x200, v12
	s_cbranch_vccnz .LBB117_74
; %bb.69:
	s_mov_b32 s24, 0
	s_cmp_eq_u32 s33, 0
	v_mov_b32_e32 v8, 0
	s_cbranch_scc1 .LBB117_78
; %bb.70:
	s_min_u32 s25, s46, 15
	s_add_i32 s25, s25, 1
	s_cmp_eq_u32 s46, 2
	v_mov_b32_e32 v8, 0
	s_cbranch_scc1 .LBB117_75
; %bb.71:
	s_add_u32 s2, s4, 0xc4
	s_addc_u32 s3, s5, 0
	s_and_b32 s24, s25, 28
	s_mov_b32 s26, 0
	v_mov_b32_e32 v8, 0
	s_mov_b64 s[6:7], s[4:5]
	v_mov_b32_e32 v3, v1
.LBB117_72:                             ; =>This Inner Loop Header: Depth=1
	s_load_dwordx8 s[8:15], s[6:7], 0x4
	s_load_dwordx4 s[16:19], s[6:7], 0x24
	s_load_dwordx4 s[20:23], s[2:3], 0x0
	s_add_u32 s6, s6, 48
	s_addc_u32 s7, s7, 0
	s_waitcnt lgkmcnt(0)
	v_mul_hi_u32 v5, s9, v3
	v_add_u32_e32 v5, v3, v5
	v_lshrrev_b32_e32 v5, s10, v5
	v_mul_lo_u32 v7, v5, s8
	v_mul_hi_u32 v9, s12, v5
	v_sub_u32_e32 v3, v3, v7
	v_add_u32_e32 v7, v5, v9
	v_lshrrev_b32_e32 v7, s13, v7
	v_mul_lo_u32 v9, v7, s11
	v_mul_hi_u32 v10, s15, v7
	v_sub_u32_e32 v5, v5, v9
	v_add_u32_e32 v9, v7, v10
	v_mul_lo_u32 v3, v3, s20
	v_mul_lo_u32 v5, v5, s21
	v_lshrrev_b32_e32 v9, s16, v9
	v_add3_u32 v5, v3, v8, v5
	v_mul_lo_u32 v3, v9, s14
	v_mul_hi_u32 v8, s18, v9
	v_sub_u32_e32 v3, v7, v3
	v_add_u32_e32 v7, v9, v8
	v_mul_lo_u32 v8, v3, s22
	v_lshrrev_b32_e32 v3, s19, v7
	s_add_i32 s26, s26, 4
	v_mul_lo_u32 v7, v3, s17
	s_add_u32 s2, s2, 16
	v_sub_u32_e32 v7, v9, v7
	s_addc_u32 s3, s3, 0
	v_mul_lo_u32 v7, v7, s23
	s_cmp_lg_u32 s24, s26
	v_add3_u32 v8, v8, v5, v7
	s_cbranch_scc1 .LBB117_72
; %bb.73:
	s_and_b32 s8, s25, 3
	s_cmp_eq_u32 s8, 0
	s_cbranch_scc0 .LBB117_76
	s_branch .LBB117_78
.LBB117_74:
                                        ; implicit-def: $vgpr8
	s_branch .LBB117_79
.LBB117_75:
	v_mov_b32_e32 v3, v1
	s_and_b32 s8, s25, 3
	s_cmp_eq_u32 s8, 0
	s_cbranch_scc1 .LBB117_78
.LBB117_76:
	s_lshl_b32 s2, s24, 2
	s_add_u32 s2, s2, s4
	s_addc_u32 s3, 0, s5
	s_add_u32 s2, s2, 0xc4
	s_addc_u32 s3, s3, 0
	s_mul_i32 s6, s24, 12
	s_add_u32 s6, s4, s6
	s_addc_u32 s7, 0, s5
.LBB117_77:                             ; =>This Inner Loop Header: Depth=1
	s_load_dwordx2 s[10:11], s[6:7], 0x4
	s_load_dword s9, s[6:7], 0xc
	s_load_dword s12, s[2:3], 0x0
	s_add_u32 s6, s6, 12
	s_addc_u32 s7, s7, 0
	s_waitcnt lgkmcnt(0)
	v_mul_hi_u32 v5, s11, v3
	v_add_u32_e32 v5, v3, v5
	v_lshrrev_b32_e32 v5, s9, v5
	s_add_u32 s2, s2, 4
	v_mul_lo_u32 v7, v5, s10
	s_addc_u32 s3, s3, 0
	s_add_i32 s8, s8, -1
	v_sub_u32_e32 v7, v3, v7
	s_cmp_lg_u32 s8, 0
	v_mov_b32_e32 v3, v5
	v_mad_u64_u32 v[8:9], s[10:11], v7, s12, v[8:9]
	s_cbranch_scc1 .LBB117_77
.LBB117_78:
	s_cbranch_execnz .LBB117_81
.LBB117_79:
	s_load_dwordx4 s[8:11], s[4:5], 0x4
	s_load_dword s2, s[4:5], 0xc4
	s_cmp_lt_u32 s33, 2
	s_waitcnt lgkmcnt(0)
	v_mul_hi_u32 v3, s9, v1
	v_add_u32_e32 v3, v1, v3
	v_lshrrev_b32_e32 v3, s10, v3
	v_mul_lo_u32 v5, v3, s8
	v_sub_u32_e32 v1, v1, v5
	v_mul_lo_u32 v8, v1, s2
	s_cbranch_scc1 .LBB117_81
; %bb.80:
	s_load_dwordx4 s[8:11], s[4:5], 0x10
	s_load_dword s2, s[4:5], 0xc8
	s_waitcnt lgkmcnt(0)
	v_mul_hi_u32 v1, s9, v3
	v_add_u32_e32 v1, v3, v1
	v_lshrrev_b32_e32 v1, s10, v1
	v_mul_lo_u32 v1, v1, s8
	v_sub_u32_e32 v1, v3, v1
	v_mad_u64_u32 v[8:9], s[2:3], v1, s2, v[8:9]
.LBB117_81:
	s_and_b64 vcc, exec, s[0:1]
	v_add_u32_e32 v1, 0x280, v12
	s_cbranch_vccnz .LBB117_87
; %bb.82:
	s_mov_b32 s24, 0
	s_cmp_eq_u32 s33, 0
	v_mov_b32_e32 v10, 0
	s_cbranch_scc1 .LBB117_91
; %bb.83:
	s_min_u32 s25, s46, 15
	s_add_i32 s25, s25, 1
	s_cmp_eq_u32 s46, 2
	v_mov_b32_e32 v10, 0
	s_cbranch_scc1 .LBB117_88
; %bb.84:
	s_add_u32 s2, s4, 0xc4
	s_addc_u32 s3, s5, 0
	s_and_b32 s24, s25, 28
	s_mov_b32 s26, 0
	v_mov_b32_e32 v10, 0
	s_mov_b64 s[6:7], s[4:5]
	v_mov_b32_e32 v3, v1
.LBB117_85:                             ; =>This Inner Loop Header: Depth=1
	s_load_dwordx8 s[8:15], s[6:7], 0x4
	s_load_dwordx4 s[16:19], s[6:7], 0x24
	s_load_dwordx4 s[20:23], s[2:3], 0x0
	s_add_u32 s6, s6, 48
	s_addc_u32 s7, s7, 0
	s_waitcnt lgkmcnt(0)
	v_mul_hi_u32 v5, s9, v3
	v_add_u32_e32 v5, v3, v5
	v_lshrrev_b32_e32 v5, s10, v5
	v_mul_lo_u32 v7, v5, s8
	v_mul_hi_u32 v9, s12, v5
	v_sub_u32_e32 v3, v3, v7
	v_add_u32_e32 v7, v5, v9
	v_lshrrev_b32_e32 v7, s13, v7
	v_mul_lo_u32 v9, v7, s11
	v_mul_hi_u32 v11, s15, v7
	v_sub_u32_e32 v5, v5, v9
	v_add_u32_e32 v9, v7, v11
	v_mul_lo_u32 v3, v3, s20
	v_mul_lo_u32 v5, v5, s21
	v_lshrrev_b32_e32 v9, s16, v9
	v_add3_u32 v5, v3, v10, v5
	v_mul_lo_u32 v3, v9, s14
	v_mul_hi_u32 v10, s18, v9
	v_sub_u32_e32 v3, v7, v3
	v_add_u32_e32 v7, v9, v10
	v_mul_lo_u32 v10, v3, s22
	v_lshrrev_b32_e32 v3, s19, v7
	s_add_i32 s26, s26, 4
	v_mul_lo_u32 v7, v3, s17
	s_add_u32 s2, s2, 16
	v_sub_u32_e32 v7, v9, v7
	s_addc_u32 s3, s3, 0
	v_mul_lo_u32 v7, v7, s23
	s_cmp_lg_u32 s24, s26
	v_add3_u32 v10, v10, v5, v7
	s_cbranch_scc1 .LBB117_85
; %bb.86:
	s_and_b32 s8, s25, 3
	s_cmp_eq_u32 s8, 0
	s_cbranch_scc0 .LBB117_89
	s_branch .LBB117_91
.LBB117_87:
                                        ; implicit-def: $vgpr10
	s_branch .LBB117_92
.LBB117_88:
	v_mov_b32_e32 v3, v1
	s_and_b32 s8, s25, 3
	s_cmp_eq_u32 s8, 0
	s_cbranch_scc1 .LBB117_91
.LBB117_89:
	s_lshl_b32 s2, s24, 2
	s_add_u32 s2, s2, s4
	s_addc_u32 s3, 0, s5
	s_add_u32 s2, s2, 0xc4
	s_addc_u32 s3, s3, 0
	s_mul_i32 s6, s24, 12
	s_add_u32 s6, s4, s6
	s_addc_u32 s7, 0, s5
.LBB117_90:                             ; =>This Inner Loop Header: Depth=1
	s_load_dwordx2 s[10:11], s[6:7], 0x4
	s_load_dword s9, s[6:7], 0xc
	s_load_dword s12, s[2:3], 0x0
	s_add_u32 s6, s6, 12
	s_addc_u32 s7, s7, 0
	s_waitcnt lgkmcnt(0)
	v_mul_hi_u32 v5, s11, v3
	v_add_u32_e32 v5, v3, v5
	v_lshrrev_b32_e32 v5, s9, v5
	s_add_u32 s2, s2, 4
	v_mul_lo_u32 v7, v5, s10
	s_addc_u32 s3, s3, 0
	s_add_i32 s8, s8, -1
	v_sub_u32_e32 v7, v3, v7
	s_cmp_lg_u32 s8, 0
	v_mov_b32_e32 v3, v5
	v_mad_u64_u32 v[10:11], s[10:11], v7, s12, v[10:11]
	s_cbranch_scc1 .LBB117_90
.LBB117_91:
	s_cbranch_execnz .LBB117_94
.LBB117_92:
	s_load_dwordx4 s[8:11], s[4:5], 0x4
	s_load_dword s2, s[4:5], 0xc4
	s_cmp_lt_u32 s33, 2
	s_waitcnt lgkmcnt(0)
	v_mul_hi_u32 v3, s9, v1
	v_add_u32_e32 v3, v1, v3
	v_lshrrev_b32_e32 v3, s10, v3
	v_mul_lo_u32 v5, v3, s8
	v_sub_u32_e32 v1, v1, v5
	v_mul_lo_u32 v10, v1, s2
	s_cbranch_scc1 .LBB117_94
; %bb.93:
	s_load_dwordx4 s[8:11], s[4:5], 0x10
	s_load_dword s2, s[4:5], 0xc8
	s_waitcnt lgkmcnt(0)
	v_mul_hi_u32 v1, s9, v3
	v_add_u32_e32 v1, v3, v1
	v_lshrrev_b32_e32 v1, s10, v1
	v_mul_lo_u32 v1, v1, s8
	v_sub_u32_e32 v1, v3, v1
	v_mad_u64_u32 v[10:11], s[2:3], v1, s2, v[10:11]
.LBB117_94:
	s_and_b64 vcc, exec, s[0:1]
	v_add_u32_e32 v1, 0x300, v12
	s_cbranch_vccnz .LBB117_100
; %bb.95:
	s_mov_b32 s24, 0
	s_cmp_eq_u32 s33, 0
	v_mov_b32_e32 v12, 0
	s_cbranch_scc1 .LBB117_104
; %bb.96:
	s_min_u32 s25, s46, 15
	s_add_i32 s25, s25, 1
	s_cmp_eq_u32 s46, 2
	v_mov_b32_e32 v12, 0
	s_cbranch_scc1 .LBB117_101
; %bb.97:
	s_add_u32 s2, s4, 0xc4
	s_addc_u32 s3, s5, 0
	s_and_b32 s24, s25, 28
	s_mov_b32 s26, 0
	v_mov_b32_e32 v12, 0
	s_mov_b64 s[6:7], s[4:5]
	v_mov_b32_e32 v3, v1
.LBB117_98:                             ; =>This Inner Loop Header: Depth=1
	s_load_dwordx8 s[8:15], s[6:7], 0x4
	s_load_dwordx4 s[16:19], s[6:7], 0x24
	s_load_dwordx4 s[20:23], s[2:3], 0x0
	s_add_u32 s6, s6, 48
	s_addc_u32 s7, s7, 0
	s_waitcnt lgkmcnt(0)
	v_mul_hi_u32 v5, s9, v3
	v_add_u32_e32 v5, v3, v5
	v_lshrrev_b32_e32 v5, s10, v5
	v_mul_lo_u32 v7, v5, s8
	v_mul_hi_u32 v9, s12, v5
	v_sub_u32_e32 v3, v3, v7
	v_add_u32_e32 v7, v5, v9
	v_lshrrev_b32_e32 v7, s13, v7
	v_mul_lo_u32 v9, v7, s11
	v_mul_hi_u32 v11, s15, v7
	v_sub_u32_e32 v5, v5, v9
	v_add_u32_e32 v9, v7, v11
	v_mul_lo_u32 v3, v3, s20
	v_mul_lo_u32 v5, v5, s21
	v_lshrrev_b32_e32 v9, s16, v9
	v_add3_u32 v5, v3, v12, v5
	v_mul_lo_u32 v3, v9, s14
	v_mul_hi_u32 v11, s18, v9
	v_sub_u32_e32 v3, v7, v3
	v_add_u32_e32 v7, v9, v11
	v_mul_lo_u32 v11, v3, s22
	v_lshrrev_b32_e32 v3, s19, v7
	s_add_i32 s26, s26, 4
	v_mul_lo_u32 v7, v3, s17
	s_add_u32 s2, s2, 16
	v_sub_u32_e32 v7, v9, v7
	s_addc_u32 s3, s3, 0
	v_mul_lo_u32 v7, v7, s23
	s_cmp_lg_u32 s24, s26
	v_add3_u32 v12, v11, v5, v7
	s_cbranch_scc1 .LBB117_98
; %bb.99:
	s_and_b32 s8, s25, 3
	s_cmp_eq_u32 s8, 0
	s_cbranch_scc0 .LBB117_102
	s_branch .LBB117_104
.LBB117_100:
                                        ; implicit-def: $vgpr12
	s_branch .LBB117_105
.LBB117_101:
	v_mov_b32_e32 v3, v1
	s_and_b32 s8, s25, 3
	s_cmp_eq_u32 s8, 0
	s_cbranch_scc1 .LBB117_104
.LBB117_102:
	s_lshl_b32 s2, s24, 2
	s_add_u32 s2, s2, s4
	s_addc_u32 s3, 0, s5
	s_add_u32 s2, s2, 0xc4
	s_addc_u32 s3, s3, 0
	s_mul_i32 s6, s24, 12
	s_add_u32 s6, s4, s6
	s_addc_u32 s7, 0, s5
.LBB117_103:                            ; =>This Inner Loop Header: Depth=1
	s_load_dwordx2 s[10:11], s[6:7], 0x4
	s_load_dword s9, s[6:7], 0xc
	s_load_dword s12, s[2:3], 0x0
	s_add_u32 s6, s6, 12
	s_addc_u32 s7, s7, 0
	s_waitcnt lgkmcnt(0)
	v_mul_hi_u32 v5, s11, v3
	v_add_u32_e32 v5, v3, v5
	v_lshrrev_b32_e32 v5, s9, v5
	s_add_u32 s2, s2, 4
	v_mul_lo_u32 v7, v5, s10
	s_addc_u32 s3, s3, 0
	s_add_i32 s8, s8, -1
	v_sub_u32_e32 v7, v3, v7
	s_cmp_lg_u32 s8, 0
	v_mov_b32_e32 v3, v5
	v_mad_u64_u32 v[12:13], s[10:11], v7, s12, v[12:13]
	s_cbranch_scc1 .LBB117_103
.LBB117_104:
	s_cbranch_execnz .LBB117_107
.LBB117_105:
	s_load_dwordx4 s[8:11], s[4:5], 0x4
	s_load_dword s2, s[4:5], 0xc4
	s_cmp_lt_u32 s33, 2
	s_waitcnt lgkmcnt(0)
	v_mul_hi_u32 v3, s9, v1
	v_add_u32_e32 v3, v1, v3
	v_lshrrev_b32_e32 v3, s10, v3
	v_mul_lo_u32 v5, v3, s8
	v_sub_u32_e32 v1, v1, v5
	v_mul_lo_u32 v12, v1, s2
	s_cbranch_scc1 .LBB117_107
; %bb.106:
	s_load_dwordx4 s[8:11], s[4:5], 0x10
	s_load_dword s2, s[4:5], 0xc8
	s_waitcnt lgkmcnt(0)
	v_mul_hi_u32 v1, s9, v3
	v_add_u32_e32 v1, v3, v1
	v_lshrrev_b32_e32 v1, s10, v1
	v_mul_lo_u32 v1, v1, s8
	v_sub_u32_e32 v1, v3, v1
	v_mad_u64_u32 v[12:13], s[2:3], v1, s2, v[12:13]
.LBB117_107:
	s_and_b64 vcc, exec, s[0:1]
	s_cbranch_vccnz .LBB117_113
; %bb.108:
	s_mov_b32 s22, 0
	s_cmp_eq_u32 s33, 0
	v_mov_b32_e32 v14, 0
	s_cbranch_scc1 .LBB117_117
; %bb.109:
	s_min_u32 s23, s46, 15
	s_add_i32 s23, s23, 1
	s_cmp_eq_u32 s46, 2
	v_mov_b32_e32 v14, 0
	s_cbranch_scc1 .LBB117_114
; %bb.110:
	s_add_u32 s6, s4, 0xc4
	s_addc_u32 s7, s5, 0
	s_and_b32 s22, s23, 28
	s_mov_b32 s24, 0
	v_mov_b32_e32 v14, 0
	s_mov_b64 s[20:21], s[4:5]
	v_mov_b32_e32 v1, v16
.LBB117_111:                            ; =>This Inner Loop Header: Depth=1
	s_load_dwordx8 s[8:15], s[20:21], 0x4
	s_load_dwordx4 s[0:3], s[20:21], 0x24
	s_load_dwordx4 s[16:19], s[6:7], 0x0
	s_add_u32 s20, s20, 48
	s_addc_u32 s21, s21, 0
	s_waitcnt lgkmcnt(0)
	v_mul_hi_u32 v3, s9, v1
	v_add_u32_e32 v3, v1, v3
	v_lshrrev_b32_e32 v3, s10, v3
	v_mul_lo_u32 v5, v3, s8
	v_mul_hi_u32 v7, s12, v3
	v_sub_u32_e32 v1, v1, v5
	v_add_u32_e32 v5, v3, v7
	v_lshrrev_b32_e32 v5, s13, v5
	v_mul_lo_u32 v7, v5, s11
	v_mul_hi_u32 v9, s15, v5
	v_sub_u32_e32 v3, v3, v7
	v_add_u32_e32 v7, v5, v9
	v_mul_lo_u32 v1, v1, s16
	v_mul_lo_u32 v3, v3, s17
	v_lshrrev_b32_e32 v7, s0, v7
	v_add3_u32 v3, v1, v14, v3
	v_mul_lo_u32 v1, v7, s14
	v_mul_hi_u32 v9, s2, v7
	v_sub_u32_e32 v1, v5, v1
	v_add_u32_e32 v5, v7, v9
	v_mul_lo_u32 v9, v1, s18
	v_lshrrev_b32_e32 v1, s3, v5
	s_add_i32 s24, s24, 4
	v_mul_lo_u32 v5, v1, s1
	s_add_u32 s6, s6, 16
	v_sub_u32_e32 v5, v7, v5
	s_addc_u32 s7, s7, 0
	v_mul_lo_u32 v5, v5, s19
	s_cmp_lg_u32 s22, s24
	v_add3_u32 v14, v9, v3, v5
	s_cbranch_scc1 .LBB117_111
; %bb.112:
	s_and_b32 s6, s23, 3
	s_cmp_eq_u32 s6, 0
	s_cbranch_scc0 .LBB117_115
	s_branch .LBB117_117
.LBB117_113:
                                        ; implicit-def: $vgpr14
	s_branch .LBB117_118
.LBB117_114:
	v_mov_b32_e32 v1, v16
	s_and_b32 s6, s23, 3
	s_cmp_eq_u32 s6, 0
	s_cbranch_scc1 .LBB117_117
.LBB117_115:
	s_lshl_b32 s0, s22, 2
	s_add_u32 s0, s0, s4
	s_addc_u32 s1, 0, s5
	s_add_u32 s0, s0, 0xc4
	s_addc_u32 s1, s1, 0
	s_mul_i32 s2, s22, 12
	s_add_u32 s2, s4, s2
	s_addc_u32 s3, 0, s5
.LBB117_116:                            ; =>This Inner Loop Header: Depth=1
	s_load_dwordx2 s[8:9], s[2:3], 0x4
	s_load_dword s7, s[2:3], 0xc
	s_load_dword s10, s[0:1], 0x0
	s_add_u32 s2, s2, 12
	s_addc_u32 s3, s3, 0
	s_waitcnt lgkmcnt(0)
	v_mul_hi_u32 v3, s9, v1
	v_add_u32_e32 v3, v1, v3
	v_lshrrev_b32_e32 v3, s7, v3
	s_add_u32 s0, s0, 4
	v_mul_lo_u32 v5, v3, s8
	s_addc_u32 s1, s1, 0
	s_add_i32 s6, s6, -1
	v_sub_u32_e32 v5, v1, v5
	s_cmp_lg_u32 s6, 0
	v_mov_b32_e32 v1, v3
	v_mad_u64_u32 v[14:15], s[8:9], v5, s10, v[14:15]
	s_cbranch_scc1 .LBB117_116
.LBB117_117:
	s_cbranch_execnz .LBB117_120
.LBB117_118:
	s_load_dwordx4 s[0:3], s[4:5], 0x4
	s_waitcnt lgkmcnt(0)
	s_load_dword s3, s[4:5], 0xc4
	s_cmp_lt_u32 s33, 2
	v_mul_hi_u32 v1, s1, v16
	v_add_u32_e32 v1, v16, v1
	v_lshrrev_b32_e32 v1, s2, v1
	v_mul_lo_u32 v3, v1, s0
	v_sub_u32_e32 v3, v16, v3
	s_waitcnt lgkmcnt(0)
	v_mul_lo_u32 v14, v3, s3
	s_cbranch_scc1 .LBB117_120
; %bb.119:
	s_load_dwordx4 s[0:3], s[4:5], 0x10
	s_waitcnt lgkmcnt(0)
	s_load_dword s3, s[4:5], 0xc8
	v_mul_hi_u32 v3, s1, v1
	v_add_u32_e32 v3, v1, v3
	v_lshrrev_b32_e32 v3, s2, v3
	v_mul_lo_u32 v3, v3, s0
	v_sub_u32_e32 v1, v1, v3
	s_waitcnt lgkmcnt(0)
	v_mad_u64_u32 v[14:15], s[0:1], v1, s3, v[14:15]
.LBB117_120:
	s_load_dword s2, s[4:5], 0x110
	s_load_dwordx2 s[0:1], s[4:5], 0x108
	s_waitcnt lgkmcnt(0)
	v_mov_b32_e32 v1, s2
	s_nop 0
	global_store_byte v0, v1, s[0:1]
	global_store_byte v2, v1, s[0:1]
	;; [unrolled: 1-line block ×8, first 2 shown]
	s_endpgm
.LBB117_121:
	v_mov_b32_e32 v0, 0
	s_branch .LBB117_127
.LBB117_122:
	v_mov_b32_e32 v0, 0
	s_branch .LBB117_143
.LBB117_123:
	v_mov_b32_e32 v2, v12
.LBB117_124:
	s_and_b32 s12, s51, 3
	s_cmp_eq_u32 s12, 0
	s_cbranch_scc1 .LBB117_127
; %bb.125:
	s_lshl_b32 s8, s50, 2
	s_add_u32 s8, s8, s4
	s_addc_u32 s9, s5, 0
	s_add_u32 s8, s8, 0xc4
	s_addc_u32 s9, s9, 0
	s_mul_i32 s10, s50, 12
	s_add_u32 s10, s4, s10
	s_addc_u32 s11, s5, 0
.LBB117_126:                            ; =>This Inner Loop Header: Depth=1
	s_load_dwordx2 s[14:15], s[10:11], 0x4
	s_load_dword s13, s[10:11], 0xc
	s_load_dword s16, s[8:9], 0x0
	s_add_u32 s10, s10, 12
	s_addc_u32 s11, s11, 0
	s_waitcnt lgkmcnt(0)
	v_mul_hi_u32 v1, s15, v2
	v_add_u32_e32 v1, v2, v1
	v_lshrrev_b32_e32 v1, s13, v1
	s_add_u32 s8, s8, 4
	v_mul_lo_u32 v3, v1, s14
	s_addc_u32 s9, s9, 0
	s_add_i32 s12, s12, -1
	v_sub_u32_e32 v3, v2, v3
	s_cmp_lg_u32 s12, 0
	v_mov_b32_e32 v2, v1
	v_mad_u64_u32 v[0:1], s[14:15], v3, s16, v[0:1]
	s_cbranch_scc1 .LBB117_126
.LBB117_127:
	s_cbranch_execnz .LBB117_130
.LBB117_128:
	s_waitcnt lgkmcnt(0)
	v_mul_hi_u32 v0, s1, v12
	v_add_u32_e32 v0, v12, v0
	v_lshrrev_b32_e32 v1, s2, v0
	v_mul_lo_u32 v0, v1, s0
	v_sub_u32_e32 v0, v12, v0
	s_andn2_b64 vcc, exec, s[34:35]
	v_mul_lo_u32 v0, v0, s28
	s_cbranch_vccnz .LBB117_130
; %bb.129:
	v_mul_hi_u32 v2, s30, v1
	v_add_u32_e32 v2, v1, v2
	v_lshrrev_b32_e32 v2, s31, v2
	v_mul_lo_u32 v2, v2, s3
	v_sub_u32_e32 v1, v1, v2
	v_mad_u64_u32 v[0:1], s[8:9], v1, s29, v[0:1]
.LBB117_130:
	s_waitcnt lgkmcnt(0)
	v_mov_b32_e32 v1, s47
	v_add_u32_e32 v12, 0x80, v12
	global_store_byte v0, v1, s[26:27]
	s_or_b64 exec, exec, s[40:41]
	v_cmp_gt_i32_e32 vcc, s48, v12
	s_and_saveexec_b64 s[40:41], vcc
	s_cbranch_execnz .LBB117_15
.LBB117_131:
	s_or_b64 exec, exec, s[40:41]
	v_cmp_gt_i32_e32 vcc, s48, v12
	s_and_saveexec_b64 s[40:41], vcc
	s_cbranch_execz .LBB117_147
.LBB117_132:
	s_andn2_b64 vcc, exec, s[6:7]
	s_cbranch_vccnz .LBB117_137
; %bb.133:
	s_andn2_b64 vcc, exec, s[38:39]
	s_cbranch_vccnz .LBB117_138
; %bb.134:
	s_add_i32 s51, s49, 1
	s_mov_b32 s50, 0
	s_cmp_eq_u32 s46, 2
	v_mov_b32_e32 v0, 0
	s_cbranch_scc1 .LBB117_155
; %bb.135:
	s_and_b32 s50, s51, 28
	s_mov_b32 s52, 0
	v_mov_b32_e32 v0, 0
	s_mov_b64 s[42:43], s[4:5]
	s_mov_b64 s[44:45], s[36:37]
	v_mov_b32_e32 v2, v12
.LBB117_136:                            ; =>This Inner Loop Header: Depth=1
	s_load_dwordx8 s[8:15], s[42:43], 0x4
	s_load_dwordx4 s[16:19], s[42:43], 0x24
	s_load_dwordx4 s[20:23], s[44:45], 0x0
	s_add_u32 s42, s42, 48
	s_addc_u32 s43, s43, 0
	s_waitcnt lgkmcnt(0)
	v_mul_hi_u32 v1, s9, v2
	v_add_u32_e32 v1, v2, v1
	v_lshrrev_b32_e32 v1, s10, v1
	v_mul_lo_u32 v3, v1, s8
	v_mul_hi_u32 v4, s12, v1
	v_sub_u32_e32 v2, v2, v3
	v_add_u32_e32 v3, v1, v4
	v_lshrrev_b32_e32 v3, s13, v3
	v_mul_lo_u32 v4, v3, s11
	v_mul_hi_u32 v5, s15, v3
	v_sub_u32_e32 v1, v1, v4
	v_add_u32_e32 v4, v3, v5
	v_mul_lo_u32 v2, v2, s20
	v_mul_lo_u32 v1, v1, s21
	v_lshrrev_b32_e32 v4, s16, v4
	v_add3_u32 v0, v2, v0, v1
	v_mul_hi_u32 v2, s18, v4
	v_add_u32_e32 v2, v4, v2
	v_mul_lo_u32 v1, v4, s14
	v_lshrrev_b32_e32 v2, s19, v2
	s_add_i32 s52, s52, 4
	v_sub_u32_e32 v1, v3, v1
	v_mul_lo_u32 v3, v2, s17
	s_add_u32 s44, s44, 16
	v_sub_u32_e32 v3, v4, v3
	s_addc_u32 s45, s45, 0
	v_mul_lo_u32 v1, v1, s22
	v_mul_lo_u32 v3, v3, s23
	s_cmp_eq_u32 s50, s52
	v_add3_u32 v0, v1, v0, v3
	s_cbranch_scc0 .LBB117_136
	s_branch .LBB117_156
.LBB117_137:
                                        ; implicit-def: $vgpr0
	s_branch .LBB117_160
.LBB117_138:
	v_mov_b32_e32 v0, 0
	s_branch .LBB117_159
.LBB117_139:
	v_mov_b32_e32 v2, v12
.LBB117_140:
	s_and_b32 s12, s51, 3
	s_cmp_eq_u32 s12, 0
	s_cbranch_scc1 .LBB117_143
; %bb.141:
	s_lshl_b32 s8, s50, 2
	s_add_u32 s8, s8, s4
	s_addc_u32 s9, s5, 0
	s_add_u32 s8, s8, 0xc4
	s_addc_u32 s9, s9, 0
	s_mul_i32 s10, s50, 12
	s_add_u32 s10, s4, s10
	s_addc_u32 s11, s5, 0
.LBB117_142:                            ; =>This Inner Loop Header: Depth=1
	s_load_dwordx2 s[14:15], s[10:11], 0x4
	s_load_dword s13, s[10:11], 0xc
	s_load_dword s16, s[8:9], 0x0
	s_add_u32 s10, s10, 12
	s_addc_u32 s11, s11, 0
	s_waitcnt lgkmcnt(0)
	v_mul_hi_u32 v1, s15, v2
	v_add_u32_e32 v1, v2, v1
	v_lshrrev_b32_e32 v1, s13, v1
	s_add_u32 s8, s8, 4
	v_mul_lo_u32 v3, v1, s14
	s_addc_u32 s9, s9, 0
	s_add_i32 s12, s12, -1
	v_sub_u32_e32 v3, v2, v3
	s_cmp_lg_u32 s12, 0
	v_mov_b32_e32 v2, v1
	v_mad_u64_u32 v[0:1], s[14:15], v3, s16, v[0:1]
	s_cbranch_scc1 .LBB117_142
.LBB117_143:
	s_cbranch_execnz .LBB117_146
.LBB117_144:
	s_waitcnt lgkmcnt(0)
	v_mul_hi_u32 v0, s1, v12
	v_add_u32_e32 v0, v12, v0
	v_lshrrev_b32_e32 v1, s2, v0
	v_mul_lo_u32 v0, v1, s0
	v_sub_u32_e32 v0, v12, v0
	s_andn2_b64 vcc, exec, s[34:35]
	v_mul_lo_u32 v0, v0, s28
	s_cbranch_vccnz .LBB117_146
; %bb.145:
	v_mul_hi_u32 v2, s30, v1
	v_add_u32_e32 v2, v1, v2
	v_lshrrev_b32_e32 v2, s31, v2
	v_mul_lo_u32 v2, v2, s3
	v_sub_u32_e32 v1, v1, v2
	v_mad_u64_u32 v[0:1], s[8:9], v1, s29, v[0:1]
.LBB117_146:
	s_waitcnt lgkmcnt(0)
	v_mov_b32_e32 v1, s47
	v_add_u32_e32 v12, 0x80, v12
	global_store_byte v0, v1, s[26:27]
	s_or_b64 exec, exec, s[40:41]
	v_cmp_gt_i32_e32 vcc, s48, v12
	s_and_saveexec_b64 s[40:41], vcc
	s_cbranch_execnz .LBB117_132
.LBB117_147:
	s_or_b64 exec, exec, s[40:41]
	v_cmp_gt_i32_e32 vcc, s48, v12
	s_and_saveexec_b64 s[40:41], vcc
	s_cbranch_execz .LBB117_163
.LBB117_148:
	s_andn2_b64 vcc, exec, s[6:7]
	s_cbranch_vccnz .LBB117_153
; %bb.149:
	s_andn2_b64 vcc, exec, s[38:39]
	s_cbranch_vccnz .LBB117_154
; %bb.150:
	s_add_i32 s51, s49, 1
	s_mov_b32 s50, 0
	s_cmp_eq_u32 s46, 2
	v_mov_b32_e32 v0, 0
	s_cbranch_scc1 .LBB117_171
; %bb.151:
	s_and_b32 s50, s51, 28
	s_mov_b32 s52, 0
	v_mov_b32_e32 v0, 0
	s_mov_b64 s[42:43], s[4:5]
	s_mov_b64 s[44:45], s[36:37]
	v_mov_b32_e32 v2, v12
.LBB117_152:                            ; =>This Inner Loop Header: Depth=1
	s_load_dwordx8 s[8:15], s[42:43], 0x4
	s_load_dwordx4 s[16:19], s[42:43], 0x24
	s_load_dwordx4 s[20:23], s[44:45], 0x0
	s_add_u32 s42, s42, 48
	s_addc_u32 s43, s43, 0
	s_waitcnt lgkmcnt(0)
	v_mul_hi_u32 v1, s9, v2
	v_add_u32_e32 v1, v2, v1
	v_lshrrev_b32_e32 v1, s10, v1
	v_mul_lo_u32 v3, v1, s8
	v_mul_hi_u32 v4, s12, v1
	v_sub_u32_e32 v2, v2, v3
	v_add_u32_e32 v3, v1, v4
	v_lshrrev_b32_e32 v3, s13, v3
	v_mul_lo_u32 v4, v3, s11
	v_mul_hi_u32 v5, s15, v3
	v_sub_u32_e32 v1, v1, v4
	v_add_u32_e32 v4, v3, v5
	v_mul_lo_u32 v2, v2, s20
	v_mul_lo_u32 v1, v1, s21
	v_lshrrev_b32_e32 v4, s16, v4
	v_add3_u32 v0, v2, v0, v1
	v_mul_hi_u32 v2, s18, v4
	v_add_u32_e32 v2, v4, v2
	v_mul_lo_u32 v1, v4, s14
	v_lshrrev_b32_e32 v2, s19, v2
	s_add_i32 s52, s52, 4
	v_sub_u32_e32 v1, v3, v1
	v_mul_lo_u32 v3, v2, s17
	s_add_u32 s44, s44, 16
	v_sub_u32_e32 v3, v4, v3
	s_addc_u32 s45, s45, 0
	v_mul_lo_u32 v1, v1, s22
	v_mul_lo_u32 v3, v3, s23
	s_cmp_eq_u32 s50, s52
	v_add3_u32 v0, v1, v0, v3
	s_cbranch_scc0 .LBB117_152
	s_branch .LBB117_172
.LBB117_153:
                                        ; implicit-def: $vgpr0
	s_branch .LBB117_176
.LBB117_154:
	v_mov_b32_e32 v0, 0
	s_branch .LBB117_175
.LBB117_155:
	v_mov_b32_e32 v2, v12
.LBB117_156:
	s_and_b32 s12, s51, 3
	s_cmp_eq_u32 s12, 0
	s_cbranch_scc1 .LBB117_159
; %bb.157:
	s_lshl_b32 s8, s50, 2
	s_add_u32 s8, s8, s4
	s_addc_u32 s9, s5, 0
	s_add_u32 s8, s8, 0xc4
	s_addc_u32 s9, s9, 0
	s_mul_i32 s10, s50, 12
	s_add_u32 s10, s4, s10
	s_addc_u32 s11, s5, 0
.LBB117_158:                            ; =>This Inner Loop Header: Depth=1
	s_load_dwordx2 s[14:15], s[10:11], 0x4
	s_load_dword s13, s[10:11], 0xc
	s_load_dword s16, s[8:9], 0x0
	s_add_u32 s10, s10, 12
	s_addc_u32 s11, s11, 0
	s_waitcnt lgkmcnt(0)
	v_mul_hi_u32 v1, s15, v2
	v_add_u32_e32 v1, v2, v1
	v_lshrrev_b32_e32 v1, s13, v1
	s_add_u32 s8, s8, 4
	v_mul_lo_u32 v3, v1, s14
	s_addc_u32 s9, s9, 0
	s_add_i32 s12, s12, -1
	v_sub_u32_e32 v3, v2, v3
	s_cmp_lg_u32 s12, 0
	v_mov_b32_e32 v2, v1
	v_mad_u64_u32 v[0:1], s[14:15], v3, s16, v[0:1]
	s_cbranch_scc1 .LBB117_158
.LBB117_159:
	s_cbranch_execnz .LBB117_162
.LBB117_160:
	s_waitcnt lgkmcnt(0)
	v_mul_hi_u32 v0, s1, v12
	v_add_u32_e32 v0, v12, v0
	v_lshrrev_b32_e32 v1, s2, v0
	v_mul_lo_u32 v0, v1, s0
	v_sub_u32_e32 v0, v12, v0
	s_andn2_b64 vcc, exec, s[34:35]
	v_mul_lo_u32 v0, v0, s28
	s_cbranch_vccnz .LBB117_162
; %bb.161:
	v_mul_hi_u32 v2, s30, v1
	v_add_u32_e32 v2, v1, v2
	v_lshrrev_b32_e32 v2, s31, v2
	v_mul_lo_u32 v2, v2, s3
	v_sub_u32_e32 v1, v1, v2
	v_mad_u64_u32 v[0:1], s[8:9], v1, s29, v[0:1]
.LBB117_162:
	s_waitcnt lgkmcnt(0)
	v_mov_b32_e32 v1, s47
	v_add_u32_e32 v12, 0x80, v12
	global_store_byte v0, v1, s[26:27]
	s_or_b64 exec, exec, s[40:41]
	v_cmp_gt_i32_e32 vcc, s48, v12
	s_and_saveexec_b64 s[40:41], vcc
	s_cbranch_execnz .LBB117_148
.LBB117_163:
	s_or_b64 exec, exec, s[40:41]
	v_cmp_gt_i32_e32 vcc, s48, v12
	s_and_saveexec_b64 s[40:41], vcc
	s_cbranch_execz .LBB117_179
.LBB117_164:
	s_andn2_b64 vcc, exec, s[6:7]
	s_cbranch_vccnz .LBB117_169
; %bb.165:
	s_andn2_b64 vcc, exec, s[38:39]
	s_cbranch_vccnz .LBB117_170
; %bb.166:
	s_add_i32 s51, s49, 1
	s_mov_b32 s50, 0
	s_cmp_eq_u32 s46, 2
	v_mov_b32_e32 v0, 0
	s_cbranch_scc1 .LBB117_187
; %bb.167:
	s_and_b32 s50, s51, 28
	s_mov_b32 s52, 0
	v_mov_b32_e32 v0, 0
	s_mov_b64 s[42:43], s[4:5]
	s_mov_b64 s[44:45], s[36:37]
	v_mov_b32_e32 v2, v12
.LBB117_168:                            ; =>This Inner Loop Header: Depth=1
	s_load_dwordx8 s[8:15], s[42:43], 0x4
	s_load_dwordx4 s[16:19], s[42:43], 0x24
	s_load_dwordx4 s[20:23], s[44:45], 0x0
	s_add_u32 s42, s42, 48
	s_addc_u32 s43, s43, 0
	s_waitcnt lgkmcnt(0)
	v_mul_hi_u32 v1, s9, v2
	v_add_u32_e32 v1, v2, v1
	v_lshrrev_b32_e32 v1, s10, v1
	v_mul_lo_u32 v3, v1, s8
	v_mul_hi_u32 v4, s12, v1
	v_sub_u32_e32 v2, v2, v3
	v_add_u32_e32 v3, v1, v4
	v_lshrrev_b32_e32 v3, s13, v3
	v_mul_lo_u32 v4, v3, s11
	v_mul_hi_u32 v5, s15, v3
	v_sub_u32_e32 v1, v1, v4
	v_add_u32_e32 v4, v3, v5
	v_mul_lo_u32 v2, v2, s20
	v_mul_lo_u32 v1, v1, s21
	v_lshrrev_b32_e32 v4, s16, v4
	v_add3_u32 v0, v2, v0, v1
	v_mul_hi_u32 v2, s18, v4
	v_add_u32_e32 v2, v4, v2
	v_mul_lo_u32 v1, v4, s14
	v_lshrrev_b32_e32 v2, s19, v2
	s_add_i32 s52, s52, 4
	v_sub_u32_e32 v1, v3, v1
	v_mul_lo_u32 v3, v2, s17
	s_add_u32 s44, s44, 16
	v_sub_u32_e32 v3, v4, v3
	s_addc_u32 s45, s45, 0
	v_mul_lo_u32 v1, v1, s22
	v_mul_lo_u32 v3, v3, s23
	s_cmp_eq_u32 s50, s52
	v_add3_u32 v0, v1, v0, v3
	s_cbranch_scc0 .LBB117_168
	s_branch .LBB117_188
.LBB117_169:
                                        ; implicit-def: $vgpr0
	s_branch .LBB117_192
.LBB117_170:
	v_mov_b32_e32 v0, 0
	s_branch .LBB117_191
.LBB117_171:
	v_mov_b32_e32 v2, v12
.LBB117_172:
	s_and_b32 s12, s51, 3
	s_cmp_eq_u32 s12, 0
	s_cbranch_scc1 .LBB117_175
; %bb.173:
	s_lshl_b32 s8, s50, 2
	s_add_u32 s8, s8, s4
	s_addc_u32 s9, s5, 0
	s_add_u32 s8, s8, 0xc4
	s_addc_u32 s9, s9, 0
	s_mul_i32 s10, s50, 12
	s_add_u32 s10, s4, s10
	s_addc_u32 s11, s5, 0
.LBB117_174:                            ; =>This Inner Loop Header: Depth=1
	s_load_dwordx2 s[14:15], s[10:11], 0x4
	s_load_dword s13, s[10:11], 0xc
	s_load_dword s16, s[8:9], 0x0
	s_add_u32 s10, s10, 12
	s_addc_u32 s11, s11, 0
	s_waitcnt lgkmcnt(0)
	v_mul_hi_u32 v1, s15, v2
	v_add_u32_e32 v1, v2, v1
	v_lshrrev_b32_e32 v1, s13, v1
	s_add_u32 s8, s8, 4
	v_mul_lo_u32 v3, v1, s14
	s_addc_u32 s9, s9, 0
	s_add_i32 s12, s12, -1
	v_sub_u32_e32 v3, v2, v3
	s_cmp_lg_u32 s12, 0
	v_mov_b32_e32 v2, v1
	v_mad_u64_u32 v[0:1], s[14:15], v3, s16, v[0:1]
	s_cbranch_scc1 .LBB117_174
.LBB117_175:
	s_cbranch_execnz .LBB117_178
.LBB117_176:
	s_waitcnt lgkmcnt(0)
	v_mul_hi_u32 v0, s1, v12
	v_add_u32_e32 v0, v12, v0
	v_lshrrev_b32_e32 v1, s2, v0
	v_mul_lo_u32 v0, v1, s0
	v_sub_u32_e32 v0, v12, v0
	s_andn2_b64 vcc, exec, s[34:35]
	v_mul_lo_u32 v0, v0, s28
	s_cbranch_vccnz .LBB117_178
; %bb.177:
	v_mul_hi_u32 v2, s30, v1
	v_add_u32_e32 v2, v1, v2
	v_lshrrev_b32_e32 v2, s31, v2
	v_mul_lo_u32 v2, v2, s3
	v_sub_u32_e32 v1, v1, v2
	v_mad_u64_u32 v[0:1], s[8:9], v1, s29, v[0:1]
.LBB117_178:
	s_waitcnt lgkmcnt(0)
	v_mov_b32_e32 v1, s47
	v_add_u32_e32 v12, 0x80, v12
	global_store_byte v0, v1, s[26:27]
	s_or_b64 exec, exec, s[40:41]
	v_cmp_gt_i32_e32 vcc, s48, v12
	s_and_saveexec_b64 s[40:41], vcc
	s_cbranch_execnz .LBB117_164
.LBB117_179:
	s_or_b64 exec, exec, s[40:41]
	v_cmp_gt_i32_e32 vcc, s48, v12
	s_and_saveexec_b64 s[40:41], vcc
	s_cbranch_execz .LBB117_195
.LBB117_180:
	s_andn2_b64 vcc, exec, s[6:7]
	s_cbranch_vccnz .LBB117_185
; %bb.181:
	s_andn2_b64 vcc, exec, s[38:39]
	s_cbranch_vccnz .LBB117_186
; %bb.182:
	s_add_i32 s51, s49, 1
	s_mov_b32 s50, 0
	s_cmp_eq_u32 s46, 2
	v_mov_b32_e32 v0, 0
	s_cbranch_scc1 .LBB117_203
; %bb.183:
	s_and_b32 s50, s51, 28
	s_mov_b32 s52, 0
	v_mov_b32_e32 v0, 0
	s_mov_b64 s[42:43], s[4:5]
	s_mov_b64 s[44:45], s[36:37]
	v_mov_b32_e32 v2, v12
.LBB117_184:                            ; =>This Inner Loop Header: Depth=1
	s_load_dwordx8 s[8:15], s[42:43], 0x4
	s_load_dwordx4 s[16:19], s[42:43], 0x24
	s_load_dwordx4 s[20:23], s[44:45], 0x0
	s_add_u32 s42, s42, 48
	s_addc_u32 s43, s43, 0
	s_waitcnt lgkmcnt(0)
	v_mul_hi_u32 v1, s9, v2
	v_add_u32_e32 v1, v2, v1
	v_lshrrev_b32_e32 v1, s10, v1
	v_mul_lo_u32 v3, v1, s8
	v_mul_hi_u32 v4, s12, v1
	v_sub_u32_e32 v2, v2, v3
	v_add_u32_e32 v3, v1, v4
	v_lshrrev_b32_e32 v3, s13, v3
	v_mul_lo_u32 v4, v3, s11
	v_mul_hi_u32 v5, s15, v3
	v_sub_u32_e32 v1, v1, v4
	v_add_u32_e32 v4, v3, v5
	v_mul_lo_u32 v2, v2, s20
	v_mul_lo_u32 v1, v1, s21
	v_lshrrev_b32_e32 v4, s16, v4
	v_add3_u32 v0, v2, v0, v1
	v_mul_hi_u32 v2, s18, v4
	v_add_u32_e32 v2, v4, v2
	v_mul_lo_u32 v1, v4, s14
	v_lshrrev_b32_e32 v2, s19, v2
	s_add_i32 s52, s52, 4
	v_sub_u32_e32 v1, v3, v1
	v_mul_lo_u32 v3, v2, s17
	s_add_u32 s44, s44, 16
	v_sub_u32_e32 v3, v4, v3
	s_addc_u32 s45, s45, 0
	v_mul_lo_u32 v1, v1, s22
	v_mul_lo_u32 v3, v3, s23
	s_cmp_eq_u32 s50, s52
	v_add3_u32 v0, v1, v0, v3
	s_cbranch_scc0 .LBB117_184
	s_branch .LBB117_204
.LBB117_185:
                                        ; implicit-def: $vgpr0
	s_branch .LBB117_208
.LBB117_186:
	v_mov_b32_e32 v0, 0
	s_branch .LBB117_207
.LBB117_187:
	v_mov_b32_e32 v2, v12
.LBB117_188:
	s_and_b32 s12, s51, 3
	s_cmp_eq_u32 s12, 0
	s_cbranch_scc1 .LBB117_191
; %bb.189:
	s_lshl_b32 s8, s50, 2
	s_add_u32 s8, s8, s4
	s_addc_u32 s9, s5, 0
	s_add_u32 s8, s8, 0xc4
	s_addc_u32 s9, s9, 0
	s_mul_i32 s10, s50, 12
	s_add_u32 s10, s4, s10
	s_addc_u32 s11, s5, 0
.LBB117_190:                            ; =>This Inner Loop Header: Depth=1
	s_load_dwordx2 s[14:15], s[10:11], 0x4
	s_load_dword s13, s[10:11], 0xc
	s_load_dword s16, s[8:9], 0x0
	s_add_u32 s10, s10, 12
	s_addc_u32 s11, s11, 0
	s_waitcnt lgkmcnt(0)
	v_mul_hi_u32 v1, s15, v2
	v_add_u32_e32 v1, v2, v1
	v_lshrrev_b32_e32 v1, s13, v1
	s_add_u32 s8, s8, 4
	v_mul_lo_u32 v3, v1, s14
	s_addc_u32 s9, s9, 0
	s_add_i32 s12, s12, -1
	v_sub_u32_e32 v3, v2, v3
	s_cmp_lg_u32 s12, 0
	v_mov_b32_e32 v2, v1
	v_mad_u64_u32 v[0:1], s[14:15], v3, s16, v[0:1]
	s_cbranch_scc1 .LBB117_190
.LBB117_191:
	s_cbranch_execnz .LBB117_194
.LBB117_192:
	s_waitcnt lgkmcnt(0)
	v_mul_hi_u32 v0, s1, v12
	v_add_u32_e32 v0, v12, v0
	v_lshrrev_b32_e32 v1, s2, v0
	v_mul_lo_u32 v0, v1, s0
	v_sub_u32_e32 v0, v12, v0
	s_andn2_b64 vcc, exec, s[34:35]
	v_mul_lo_u32 v0, v0, s28
	s_cbranch_vccnz .LBB117_194
; %bb.193:
	v_mul_hi_u32 v2, s30, v1
	v_add_u32_e32 v2, v1, v2
	v_lshrrev_b32_e32 v2, s31, v2
	v_mul_lo_u32 v2, v2, s3
	v_sub_u32_e32 v1, v1, v2
	v_mad_u64_u32 v[0:1], s[8:9], v1, s29, v[0:1]
.LBB117_194:
	s_waitcnt lgkmcnt(0)
	v_mov_b32_e32 v1, s47
	v_add_u32_e32 v12, 0x80, v12
	global_store_byte v0, v1, s[26:27]
	s_or_b64 exec, exec, s[40:41]
	v_cmp_gt_i32_e32 vcc, s48, v12
	s_and_saveexec_b64 s[40:41], vcc
	s_cbranch_execnz .LBB117_180
.LBB117_195:
	s_or_b64 exec, exec, s[40:41]
	v_cmp_gt_i32_e32 vcc, s48, v12
	s_and_saveexec_b64 s[40:41], vcc
	s_cbranch_execz .LBB117_211
.LBB117_196:
	s_andn2_b64 vcc, exec, s[6:7]
	s_cbranch_vccnz .LBB117_201
; %bb.197:
	s_andn2_b64 vcc, exec, s[38:39]
	s_cbranch_vccnz .LBB117_202
; %bb.198:
	s_add_i32 s51, s49, 1
	s_mov_b32 s50, 0
	s_cmp_eq_u32 s46, 2
	v_mov_b32_e32 v0, 0
	s_cbranch_scc1 .LBB117_214
; %bb.199:
	s_and_b32 s50, s51, 28
	s_mov_b32 s52, 0
	v_mov_b32_e32 v0, 0
	s_mov_b64 s[42:43], s[4:5]
	s_mov_b64 s[44:45], s[36:37]
	v_mov_b32_e32 v2, v12
.LBB117_200:                            ; =>This Inner Loop Header: Depth=1
	s_load_dwordx8 s[8:15], s[42:43], 0x4
	s_load_dwordx4 s[16:19], s[42:43], 0x24
	s_load_dwordx4 s[20:23], s[44:45], 0x0
	s_add_u32 s42, s42, 48
	s_addc_u32 s43, s43, 0
	s_waitcnt lgkmcnt(0)
	v_mul_hi_u32 v1, s9, v2
	v_add_u32_e32 v1, v2, v1
	v_lshrrev_b32_e32 v1, s10, v1
	v_mul_lo_u32 v3, v1, s8
	v_mul_hi_u32 v4, s12, v1
	v_sub_u32_e32 v2, v2, v3
	v_add_u32_e32 v3, v1, v4
	v_lshrrev_b32_e32 v3, s13, v3
	v_mul_lo_u32 v4, v3, s11
	v_mul_hi_u32 v5, s15, v3
	v_sub_u32_e32 v1, v1, v4
	v_add_u32_e32 v4, v3, v5
	v_mul_lo_u32 v2, v2, s20
	v_mul_lo_u32 v1, v1, s21
	v_lshrrev_b32_e32 v4, s16, v4
	v_add3_u32 v0, v2, v0, v1
	v_mul_hi_u32 v2, s18, v4
	v_add_u32_e32 v2, v4, v2
	v_mul_lo_u32 v1, v4, s14
	v_lshrrev_b32_e32 v2, s19, v2
	s_add_i32 s52, s52, 4
	v_sub_u32_e32 v1, v3, v1
	v_mul_lo_u32 v3, v2, s17
	s_add_u32 s44, s44, 16
	v_sub_u32_e32 v3, v4, v3
	s_addc_u32 s45, s45, 0
	v_mul_lo_u32 v1, v1, s22
	v_mul_lo_u32 v3, v3, s23
	s_cmp_eq_u32 s50, s52
	v_add3_u32 v0, v1, v0, v3
	s_cbranch_scc0 .LBB117_200
	s_branch .LBB117_215
.LBB117_201:
                                        ; implicit-def: $vgpr0
	s_branch .LBB117_219
.LBB117_202:
	v_mov_b32_e32 v0, 0
	s_branch .LBB117_218
.LBB117_203:
	v_mov_b32_e32 v2, v12
.LBB117_204:
	s_and_b32 s12, s51, 3
	s_cmp_eq_u32 s12, 0
	s_cbranch_scc1 .LBB117_207
; %bb.205:
	s_lshl_b32 s8, s50, 2
	s_add_u32 s8, s8, s4
	s_addc_u32 s9, s5, 0
	s_add_u32 s8, s8, 0xc4
	s_addc_u32 s9, s9, 0
	s_mul_i32 s10, s50, 12
	s_add_u32 s10, s4, s10
	s_addc_u32 s11, s5, 0
.LBB117_206:                            ; =>This Inner Loop Header: Depth=1
	s_load_dwordx2 s[14:15], s[10:11], 0x4
	s_load_dword s13, s[10:11], 0xc
	s_load_dword s16, s[8:9], 0x0
	s_add_u32 s10, s10, 12
	s_addc_u32 s11, s11, 0
	s_waitcnt lgkmcnt(0)
	v_mul_hi_u32 v1, s15, v2
	v_add_u32_e32 v1, v2, v1
	v_lshrrev_b32_e32 v1, s13, v1
	s_add_u32 s8, s8, 4
	v_mul_lo_u32 v3, v1, s14
	s_addc_u32 s9, s9, 0
	s_add_i32 s12, s12, -1
	v_sub_u32_e32 v3, v2, v3
	s_cmp_lg_u32 s12, 0
	v_mov_b32_e32 v2, v1
	v_mad_u64_u32 v[0:1], s[14:15], v3, s16, v[0:1]
	s_cbranch_scc1 .LBB117_206
.LBB117_207:
	s_cbranch_execnz .LBB117_210
.LBB117_208:
	s_waitcnt lgkmcnt(0)
	v_mul_hi_u32 v0, s1, v12
	v_add_u32_e32 v0, v12, v0
	v_lshrrev_b32_e32 v1, s2, v0
	v_mul_lo_u32 v0, v1, s0
	v_sub_u32_e32 v0, v12, v0
	s_andn2_b64 vcc, exec, s[34:35]
	v_mul_lo_u32 v0, v0, s28
	s_cbranch_vccnz .LBB117_210
; %bb.209:
	v_mul_hi_u32 v2, s30, v1
	v_add_u32_e32 v2, v1, v2
	v_lshrrev_b32_e32 v2, s31, v2
	v_mul_lo_u32 v2, v2, s3
	v_sub_u32_e32 v1, v1, v2
	v_mad_u64_u32 v[0:1], s[8:9], v1, s29, v[0:1]
.LBB117_210:
	s_waitcnt lgkmcnt(0)
	v_mov_b32_e32 v1, s47
	v_add_u32_e32 v12, 0x80, v12
	global_store_byte v0, v1, s[26:27]
	s_or_b64 exec, exec, s[40:41]
	v_cmp_gt_i32_e32 vcc, s48, v12
	s_and_saveexec_b64 s[40:41], vcc
	s_cbranch_execnz .LBB117_196
.LBB117_211:
	s_or_b64 exec, exec, s[40:41]
	v_cmp_gt_i32_e32 vcc, s48, v12
	s_and_saveexec_b64 s[40:41], vcc
	s_cbranch_execnz .LBB117_222
.LBB117_212:
	s_or_b64 exec, exec, s[40:41]
                                        ; implicit-def: $vgpr16
                                        ; implicit-def: $vgpr12
	s_waitcnt lgkmcnt(0)
	s_andn2_saveexec_b64 s[0:1], s[24:25]
	s_cbranch_execnz .LBB117_8
.LBB117_213:
	s_endpgm
.LBB117_214:
	v_mov_b32_e32 v2, v12
.LBB117_215:
	s_and_b32 s12, s51, 3
	s_cmp_eq_u32 s12, 0
	s_cbranch_scc1 .LBB117_218
; %bb.216:
	s_lshl_b32 s8, s50, 2
	s_add_u32 s8, s8, s4
	s_addc_u32 s9, s5, 0
	s_add_u32 s8, s8, 0xc4
	s_addc_u32 s9, s9, 0
	s_mul_i32 s10, s50, 12
	s_add_u32 s10, s4, s10
	s_addc_u32 s11, s5, 0
.LBB117_217:                            ; =>This Inner Loop Header: Depth=1
	s_load_dwordx2 s[14:15], s[10:11], 0x4
	s_load_dword s13, s[10:11], 0xc
	s_load_dword s16, s[8:9], 0x0
	s_add_u32 s10, s10, 12
	s_addc_u32 s11, s11, 0
	s_waitcnt lgkmcnt(0)
	v_mul_hi_u32 v1, s15, v2
	v_add_u32_e32 v1, v2, v1
	v_lshrrev_b32_e32 v1, s13, v1
	s_add_u32 s8, s8, 4
	v_mul_lo_u32 v3, v1, s14
	s_addc_u32 s9, s9, 0
	s_add_i32 s12, s12, -1
	v_sub_u32_e32 v3, v2, v3
	s_cmp_lg_u32 s12, 0
	v_mov_b32_e32 v2, v1
	v_mad_u64_u32 v[0:1], s[14:15], v3, s16, v[0:1]
	s_cbranch_scc1 .LBB117_217
.LBB117_218:
	s_cbranch_execnz .LBB117_221
.LBB117_219:
	s_waitcnt lgkmcnt(0)
	v_mul_hi_u32 v0, s1, v12
	v_add_u32_e32 v0, v12, v0
	v_lshrrev_b32_e32 v1, s2, v0
	v_mul_lo_u32 v0, v1, s0
	v_sub_u32_e32 v0, v12, v0
	s_andn2_b64 vcc, exec, s[34:35]
	v_mul_lo_u32 v0, v0, s28
	s_cbranch_vccnz .LBB117_221
; %bb.220:
	v_mul_hi_u32 v2, s30, v1
	v_add_u32_e32 v2, v1, v2
	v_lshrrev_b32_e32 v2, s31, v2
	v_mul_lo_u32 v2, v2, s3
	v_sub_u32_e32 v1, v1, v2
	v_mad_u64_u32 v[0:1], s[8:9], v1, s29, v[0:1]
.LBB117_221:
	s_waitcnt lgkmcnt(0)
	v_mov_b32_e32 v1, s47
	v_add_u32_e32 v12, 0x80, v12
	global_store_byte v0, v1, s[26:27]
	s_or_b64 exec, exec, s[40:41]
	v_cmp_gt_i32_e32 vcc, s48, v12
	s_and_saveexec_b64 s[40:41], vcc
	s_cbranch_execz .LBB117_212
.LBB117_222:
	s_andn2_b64 vcc, exec, s[6:7]
	s_cbranch_vccnz .LBB117_227
; %bb.223:
	s_andn2_b64 vcc, exec, s[38:39]
	s_cbranch_vccnz .LBB117_228
; %bb.224:
	s_add_i32 s49, s49, 1
	s_mov_b32 s42, 0
	s_cmp_eq_u32 s46, 2
	v_mov_b32_e32 v0, 0
	s_cbranch_scc1 .LBB117_229
; %bb.225:
	s_and_b32 s42, s49, 28
	s_mov_b32 s43, 0
	v_mov_b32_e32 v0, 0
	s_mov_b64 s[38:39], s[4:5]
	v_mov_b32_e32 v2, v12
.LBB117_226:                            ; =>This Inner Loop Header: Depth=1
	s_load_dwordx8 s[8:15], s[38:39], 0x4
	s_load_dwordx4 s[16:19], s[38:39], 0x24
	s_load_dwordx4 s[20:23], s[36:37], 0x0
	s_add_u32 s38, s38, 48
	s_addc_u32 s39, s39, 0
	s_waitcnt lgkmcnt(0)
	v_mul_hi_u32 v1, s9, v2
	v_add_u32_e32 v1, v2, v1
	v_lshrrev_b32_e32 v1, s10, v1
	v_mul_lo_u32 v3, v1, s8
	v_mul_hi_u32 v4, s12, v1
	v_sub_u32_e32 v2, v2, v3
	v_add_u32_e32 v3, v1, v4
	v_lshrrev_b32_e32 v3, s13, v3
	v_mul_lo_u32 v4, v3, s11
	v_mul_hi_u32 v5, s15, v3
	v_sub_u32_e32 v1, v1, v4
	v_add_u32_e32 v4, v3, v5
	v_mul_lo_u32 v2, v2, s20
	v_mul_lo_u32 v1, v1, s21
	v_lshrrev_b32_e32 v4, s16, v4
	v_add3_u32 v0, v2, v0, v1
	v_mul_hi_u32 v2, s18, v4
	v_add_u32_e32 v2, v4, v2
	v_mul_lo_u32 v1, v4, s14
	v_lshrrev_b32_e32 v2, s19, v2
	s_add_i32 s43, s43, 4
	v_sub_u32_e32 v1, v3, v1
	v_mul_lo_u32 v3, v2, s17
	s_add_u32 s36, s36, 16
	v_sub_u32_e32 v3, v4, v3
	s_addc_u32 s37, s37, 0
	v_mul_lo_u32 v1, v1, s22
	v_mul_lo_u32 v3, v3, s23
	s_cmp_eq_u32 s42, s43
	v_add3_u32 v0, v1, v0, v3
	s_cbranch_scc0 .LBB117_226
	s_branch .LBB117_230
.LBB117_227:
                                        ; implicit-def: $vgpr0
	s_branch .LBB117_234
.LBB117_228:
	v_mov_b32_e32 v0, 0
	s_branch .LBB117_233
.LBB117_229:
	v_mov_b32_e32 v2, v12
.LBB117_230:
	s_and_b32 s12, s49, 3
	s_cmp_eq_u32 s12, 0
	s_cbranch_scc1 .LBB117_233
; %bb.231:
	s_lshl_b32 s8, s42, 2
	s_add_u32 s8, s8, s4
	s_addc_u32 s9, s5, 0
	s_add_u32 s8, s8, 0xc4
	s_addc_u32 s9, s9, 0
	s_mul_i32 s10, s42, 12
	s_add_u32 s10, s4, s10
	s_addc_u32 s11, s5, 0
.LBB117_232:                            ; =>This Inner Loop Header: Depth=1
	s_load_dwordx2 s[14:15], s[10:11], 0x4
	s_load_dword s13, s[10:11], 0xc
	s_load_dword s16, s[8:9], 0x0
	s_add_u32 s10, s10, 12
	s_addc_u32 s11, s11, 0
	s_waitcnt lgkmcnt(0)
	v_mul_hi_u32 v1, s15, v2
	v_add_u32_e32 v1, v2, v1
	v_lshrrev_b32_e32 v1, s13, v1
	s_add_u32 s8, s8, 4
	v_mul_lo_u32 v3, v1, s14
	s_addc_u32 s9, s9, 0
	s_add_i32 s12, s12, -1
	v_sub_u32_e32 v3, v2, v3
	s_cmp_lg_u32 s12, 0
	v_mov_b32_e32 v2, v1
	v_mad_u64_u32 v[0:1], s[14:15], v3, s16, v[0:1]
	s_cbranch_scc1 .LBB117_232
.LBB117_233:
	s_cbranch_execnz .LBB117_236
.LBB117_234:
	s_waitcnt lgkmcnt(0)
	v_mul_hi_u32 v0, s1, v12
	v_add_u32_e32 v0, v12, v0
	v_lshrrev_b32_e32 v1, s2, v0
	v_mul_lo_u32 v0, v1, s0
	v_sub_u32_e32 v0, v12, v0
	s_andn2_b64 vcc, exec, s[34:35]
	v_mul_lo_u32 v0, v0, s28
	s_cbranch_vccnz .LBB117_236
; %bb.235:
	v_mul_hi_u32 v2, s30, v1
	v_add_u32_e32 v2, v1, v2
	v_lshrrev_b32_e32 v2, s31, v2
	v_mul_lo_u32 v2, v2, s3
	v_sub_u32_e32 v1, v1, v2
	v_mad_u64_u32 v[0:1], s[0:1], v1, s29, v[0:1]
.LBB117_236:
	s_waitcnt lgkmcnt(0)
	v_mov_b32_e32 v1, s47
	global_store_byte v0, v1, s[26:27]
	s_or_b64 exec, exec, s[40:41]
                                        ; implicit-def: $vgpr16
                                        ; implicit-def: $vgpr12
	s_andn2_saveexec_b64 s[0:1], s[24:25]
	s_cbranch_execz .LBB117_213
	s_branch .LBB117_8
	.section	.rodata,"a",@progbits
	.p2align	6, 0x0
	.amdhsa_kernel _ZN2at6native32elementwise_kernel_manual_unrollILi128ELi8EZNS0_22gpu_kernel_impl_nocastINS0_11FillFunctorIN3c1011Float8_e5m2EEEEEvRNS_18TensorIteratorBaseERKT_EUlibE_EEviT1_
		.amdhsa_group_segment_fixed_size 0
		.amdhsa_private_segment_fixed_size 0
		.amdhsa_kernarg_size 288
		.amdhsa_user_sgpr_count 6
		.amdhsa_user_sgpr_private_segment_buffer 1
		.amdhsa_user_sgpr_dispatch_ptr 0
		.amdhsa_user_sgpr_queue_ptr 0
		.amdhsa_user_sgpr_kernarg_segment_ptr 1
		.amdhsa_user_sgpr_dispatch_id 0
		.amdhsa_user_sgpr_flat_scratch_init 0
		.amdhsa_user_sgpr_kernarg_preload_length 0
		.amdhsa_user_sgpr_kernarg_preload_offset 0
		.amdhsa_user_sgpr_private_segment_size 0
		.amdhsa_uses_dynamic_stack 0
		.amdhsa_system_sgpr_private_segment_wavefront_offset 0
		.amdhsa_system_sgpr_workgroup_id_x 1
		.amdhsa_system_sgpr_workgroup_id_y 0
		.amdhsa_system_sgpr_workgroup_id_z 0
		.amdhsa_system_sgpr_workgroup_info 0
		.amdhsa_system_vgpr_workitem_id 0
		.amdhsa_next_free_vgpr 17
		.amdhsa_next_free_sgpr 53
		.amdhsa_accum_offset 20
		.amdhsa_reserve_vcc 1
		.amdhsa_reserve_flat_scratch 0
		.amdhsa_float_round_mode_32 0
		.amdhsa_float_round_mode_16_64 0
		.amdhsa_float_denorm_mode_32 3
		.amdhsa_float_denorm_mode_16_64 3
		.amdhsa_dx10_clamp 1
		.amdhsa_ieee_mode 1
		.amdhsa_fp16_overflow 0
		.amdhsa_tg_split 0
		.amdhsa_exception_fp_ieee_invalid_op 0
		.amdhsa_exception_fp_denorm_src 0
		.amdhsa_exception_fp_ieee_div_zero 0
		.amdhsa_exception_fp_ieee_overflow 0
		.amdhsa_exception_fp_ieee_underflow 0
		.amdhsa_exception_fp_ieee_inexact 0
		.amdhsa_exception_int_div_zero 0
	.end_amdhsa_kernel
	.section	.text._ZN2at6native32elementwise_kernel_manual_unrollILi128ELi8EZNS0_22gpu_kernel_impl_nocastINS0_11FillFunctorIN3c1011Float8_e5m2EEEEEvRNS_18TensorIteratorBaseERKT_EUlibE_EEviT1_,"axG",@progbits,_ZN2at6native32elementwise_kernel_manual_unrollILi128ELi8EZNS0_22gpu_kernel_impl_nocastINS0_11FillFunctorIN3c1011Float8_e5m2EEEEEvRNS_18TensorIteratorBaseERKT_EUlibE_EEviT1_,comdat
.Lfunc_end117:
	.size	_ZN2at6native32elementwise_kernel_manual_unrollILi128ELi8EZNS0_22gpu_kernel_impl_nocastINS0_11FillFunctorIN3c1011Float8_e5m2EEEEEvRNS_18TensorIteratorBaseERKT_EUlibE_EEviT1_, .Lfunc_end117-_ZN2at6native32elementwise_kernel_manual_unrollILi128ELi8EZNS0_22gpu_kernel_impl_nocastINS0_11FillFunctorIN3c1011Float8_e5m2EEEEEvRNS_18TensorIteratorBaseERKT_EUlibE_EEviT1_
                                        ; -- End function
	.section	.AMDGPU.csdata,"",@progbits
; Kernel info:
; codeLenInByte = 9664
; NumSgprs: 57
; NumVgprs: 17
; NumAgprs: 0
; TotalNumVgprs: 17
; ScratchSize: 0
; MemoryBound: 0
; FloatMode: 240
; IeeeMode: 1
; LDSByteSize: 0 bytes/workgroup (compile time only)
; SGPRBlocks: 7
; VGPRBlocks: 2
; NumSGPRsForWavesPerEU: 57
; NumVGPRsForWavesPerEU: 17
; AccumOffset: 20
; Occupancy: 8
; WaveLimiterHint : 1
; COMPUTE_PGM_RSRC2:SCRATCH_EN: 0
; COMPUTE_PGM_RSRC2:USER_SGPR: 6
; COMPUTE_PGM_RSRC2:TRAP_HANDLER: 0
; COMPUTE_PGM_RSRC2:TGID_X_EN: 1
; COMPUTE_PGM_RSRC2:TGID_Y_EN: 0
; COMPUTE_PGM_RSRC2:TGID_Z_EN: 0
; COMPUTE_PGM_RSRC2:TIDIG_COMP_CNT: 0
; COMPUTE_PGM_RSRC3_GFX90A:ACCUM_OFFSET: 4
; COMPUTE_PGM_RSRC3_GFX90A:TG_SPLIT: 0
	.section	.text._ZN2at6native32elementwise_kernel_manual_unrollILi128ELi4EZNS0_15gpu_kernel_implINS0_11FillFunctorIN3c1011Float8_e5m2EEEEEvRNS_18TensorIteratorBaseERKT_EUlibE_EEviT1_,"axG",@progbits,_ZN2at6native32elementwise_kernel_manual_unrollILi128ELi4EZNS0_15gpu_kernel_implINS0_11FillFunctorIN3c1011Float8_e5m2EEEEEvRNS_18TensorIteratorBaseERKT_EUlibE_EEviT1_,comdat
	.protected	_ZN2at6native32elementwise_kernel_manual_unrollILi128ELi4EZNS0_15gpu_kernel_implINS0_11FillFunctorIN3c1011Float8_e5m2EEEEEvRNS_18TensorIteratorBaseERKT_EUlibE_EEviT1_ ; -- Begin function _ZN2at6native32elementwise_kernel_manual_unrollILi128ELi4EZNS0_15gpu_kernel_implINS0_11FillFunctorIN3c1011Float8_e5m2EEEEEvRNS_18TensorIteratorBaseERKT_EUlibE_EEviT1_
	.globl	_ZN2at6native32elementwise_kernel_manual_unrollILi128ELi4EZNS0_15gpu_kernel_implINS0_11FillFunctorIN3c1011Float8_e5m2EEEEEvRNS_18TensorIteratorBaseERKT_EUlibE_EEviT1_
	.p2align	8
	.type	_ZN2at6native32elementwise_kernel_manual_unrollILi128ELi4EZNS0_15gpu_kernel_implINS0_11FillFunctorIN3c1011Float8_e5m2EEEEEvRNS_18TensorIteratorBaseERKT_EUlibE_EEviT1_,@function
_ZN2at6native32elementwise_kernel_manual_unrollILi128ELi4EZNS0_15gpu_kernel_implINS0_11FillFunctorIN3c1011Float8_e5m2EEEEEvRNS_18TensorIteratorBaseERKT_EUlibE_EEviT1_: ; @_ZN2at6native32elementwise_kernel_manual_unrollILi128ELi4EZNS0_15gpu_kernel_implINS0_11FillFunctorIN3c1011Float8_e5m2EEEEEvRNS_18TensorIteratorBaseERKT_EUlibE_EEviT1_
; %bb.0:
	s_load_dwordx4 s[8:11], s[4:5], 0x8
	s_load_dword s44, s[4:5], 0x0
	v_lshl_or_b32 v20, s6, 9, v0
	v_or_b32_e32 v0, 0x180, v20
	s_mov_b64 s[12:13], 0
	s_waitcnt lgkmcnt(0)
	v_lshrrev_b16_e64 v10, 8, s11
	v_cmp_le_i32_e32 vcc, s44, v0
	s_mov_b64 s[2:3], 0
	s_and_saveexec_b64 s[0:1], vcc
	s_xor_b64 s[6:7], exec, s[0:1]
	s_cbranch_execz .LBB118_404
; %bb.1:
	s_lshl_b32 s0, s11, 8
	s_and_b32 s0, s0, 0x7f00
	s_or_b32 s0, s0, 0.5
	s_lshl_b32 s1, s11, 25
	v_add_f32_e64 v0, s0, -0.5
	s_lshl_b32 s0, s11, 24
	s_lshr_b32 s2, s1, 4
	s_and_b32 s0, s0, 0x80000000
	s_or_b32 s2, s2, 0x70000000
	s_cmp_lt_u32 s1, 0x8000000
	v_mov_b32_e32 v1, 0x7800000
	v_mul_f32_e32 v1, s2, v1
	s_cselect_b64 vcc, -1, 0
	v_cndmask_b32_e32 v0, v1, v0, vcc
	v_readfirstlane_b32 s14, v0
	s_or_b32 s33, s0, s14
	v_trunc_f32_e32 v2, s33
	v_mul_f32_e32 v1, 0x2f800000, v2
	v_floor_f32_e32 v1, v1
	v_mov_b32_e32 v3, v2
	v_fmac_f32_e32 v3, 0xcf800000, v1
	v_and_b32_e32 v4, 0x400000, v0
	v_cvt_u32_f32_e32 v6, v3
	v_bfe_u32 v3, v0, 23, 8
	s_movk_i32 s0, 0xff
	v_cmp_ne_u32_e32 vcc, 0, v4
	v_and_b32_e32 v4, 0x3fffff, v0
	v_cmp_eq_u32_e64 s[4:5], s0, v3
	v_or_b32_e32 v3, v3, v4
	v_cmp_ne_u32_e64 s[0:1], 0, v3
	s_and_b64 s[0:1], vcc, s[0:1]
	v_cvt_u32_f32_e32 v7, v1
	v_lshrrev_b32_e32 v1, 23, v0
	v_cndmask_b32_e64 v3, 0, 1, s[0:1]
	v_add_u32_e32 v19, v1, v3
	s_and_b32 s28, s33, 0x7fffffff
	v_mov_b32_e32 v1, 0x46000000
	s_cmp_lt_u32 s28, 0x43800000
	v_add_f32_e64 v17, |s33|, v1
	v_bfe_u32 v1, v0, 21, 1
	s_cselect_b64 s[22:23], -1, 0
	s_cmp_gt_u32 s28, 0x3bffffff
	v_add_u32_e32 v1, s33, v1
	s_cselect_b64 s[2:3], -1, 0
	s_bfe_u32 s0, s14, 0x10014
	v_add_u32_e32 v1, 0x88fffff, v1
	s_add_i32 s29, s33, s0
	v_lshrrev_b32_e32 v15, 21, v1
	v_mov_b32_e32 v1, 0x42800000
	s_add_i32 s0, s29, 0x487ffff
	v_add_f32_e64 v16, |s33|, v1
	v_mov_b32_e32 v1, 0x46800000
	s_lshr_b32 s52, s0, 20
	v_readfirstlane_b32 s0, v17
	v_add_f32_e64 v1, |s33|, v1
	s_and_b32 s0, s0, 0xff
	v_readfirstlane_b32 s50, v1
	v_bfe_u32 v1, v0, 16, 1
	s_cmp_lg_u32 s0, 0
	v_add_u32_e32 v1, s33, v1
	s_cselect_b64 s[24:25], -1, 0
	s_lshr_b32 s0, s33, 24
	v_add_u32_e32 v1, 0x7fff, v1
	s_mov_b32 s26, 0x2f800000
	s_and_b32 s48, s0, 0x80
	v_lshrrev_b32_e32 v1, 16, v1
	v_mov_b32_e32 v3, 0x7fc0
	v_cmp_o_f32_e64 vcc, s33, s33
	s_cmp_lt_u32 s28, 0x47800000
	v_cndmask_b32_e32 v14, v3, v1, vcc
	v_mul_f32_e64 v3, |v2|, s26
	s_mov_b32 s27, 0xcf800000
	s_cselect_b64 s[18:19], -1, 0
	s_cmp_gt_u32 s28, 0x37ffffff
	v_readfirstlane_b32 s14, v16
	v_floor_f32_e32 v3, v3
	s_cselect_b64 s[0:1], -1, 0
	s_and_b32 s14, s14, 0xff
	v_fma_f32 v4, v3, s27, |v2|
	s_cmp_lg_u32 s14, 0
	v_cvt_u32_f32_e32 v4, v4
	s_cselect_b64 s[20:21], -1, 0
	s_cmp_gt_u32 s28, 0x43efffff
	v_cvt_u32_f32_e32 v3, v3
	s_cselect_b64 s[14:15], -1, 0
	s_cmp_lt_u32 s28, 0x3c800000
	s_cselect_b64 s[16:17], -1, 0
	s_add_i32 s29, s29, 0x407ffff
	v_ashrrev_i32_e32 v2, 31, v2
	v_cvt_u32_f32_e32 v18, s33
	s_lshr_b32 s30, s29, 20
	s_and_b32 s29, s29, 0xff00000
	v_cmp_neq_f32_e32 vcc, 0, v0
	v_cvt_f16_f32_e32 v12, s33
	v_xor_b32_e32 v4, v4, v2
	v_cvt_i32_f32_e32 v11, s33
	s_cmp_lg_u32 s29, 0x7f00000
	v_cndmask_b32_e64 v13, 0, 1, vcc
	v_xor_b32_e32 v3, v3, v2
	v_sub_co_u32_e32 v4, vcc, v4, v2
	s_cselect_b32 s49, s30, 0x7e
	s_cmp_gt_u32 s28, 0x7f800000
	s_movk_i32 s28, 0x7f
	v_subb_co_u32_e32 v5, vcc, v3, v2, vcc
	s_cselect_b32 s51, s28, 0x7e
	v_cvt_f64_f32_e32 v[0:1], s33
	v_cmp_gt_i32_e32 vcc, s44, v20
	s_mov_b64 s[30:31], -1
	s_mov_b64 s[34:35], 0
	s_mov_b64 s[26:27], 0
	s_and_saveexec_b64 s[28:29], vcc
	s_cbranch_execz .LBB118_100
; %bb.2:
	v_mul_lo_u32 v2, v20, s10
	v_ashrrev_i32_e32 v3, 31, v2
	v_mov_b32_e32 v9, s9
	v_add_co_u32_e32 v8, vcc, s8, v2
	v_addc_co_u32_e32 v9, vcc, v9, v3, vcc
	v_cmp_gt_i16_e32 vcc, 11, v10
	s_cbranch_vccnz .LBB118_9
; %bb.3:
	v_cmp_lt_i16_e32 vcc, 25, v10
	s_cbranch_vccz .LBB118_12
; %bb.4:
	v_cmp_lt_i16_e32 vcc, 28, v10
	s_cbranch_vccz .LBB118_13
	;; [unrolled: 3-line block ×4, first 2 shown]
; %bb.7:
	v_cmp_eq_u16_e32 vcc, 46, v10
	s_mov_b64 s[36:37], 0
	s_mov_b64 s[26:27], -1
	s_mov_b64 s[30:31], 0
	s_cbranch_vccz .LBB118_16
; %bb.8:
	global_store_dword v[8:9], v14, off
	s_mov_b64 s[30:31], -1
	s_mov_b64 s[26:27], 0
	s_branch .LBB118_16
.LBB118_9:
	s_mov_b64 s[30:31], 0
	s_cbranch_execnz .LBB118_60
.LBB118_10:
	s_andn2_b64 vcc, exec, s[30:31]
	s_cbranch_vccnz .LBB118_98
.LBB118_11:
	v_add_u32_e32 v20, 0x80, v20
	s_mov_b64 s[30:31], -1
	s_branch .LBB118_99
.LBB118_12:
	s_mov_b64 s[30:31], 0
	s_cbranch_execnz .LBB118_38
	s_branch .LBB118_59
.LBB118_13:
	s_mov_b64 s[36:37], -1
	s_mov_b64 s[30:31], 0
	s_branch .LBB118_24
.LBB118_14:
	s_mov_b64 s[36:37], -1
	s_mov_b64 s[30:31], 0
	s_branch .LBB118_20
.LBB118_15:
	s_mov_b64 s[36:37], -1
	s_mov_b64 s[30:31], 0
.LBB118_16:
	s_and_b64 vcc, exec, s[36:37]
	s_cbranch_vccz .LBB118_19
; %bb.17:
	v_cmp_eq_u16_e32 vcc, 44, v10
	s_mov_b64 s[26:27], -1
	s_cbranch_vccz .LBB118_19
; %bb.18:
	v_mov_b32_e32 v2, 0xff
	v_cndmask_b32_e64 v2, v19, v2, s[4:5]
	global_store_byte v[8:9], v2, off
	s_mov_b64 s[30:31], -1
	s_mov_b64 s[26:27], 0
.LBB118_19:
	s_mov_b64 s[36:37], 0
.LBB118_20:
	s_and_b64 vcc, exec, s[36:37]
	s_cbranch_vccz .LBB118_23
; %bb.21:
	v_cmp_eq_u16_e32 vcc, 29, v10
	s_mov_b64 s[26:27], -1
	s_cbranch_vccz .LBB118_23
; %bb.22:
	global_store_dwordx2 v[8:9], v[6:7], off
	s_mov_b64 s[30:31], -1
	s_mov_b64 s[26:27], 0
.LBB118_23:
	s_mov_b64 s[36:37], 0
.LBB118_24:
	s_and_b64 vcc, exec, s[36:37]
	s_cbranch_vccz .LBB118_37
; %bb.25:
	v_cmp_gt_i16_e32 vcc, 27, v10
	s_mov_b64 s[30:31], -1
	s_cbranch_vccnz .LBB118_31
; %bb.26:
	v_cmp_lt_i16_e32 vcc, 27, v10
	s_cbranch_vccz .LBB118_28
; %bb.27:
	s_mov_b64 s[30:31], 0
	global_store_dword v[8:9], v18, off
.LBB118_28:
	s_andn2_b64 vcc, exec, s[30:31]
	s_cbranch_vccnz .LBB118_30
; %bb.29:
	global_store_short v[8:9], v18, off
.LBB118_30:
	s_mov_b64 s[30:31], 0
.LBB118_31:
	s_andn2_b64 vcc, exec, s[30:31]
	s_cbranch_vccnz .LBB118_36
; %bb.32:
	s_andn2_b64 vcc, exec, s[22:23]
	v_mov_b32_e32 v2, 0x80
	s_cbranch_vccnz .LBB118_35
; %bb.33:
	s_or_b64 s[30:31], s[2:3], s[24:25]
	s_andn2_b64 vcc, exec, s[30:31]
	v_mov_b32_e32 v2, 0
	s_cbranch_vccnz .LBB118_35
; %bb.34:
	v_mov_b32_e32 v2, s52
	v_cndmask_b32_e64 v2, v17, v2, s[2:3]
	v_or_b32_e32 v2, s48, v2
.LBB118_35:
	global_store_byte v[8:9], v2, off
.LBB118_36:
	s_mov_b64 s[30:31], -1
.LBB118_37:
	s_branch .LBB118_59
.LBB118_38:
	v_cmp_lt_i16_e32 vcc, 22, v10
	s_mov_b64 s[36:37], -1
	s_cbranch_vccz .LBB118_51
; %bb.39:
	v_cmp_gt_i16_e32 vcc, 24, v10
	s_mov_b64 s[30:31], -1
	s_cbranch_vccnz .LBB118_48
; %bb.40:
	v_cmp_lt_i16_e32 vcc, 24, v10
	s_cbranch_vccz .LBB118_45
; %bb.41:
	s_andn2_b64 vcc, exec, s[18:19]
	v_mov_b32_e32 v2, 0x80
	s_cbranch_vccnz .LBB118_44
; %bb.42:
	s_or_b64 s[30:31], s[0:1], s[20:21]
	s_andn2_b64 vcc, exec, s[30:31]
	v_mov_b32_e32 v2, 0
	s_cbranch_vccnz .LBB118_44
; %bb.43:
	v_cndmask_b32_e64 v2, v16, v15, s[0:1]
	v_or_b32_e32 v2, s48, v2
.LBB118_44:
	s_mov_b64 s[30:31], 0
	global_store_byte v[8:9], v2, off
.LBB118_45:
	s_and_b64 vcc, exec, s[30:31]
	s_cbranch_vccz .LBB118_47
; %bb.46:
	s_and_b64 s[30:31], s[16:17], exec
	s_cselect_b32 s36, s50, s49
	s_and_b64 s[30:31], s[14:15], exec
	s_cselect_b32 s30, s51, s36
	s_or_b32 s30, s30, s48
	v_mov_b32_e32 v2, s30
	global_store_byte v[8:9], v2, off
.LBB118_47:
	s_mov_b64 s[30:31], 0
.LBB118_48:
	s_andn2_b64 vcc, exec, s[30:31]
	s_cbranch_vccnz .LBB118_50
; %bb.49:
	v_mov_b32_e32 v2, s11
	global_store_byte v[8:9], v2, off
.LBB118_50:
	s_mov_b64 s[36:37], 0
	s_mov_b64 s[30:31], -1
.LBB118_51:
	s_andn2_b64 vcc, exec, s[36:37]
	s_cbranch_vccnz .LBB118_59
; %bb.52:
	v_cmp_lt_i16_e32 vcc, 14, v10
	s_mov_b64 s[36:37], -1
	s_cbranch_vccz .LBB118_56
; %bb.53:
	v_cmp_eq_u16_e32 vcc, 15, v10
	s_mov_b64 s[26:27], -1
	s_cbranch_vccz .LBB118_55
; %bb.54:
	global_store_short v[8:9], v14, off
	s_mov_b64 s[30:31], -1
	s_mov_b64 s[26:27], 0
.LBB118_55:
	s_mov_b64 s[36:37], 0
.LBB118_56:
	s_and_b64 vcc, exec, s[36:37]
	s_cbranch_vccz .LBB118_59
; %bb.57:
	v_cmp_eq_u16_e32 vcc, 11, v10
	s_mov_b64 s[26:27], -1
	s_cbranch_vccz .LBB118_59
; %bb.58:
	s_mov_b64 s[30:31], -1
	s_mov_b64 s[26:27], 0
	global_store_byte v[8:9], v13, off
.LBB118_59:
	s_branch .LBB118_10
.LBB118_60:
	v_cmp_gt_i16_e32 vcc, 5, v10
	s_mov_b64 s[30:31], -1
	s_cbranch_vccnz .LBB118_81
; %bb.61:
	v_cmp_gt_i16_e32 vcc, 8, v10
	s_cbranch_vccnz .LBB118_71
; %bb.62:
	v_cmp_gt_i16_e32 vcc, 9, v10
	s_cbranch_vccnz .LBB118_68
; %bb.63:
	v_cmp_lt_i16_e32 vcc, 9, v10
	s_cbranch_vccz .LBB118_65
; %bb.64:
	v_mov_b32_e32 v2, 0
	v_mov_b32_e32 v3, v2
	global_store_dwordx4 v[8:9], v[0:3], off
	s_mov_b64 s[30:31], 0
.LBB118_65:
	s_andn2_b64 vcc, exec, s[30:31]
	s_cbranch_vccnz .LBB118_67
; %bb.66:
	v_mov_b32_e32 v2, s33
	v_mov_b32_e32 v3, 0
	global_store_dwordx2 v[8:9], v[2:3], off
.LBB118_67:
	s_mov_b64 s[30:31], 0
.LBB118_68:
	s_andn2_b64 vcc, exec, s[30:31]
	s_cbranch_vccnz .LBB118_70
; %bb.69:
	global_store_dword v[8:9], v12, off
.LBB118_70:
	s_mov_b64 s[30:31], 0
.LBB118_71:
	s_andn2_b64 vcc, exec, s[30:31]
	s_cbranch_vccnz .LBB118_80
; %bb.72:
	v_cmp_gt_i16_e32 vcc, 6, v10
	s_mov_b64 s[30:31], -1
	s_cbranch_vccnz .LBB118_78
; %bb.73:
	v_cmp_lt_i16_e32 vcc, 6, v10
	s_cbranch_vccz .LBB118_75
; %bb.74:
	global_store_dwordx2 v[8:9], v[0:1], off
	s_mov_b64 s[30:31], 0
.LBB118_75:
	s_andn2_b64 vcc, exec, s[30:31]
	s_cbranch_vccnz .LBB118_77
; %bb.76:
	v_mov_b32_e32 v2, s33
	global_store_dword v[8:9], v2, off
.LBB118_77:
	s_mov_b64 s[30:31], 0
.LBB118_78:
	s_andn2_b64 vcc, exec, s[30:31]
	s_cbranch_vccnz .LBB118_80
; %bb.79:
	global_store_short v[8:9], v12, off
.LBB118_80:
	s_mov_b64 s[30:31], 0
.LBB118_81:
	s_andn2_b64 vcc, exec, s[30:31]
	s_cbranch_vccnz .LBB118_97
; %bb.82:
	v_cmp_gt_i16_e32 vcc, 2, v10
	s_mov_b64 s[30:31], -1
	s_cbranch_vccnz .LBB118_92
; %bb.83:
	v_cmp_gt_i16_e32 vcc, 3, v10
	s_cbranch_vccnz .LBB118_89
; %bb.84:
	v_cmp_lt_i16_e32 vcc, 3, v10
	s_cbranch_vccz .LBB118_86
; %bb.85:
	global_store_dwordx2 v[8:9], v[4:5], off
	s_mov_b64 s[30:31], 0
.LBB118_86:
	s_andn2_b64 vcc, exec, s[30:31]
	s_cbranch_vccnz .LBB118_88
; %bb.87:
	global_store_dword v[8:9], v11, off
.LBB118_88:
	s_mov_b64 s[30:31], 0
.LBB118_89:
	s_andn2_b64 vcc, exec, s[30:31]
	s_cbranch_vccnz .LBB118_91
; %bb.90:
	global_store_short v[8:9], v11, off
.LBB118_91:
	s_mov_b64 s[30:31], 0
.LBB118_92:
	s_andn2_b64 vcc, exec, s[30:31]
	s_cbranch_vccnz .LBB118_97
; %bb.93:
	v_cmp_lt_i16_e32 vcc, 0, v10
	s_mov_b64 s[30:31], -1
	s_cbranch_vccz .LBB118_95
; %bb.94:
	global_store_byte v[8:9], v11, off
	s_mov_b64 s[30:31], 0
.LBB118_95:
	s_andn2_b64 vcc, exec, s[30:31]
	s_cbranch_vccnz .LBB118_97
; %bb.96:
	global_store_byte v[8:9], v4, off
.LBB118_97:
	s_branch .LBB118_11
.LBB118_98:
	s_mov_b64 s[30:31], 0
                                        ; implicit-def: $vgpr20
.LBB118_99:
	s_and_b64 s[26:27], s[26:27], exec
	s_orn2_b64 s[30:31], s[30:31], exec
.LBB118_100:
	s_or_b64 exec, exec, s[28:29]
	s_mov_b64 s[36:37], 0
                                        ; implicit-def: $vgpr8_vgpr9
	s_and_saveexec_b64 s[28:29], s[30:31]
	s_cbranch_execz .LBB118_109
; %bb.101:
	v_cmp_gt_i32_e32 vcc, s44, v20
	s_mov_b64 s[38:39], -1
	s_mov_b64 s[30:31], s[26:27]
	s_and_saveexec_b64 s[34:35], vcc
	s_cbranch_execz .LBB118_204
; %bb.102:
	v_mul_lo_u32 v2, v20, s10
	v_ashrrev_i32_e32 v3, 31, v2
	v_mov_b32_e32 v9, s9
	v_add_co_u32_e32 v8, vcc, s8, v2
	v_addc_co_u32_e32 v9, vcc, v9, v3, vcc
	v_cmp_gt_i16_e32 vcc, 11, v10
	s_cbranch_vccnz .LBB118_112
; %bb.103:
	v_cmp_lt_i16_e32 vcc, 25, v10
	s_cbranch_vccz .LBB118_115
; %bb.104:
	v_cmp_lt_i16_e32 vcc, 28, v10
	s_cbranch_vccz .LBB118_116
	;; [unrolled: 3-line block ×4, first 2 shown]
; %bb.107:
	v_cmp_eq_u16_e32 vcc, 46, v10
	s_mov_b64 s[38:39], 0
	s_mov_b64 s[30:31], -1
	s_cbranch_vccz .LBB118_119
; %bb.108:
	global_store_dword v[8:9], v14, off
	s_mov_b64 s[36:37], -1
	s_mov_b64 s[30:31], 0
	s_branch .LBB118_119
.LBB118_109:
	s_or_b64 exec, exec, s[28:29]
	s_mov_b64 s[0:1], 0
	s_and_saveexec_b64 s[2:3], s[26:27]
	s_cbranch_execnz .LBB118_364
.LBB118_110:
	s_or_b64 exec, exec, s[2:3]
	s_and_saveexec_b64 s[2:3], s[34:35]
	s_xor_b64 s[2:3], exec, s[2:3]
	s_cbranch_execz .LBB118_365
.LBB118_111:
	global_store_byte v[8:9], v13, off
	s_or_b64 exec, exec, s[2:3]
	s_and_saveexec_b64 s[2:3], s[36:37]
	s_xor_b64 s[2:3], exec, s[2:3]
	s_cbranch_execz .LBB118_403
	s_branch .LBB118_366
.LBB118_112:
	s_mov_b64 s[30:31], s[26:27]
	s_and_b64 vcc, exec, s[38:39]
	s_cbranch_vccnz .LBB118_164
.LBB118_113:
	s_andn2_b64 vcc, exec, s[36:37]
	s_cbranch_vccnz .LBB118_202
.LBB118_114:
	v_add_u32_e32 v20, 0x80, v20
	s_mov_b64 s[36:37], -1
	s_branch .LBB118_203
.LBB118_115:
	s_mov_b64 s[30:31], s[26:27]
	s_branch .LBB118_141
.LBB118_116:
	s_mov_b64 s[30:31], s[26:27]
	s_branch .LBB118_127
.LBB118_117:
	s_mov_b64 s[30:31], s[26:27]
	s_branch .LBB118_123
.LBB118_118:
	s_mov_b64 s[30:31], s[26:27]
.LBB118_119:
	s_and_b64 vcc, exec, s[38:39]
	s_cbranch_vccz .LBB118_122
; %bb.120:
	v_cmp_eq_u16_e32 vcc, 44, v10
	s_mov_b64 s[30:31], -1
	s_cbranch_vccz .LBB118_122
; %bb.121:
	v_mov_b32_e32 v2, 0xff
	v_cndmask_b32_e64 v2, v19, v2, s[4:5]
	s_mov_b64 s[36:37], -1
	s_mov_b64 s[30:31], 0
	global_store_byte v[8:9], v2, off
.LBB118_122:
	s_mov_b64 s[38:39], 0
.LBB118_123:
	s_and_b64 vcc, exec, s[38:39]
	s_cbranch_vccz .LBB118_126
; %bb.124:
	v_cmp_eq_u16_e32 vcc, 29, v10
	s_mov_b64 s[30:31], -1
	s_cbranch_vccz .LBB118_126
; %bb.125:
	global_store_dwordx2 v[8:9], v[6:7], off
	s_mov_b64 s[36:37], -1
	s_mov_b64 s[30:31], 0
.LBB118_126:
	s_mov_b64 s[38:39], 0
.LBB118_127:
	s_and_b64 vcc, exec, s[38:39]
	s_cbranch_vccz .LBB118_140
; %bb.128:
	v_cmp_gt_i16_e32 vcc, 27, v10
	s_mov_b64 s[36:37], -1
	s_cbranch_vccnz .LBB118_134
; %bb.129:
	v_cmp_lt_i16_e32 vcc, 27, v10
	s_cbranch_vccz .LBB118_131
; %bb.130:
	s_mov_b64 s[36:37], 0
	global_store_dword v[8:9], v18, off
.LBB118_131:
	s_andn2_b64 vcc, exec, s[36:37]
	s_cbranch_vccnz .LBB118_133
; %bb.132:
	global_store_short v[8:9], v18, off
.LBB118_133:
	s_mov_b64 s[36:37], 0
.LBB118_134:
	s_andn2_b64 vcc, exec, s[36:37]
	s_cbranch_vccnz .LBB118_139
; %bb.135:
	s_andn2_b64 vcc, exec, s[22:23]
	v_mov_b32_e32 v2, 0x80
	s_cbranch_vccnz .LBB118_138
; %bb.136:
	s_or_b64 s[36:37], s[2:3], s[24:25]
	s_andn2_b64 vcc, exec, s[36:37]
	v_mov_b32_e32 v2, 0
	s_cbranch_vccnz .LBB118_138
; %bb.137:
	v_mov_b32_e32 v2, s52
	v_cndmask_b32_e64 v2, v17, v2, s[2:3]
	v_or_b32_e32 v2, s48, v2
.LBB118_138:
	global_store_byte v[8:9], v2, off
.LBB118_139:
	s_mov_b64 s[36:37], -1
.LBB118_140:
	s_mov_b64 s[38:39], 0
.LBB118_141:
	s_and_b64 vcc, exec, s[38:39]
	s_cbranch_vccz .LBB118_163
; %bb.142:
	v_cmp_lt_i16_e32 vcc, 22, v10
	s_mov_b64 s[38:39], -1
	s_cbranch_vccz .LBB118_155
; %bb.143:
	v_cmp_gt_i16_e32 vcc, 24, v10
	s_mov_b64 s[36:37], -1
	s_cbranch_vccnz .LBB118_152
; %bb.144:
	v_cmp_lt_i16_e32 vcc, 24, v10
	s_cbranch_vccz .LBB118_149
; %bb.145:
	s_andn2_b64 vcc, exec, s[18:19]
	v_mov_b32_e32 v2, 0x80
	s_cbranch_vccnz .LBB118_148
; %bb.146:
	s_or_b64 s[36:37], s[0:1], s[20:21]
	s_andn2_b64 vcc, exec, s[36:37]
	v_mov_b32_e32 v2, 0
	s_cbranch_vccnz .LBB118_148
; %bb.147:
	v_cndmask_b32_e64 v2, v16, v15, s[0:1]
	v_or_b32_e32 v2, s48, v2
.LBB118_148:
	s_mov_b64 s[36:37], 0
	global_store_byte v[8:9], v2, off
.LBB118_149:
	s_and_b64 vcc, exec, s[36:37]
	s_cbranch_vccz .LBB118_151
; %bb.150:
	s_and_b64 s[36:37], s[16:17], exec
	s_cselect_b32 s38, s50, s49
	s_and_b64 s[36:37], s[14:15], exec
	s_cselect_b32 s36, s51, s38
	s_or_b32 s36, s36, s48
	v_mov_b32_e32 v2, s36
	global_store_byte v[8:9], v2, off
.LBB118_151:
	s_mov_b64 s[36:37], 0
.LBB118_152:
	s_andn2_b64 vcc, exec, s[36:37]
	s_cbranch_vccnz .LBB118_154
; %bb.153:
	v_mov_b32_e32 v2, s11
	global_store_byte v[8:9], v2, off
.LBB118_154:
	s_mov_b64 s[38:39], 0
	s_mov_b64 s[36:37], -1
.LBB118_155:
	s_andn2_b64 vcc, exec, s[38:39]
	s_cbranch_vccnz .LBB118_163
; %bb.156:
	v_cmp_lt_i16_e32 vcc, 14, v10
	s_mov_b64 s[38:39], -1
	s_cbranch_vccz .LBB118_160
; %bb.157:
	v_cmp_eq_u16_e32 vcc, 15, v10
	s_mov_b64 s[30:31], -1
	s_cbranch_vccz .LBB118_159
; %bb.158:
	global_store_short v[8:9], v14, off
	s_mov_b64 s[36:37], -1
	s_mov_b64 s[30:31], 0
.LBB118_159:
	s_mov_b64 s[38:39], 0
.LBB118_160:
	s_and_b64 vcc, exec, s[38:39]
	s_cbranch_vccz .LBB118_163
; %bb.161:
	v_cmp_eq_u16_e32 vcc, 11, v10
	s_mov_b64 s[30:31], -1
	s_cbranch_vccz .LBB118_163
; %bb.162:
	s_mov_b64 s[36:37], -1
	s_mov_b64 s[30:31], 0
	global_store_byte v[8:9], v13, off
.LBB118_163:
	s_branch .LBB118_113
.LBB118_164:
	v_cmp_gt_i16_e32 vcc, 5, v10
	s_mov_b64 s[36:37], -1
	s_cbranch_vccnz .LBB118_185
; %bb.165:
	v_cmp_gt_i16_e32 vcc, 8, v10
	s_cbranch_vccnz .LBB118_175
; %bb.166:
	v_cmp_gt_i16_e32 vcc, 9, v10
	s_cbranch_vccnz .LBB118_172
; %bb.167:
	v_cmp_lt_i16_e32 vcc, 9, v10
	s_cbranch_vccz .LBB118_169
; %bb.168:
	v_mov_b32_e32 v2, 0
	v_mov_b32_e32 v3, v2
	s_mov_b64 s[36:37], 0
	global_store_dwordx4 v[8:9], v[0:3], off
.LBB118_169:
	s_andn2_b64 vcc, exec, s[36:37]
	s_cbranch_vccnz .LBB118_171
; %bb.170:
	v_mov_b32_e32 v2, s33
	v_mov_b32_e32 v3, 0
	global_store_dwordx2 v[8:9], v[2:3], off
.LBB118_171:
	s_mov_b64 s[36:37], 0
.LBB118_172:
	s_andn2_b64 vcc, exec, s[36:37]
	s_cbranch_vccnz .LBB118_174
; %bb.173:
	global_store_dword v[8:9], v12, off
.LBB118_174:
	s_mov_b64 s[36:37], 0
.LBB118_175:
	s_andn2_b64 vcc, exec, s[36:37]
	s_cbranch_vccnz .LBB118_184
; %bb.176:
	v_cmp_gt_i16_e32 vcc, 6, v10
	s_mov_b64 s[36:37], -1
	s_cbranch_vccnz .LBB118_182
; %bb.177:
	v_cmp_lt_i16_e32 vcc, 6, v10
	s_cbranch_vccz .LBB118_179
; %bb.178:
	s_mov_b64 s[36:37], 0
	global_store_dwordx2 v[8:9], v[0:1], off
.LBB118_179:
	s_andn2_b64 vcc, exec, s[36:37]
	s_cbranch_vccnz .LBB118_181
; %bb.180:
	v_mov_b32_e32 v2, s33
	global_store_dword v[8:9], v2, off
.LBB118_181:
	s_mov_b64 s[36:37], 0
.LBB118_182:
	s_andn2_b64 vcc, exec, s[36:37]
	s_cbranch_vccnz .LBB118_184
; %bb.183:
	global_store_short v[8:9], v12, off
.LBB118_184:
	s_mov_b64 s[36:37], 0
.LBB118_185:
	s_andn2_b64 vcc, exec, s[36:37]
	s_cbranch_vccnz .LBB118_201
; %bb.186:
	v_cmp_gt_i16_e32 vcc, 2, v10
	s_mov_b64 s[36:37], -1
	s_cbranch_vccnz .LBB118_196
; %bb.187:
	v_cmp_gt_i16_e32 vcc, 3, v10
	s_cbranch_vccnz .LBB118_193
; %bb.188:
	v_cmp_lt_i16_e32 vcc, 3, v10
	s_cbranch_vccz .LBB118_190
; %bb.189:
	s_mov_b64 s[36:37], 0
	global_store_dwordx2 v[8:9], v[4:5], off
.LBB118_190:
	s_andn2_b64 vcc, exec, s[36:37]
	s_cbranch_vccnz .LBB118_192
; %bb.191:
	global_store_dword v[8:9], v11, off
.LBB118_192:
	s_mov_b64 s[36:37], 0
.LBB118_193:
	s_andn2_b64 vcc, exec, s[36:37]
	s_cbranch_vccnz .LBB118_195
; %bb.194:
	global_store_short v[8:9], v11, off
.LBB118_195:
	s_mov_b64 s[36:37], 0
.LBB118_196:
	s_andn2_b64 vcc, exec, s[36:37]
	s_cbranch_vccnz .LBB118_201
; %bb.197:
	v_cmp_lt_i16_e32 vcc, 0, v10
	s_mov_b64 s[36:37], -1
	s_cbranch_vccz .LBB118_199
; %bb.198:
	s_mov_b64 s[36:37], 0
	global_store_byte v[8:9], v11, off
.LBB118_199:
	s_andn2_b64 vcc, exec, s[36:37]
	s_cbranch_vccnz .LBB118_201
; %bb.200:
	global_store_byte v[8:9], v4, off
.LBB118_201:
	s_branch .LBB118_114
.LBB118_202:
	s_mov_b64 s[36:37], 0
                                        ; implicit-def: $vgpr20
.LBB118_203:
	s_andn2_b64 s[38:39], s[26:27], exec
	s_and_b64 s[30:31], s[30:31], exec
	s_or_b64 s[30:31], s[38:39], s[30:31]
	s_orn2_b64 s[38:39], s[36:37], exec
.LBB118_204:
	s_or_b64 exec, exec, s[34:35]
	s_mov_b64 s[40:41], 0
	s_mov_b64 s[36:37], 0
                                        ; implicit-def: $vgpr8_vgpr9
	s_and_saveexec_b64 s[34:35], s[38:39]
	s_cbranch_execz .LBB118_363
; %bb.205:
	v_cmp_gt_i32_e32 vcc, s44, v20
	s_mov_b64 s[42:43], -1
	s_mov_b64 s[38:39], s[30:31]
	s_and_saveexec_b64 s[36:37], vcc
	s_cbranch_execz .LBB118_306
; %bb.206:
	v_mul_lo_u32 v2, v20, s10
	v_ashrrev_i32_e32 v3, 31, v2
	v_mov_b32_e32 v9, s9
	v_add_co_u32_e32 v8, vcc, s8, v2
	v_addc_co_u32_e32 v9, vcc, v9, v3, vcc
	v_cmp_gt_i16_e32 vcc, 11, v10
	s_cbranch_vccnz .LBB118_213
; %bb.207:
	v_cmp_lt_i16_e32 vcc, 25, v10
	s_cbranch_vccz .LBB118_214
; %bb.208:
	v_cmp_lt_i16_e32 vcc, 28, v10
	s_cbranch_vccz .LBB118_215
	;; [unrolled: 3-line block ×4, first 2 shown]
; %bb.211:
	v_cmp_eq_u16_e32 vcc, 46, v10
	s_mov_b64 s[42:43], 0
	s_mov_b64 s[38:39], -1
	s_cbranch_vccz .LBB118_218
; %bb.212:
	global_store_dword v[8:9], v14, off
	s_mov_b64 s[40:41], -1
	s_mov_b64 s[38:39], 0
	s_branch .LBB118_218
.LBB118_213:
	s_mov_b64 s[38:39], s[30:31]
	s_branch .LBB118_263
.LBB118_214:
	s_mov_b64 s[38:39], s[30:31]
	s_branch .LBB118_240
.LBB118_215:
	s_mov_b64 s[38:39], s[30:31]
	s_branch .LBB118_226
.LBB118_216:
	s_mov_b64 s[38:39], s[30:31]
	s_branch .LBB118_222
.LBB118_217:
	s_mov_b64 s[38:39], s[30:31]
.LBB118_218:
	s_and_b64 vcc, exec, s[42:43]
	s_cbranch_vccz .LBB118_221
; %bb.219:
	v_cmp_eq_u16_e32 vcc, 44, v10
	s_mov_b64 s[38:39], -1
	s_cbranch_vccz .LBB118_221
; %bb.220:
	v_mov_b32_e32 v2, 0xff
	v_cndmask_b32_e64 v2, v19, v2, s[4:5]
	s_mov_b64 s[40:41], -1
	s_mov_b64 s[38:39], 0
	global_store_byte v[8:9], v2, off
.LBB118_221:
	s_mov_b64 s[42:43], 0
.LBB118_222:
	s_and_b64 vcc, exec, s[42:43]
	s_cbranch_vccz .LBB118_225
; %bb.223:
	v_cmp_eq_u16_e32 vcc, 29, v10
	s_mov_b64 s[38:39], -1
	s_cbranch_vccz .LBB118_225
; %bb.224:
	global_store_dwordx2 v[8:9], v[6:7], off
	s_mov_b64 s[40:41], -1
	s_mov_b64 s[38:39], 0
.LBB118_225:
	s_mov_b64 s[42:43], 0
.LBB118_226:
	s_and_b64 vcc, exec, s[42:43]
	s_cbranch_vccz .LBB118_239
; %bb.227:
	v_cmp_gt_i16_e32 vcc, 27, v10
	s_mov_b64 s[40:41], -1
	s_cbranch_vccnz .LBB118_233
; %bb.228:
	v_cmp_lt_i16_e32 vcc, 27, v10
	s_cbranch_vccz .LBB118_230
; %bb.229:
	s_mov_b64 s[40:41], 0
	global_store_dword v[8:9], v18, off
.LBB118_230:
	s_andn2_b64 vcc, exec, s[40:41]
	s_cbranch_vccnz .LBB118_232
; %bb.231:
	global_store_short v[8:9], v18, off
.LBB118_232:
	s_mov_b64 s[40:41], 0
.LBB118_233:
	s_andn2_b64 vcc, exec, s[40:41]
	s_cbranch_vccnz .LBB118_238
; %bb.234:
	s_andn2_b64 vcc, exec, s[22:23]
	v_mov_b32_e32 v2, 0x80
	s_cbranch_vccnz .LBB118_237
; %bb.235:
	s_or_b64 s[40:41], s[2:3], s[24:25]
	s_andn2_b64 vcc, exec, s[40:41]
	v_mov_b32_e32 v2, 0
	s_cbranch_vccnz .LBB118_237
; %bb.236:
	v_mov_b32_e32 v2, s52
	v_cndmask_b32_e64 v2, v17, v2, s[2:3]
	v_or_b32_e32 v2, s48, v2
.LBB118_237:
	global_store_byte v[8:9], v2, off
.LBB118_238:
	s_mov_b64 s[40:41], -1
.LBB118_239:
	s_mov_b64 s[42:43], 0
.LBB118_240:
	s_and_b64 vcc, exec, s[42:43]
	s_cbranch_vccz .LBB118_262
; %bb.241:
	v_cmp_lt_i16_e32 vcc, 22, v10
	s_mov_b64 s[42:43], -1
	s_cbranch_vccz .LBB118_254
; %bb.242:
	v_cmp_gt_i16_e32 vcc, 24, v10
	s_mov_b64 s[40:41], -1
	s_cbranch_vccnz .LBB118_251
; %bb.243:
	v_cmp_lt_i16_e32 vcc, 24, v10
	s_cbranch_vccz .LBB118_248
; %bb.244:
	s_andn2_b64 vcc, exec, s[18:19]
	v_mov_b32_e32 v2, 0x80
	s_cbranch_vccnz .LBB118_247
; %bb.245:
	s_or_b64 s[40:41], s[0:1], s[20:21]
	s_andn2_b64 vcc, exec, s[40:41]
	v_mov_b32_e32 v2, 0
	s_cbranch_vccnz .LBB118_247
; %bb.246:
	v_cndmask_b32_e64 v2, v16, v15, s[0:1]
	v_or_b32_e32 v2, s48, v2
.LBB118_247:
	s_mov_b64 s[40:41], 0
	global_store_byte v[8:9], v2, off
.LBB118_248:
	s_and_b64 vcc, exec, s[40:41]
	s_cbranch_vccz .LBB118_250
; %bb.249:
	s_and_b64 s[40:41], s[16:17], exec
	s_cselect_b32 s42, s50, s49
	s_and_b64 s[40:41], s[14:15], exec
	s_cselect_b32 s40, s51, s42
	s_or_b32 s40, s40, s48
	v_mov_b32_e32 v2, s40
	global_store_byte v[8:9], v2, off
.LBB118_250:
	s_mov_b64 s[40:41], 0
.LBB118_251:
	s_andn2_b64 vcc, exec, s[40:41]
	s_cbranch_vccnz .LBB118_253
; %bb.252:
	v_mov_b32_e32 v2, s11
	global_store_byte v[8:9], v2, off
.LBB118_253:
	s_mov_b64 s[42:43], 0
	s_mov_b64 s[40:41], -1
.LBB118_254:
	s_andn2_b64 vcc, exec, s[42:43]
	s_cbranch_vccnz .LBB118_262
; %bb.255:
	v_cmp_lt_i16_e32 vcc, 14, v10
	s_mov_b64 s[42:43], -1
	s_cbranch_vccz .LBB118_259
; %bb.256:
	v_cmp_eq_u16_e32 vcc, 15, v10
	s_mov_b64 s[38:39], -1
	s_cbranch_vccz .LBB118_258
; %bb.257:
	global_store_short v[8:9], v14, off
	s_mov_b64 s[40:41], -1
	s_mov_b64 s[38:39], 0
.LBB118_258:
	s_mov_b64 s[42:43], 0
.LBB118_259:
	s_and_b64 vcc, exec, s[42:43]
	s_cbranch_vccz .LBB118_262
; %bb.260:
	v_cmp_eq_u16_e32 vcc, 11, v10
	s_mov_b64 s[38:39], -1
	s_cbranch_vccz .LBB118_262
; %bb.261:
	s_mov_b64 s[40:41], -1
	s_mov_b64 s[38:39], 0
	global_store_byte v[8:9], v13, off
.LBB118_262:
	s_mov_b64 s[42:43], 0
.LBB118_263:
	s_and_b64 vcc, exec, s[42:43]
	s_cbranch_vccz .LBB118_302
; %bb.264:
	v_cmp_gt_i16_e32 vcc, 5, v10
	s_mov_b64 s[40:41], -1
	s_cbranch_vccnz .LBB118_285
; %bb.265:
	v_cmp_gt_i16_e32 vcc, 8, v10
	s_cbranch_vccnz .LBB118_275
; %bb.266:
	v_cmp_gt_i16_e32 vcc, 9, v10
	s_cbranch_vccnz .LBB118_272
; %bb.267:
	v_cmp_lt_i16_e32 vcc, 9, v10
	s_cbranch_vccz .LBB118_269
; %bb.268:
	v_mov_b32_e32 v2, 0
	v_mov_b32_e32 v3, v2
	s_mov_b64 s[40:41], 0
	global_store_dwordx4 v[8:9], v[0:3], off
.LBB118_269:
	s_andn2_b64 vcc, exec, s[40:41]
	s_cbranch_vccnz .LBB118_271
; %bb.270:
	v_mov_b32_e32 v2, s33
	v_mov_b32_e32 v3, 0
	global_store_dwordx2 v[8:9], v[2:3], off
.LBB118_271:
	s_mov_b64 s[40:41], 0
.LBB118_272:
	s_andn2_b64 vcc, exec, s[40:41]
	s_cbranch_vccnz .LBB118_274
; %bb.273:
	global_store_dword v[8:9], v12, off
.LBB118_274:
	s_mov_b64 s[40:41], 0
.LBB118_275:
	s_andn2_b64 vcc, exec, s[40:41]
	s_cbranch_vccnz .LBB118_284
; %bb.276:
	v_cmp_gt_i16_e32 vcc, 6, v10
	s_mov_b64 s[40:41], -1
	s_cbranch_vccnz .LBB118_282
; %bb.277:
	v_cmp_lt_i16_e32 vcc, 6, v10
	s_cbranch_vccz .LBB118_279
; %bb.278:
	s_mov_b64 s[40:41], 0
	global_store_dwordx2 v[8:9], v[0:1], off
.LBB118_279:
	s_andn2_b64 vcc, exec, s[40:41]
	s_cbranch_vccnz .LBB118_281
; %bb.280:
	v_mov_b32_e32 v2, s33
	global_store_dword v[8:9], v2, off
.LBB118_281:
	s_mov_b64 s[40:41], 0
.LBB118_282:
	s_andn2_b64 vcc, exec, s[40:41]
	s_cbranch_vccnz .LBB118_284
; %bb.283:
	global_store_short v[8:9], v12, off
.LBB118_284:
	s_mov_b64 s[40:41], 0
.LBB118_285:
	s_andn2_b64 vcc, exec, s[40:41]
	s_cbranch_vccnz .LBB118_301
; %bb.286:
	v_cmp_gt_i16_e32 vcc, 2, v10
	s_mov_b64 s[40:41], -1
	s_cbranch_vccnz .LBB118_296
; %bb.287:
	v_cmp_gt_i16_e32 vcc, 3, v10
	s_cbranch_vccnz .LBB118_293
; %bb.288:
	v_cmp_lt_i16_e32 vcc, 3, v10
	s_cbranch_vccz .LBB118_290
; %bb.289:
	s_mov_b64 s[40:41], 0
	global_store_dwordx2 v[8:9], v[4:5], off
.LBB118_290:
	s_andn2_b64 vcc, exec, s[40:41]
	s_cbranch_vccnz .LBB118_292
; %bb.291:
	global_store_dword v[8:9], v11, off
.LBB118_292:
	s_mov_b64 s[40:41], 0
.LBB118_293:
	s_andn2_b64 vcc, exec, s[40:41]
	s_cbranch_vccnz .LBB118_295
; %bb.294:
	global_store_short v[8:9], v11, off
.LBB118_295:
	s_mov_b64 s[40:41], 0
.LBB118_296:
	s_andn2_b64 vcc, exec, s[40:41]
	s_cbranch_vccnz .LBB118_301
; %bb.297:
	v_cmp_lt_i16_e32 vcc, 0, v10
	s_mov_b64 s[40:41], -1
	s_cbranch_vccz .LBB118_299
; %bb.298:
	s_mov_b64 s[40:41], 0
	global_store_byte v[8:9], v11, off
.LBB118_299:
	s_andn2_b64 vcc, exec, s[40:41]
	s_cbranch_vccnz .LBB118_301
; %bb.300:
	global_store_byte v[8:9], v4, off
.LBB118_301:
	s_mov_b64 s[40:41], -1
.LBB118_302:
	s_andn2_b64 vcc, exec, s[40:41]
	s_cbranch_vccnz .LBB118_304
; %bb.303:
	v_add_u32_e32 v20, 0x80, v20
	s_mov_b64 s[40:41], -1
	s_branch .LBB118_305
.LBB118_304:
	s_mov_b64 s[40:41], 0
                                        ; implicit-def: $vgpr20
.LBB118_305:
	s_andn2_b64 s[42:43], s[30:31], exec
	s_and_b64 s[38:39], s[38:39], exec
	s_or_b64 s[38:39], s[42:43], s[38:39]
	s_orn2_b64 s[42:43], s[40:41], exec
.LBB118_306:
	s_or_b64 exec, exec, s[36:37]
	s_mov_b64 s[40:41], 0
	s_mov_b64 s[46:47], 0
                                        ; implicit-def: $vgpr8_vgpr9
	s_and_saveexec_b64 s[36:37], s[42:43]
	s_cbranch_execz .LBB118_362
; %bb.307:
	v_cmp_gt_i32_e32 vcc, s44, v20
	s_mov_b64 s[44:45], 0
	s_mov_b64 s[42:43], s[38:39]
                                        ; implicit-def: $vgpr8_vgpr9
	s_and_saveexec_b64 s[40:41], vcc
	s_cbranch_execz .LBB118_361
; %bb.308:
	v_mul_lo_u32 v2, v20, s10
	v_ashrrev_i32_e32 v3, 31, v2
	v_mov_b32_e32 v9, s9
	v_add_co_u32_e32 v8, vcc, s8, v2
	v_addc_co_u32_e32 v9, vcc, v9, v3, vcc
	v_cmp_gt_i16_e32 vcc, 11, v10
	s_cbranch_vccnz .LBB118_358
; %bb.309:
	v_cmp_lt_i16_e32 vcc, 25, v10
	s_mov_b64 s[44:45], -1
	s_mov_b64 s[42:43], s[38:39]
	s_cbranch_vccz .LBB118_337
; %bb.310:
	v_cmp_lt_i16_e32 vcc, 28, v10
	s_mov_b64 s[42:43], s[38:39]
	s_cbranch_vccz .LBB118_324
; %bb.311:
	v_cmp_lt_i16_e32 vcc, 43, v10
	;; [unrolled: 4-line block ×3, first 2 shown]
	s_mov_b64 s[42:43], s[38:39]
	s_cbranch_vccz .LBB118_316
; %bb.313:
	v_cmp_eq_u16_e32 vcc, 46, v10
	s_mov_b64 s[42:43], -1
	s_cbranch_vccz .LBB118_315
; %bb.314:
	global_store_dword v[8:9], v14, off
	s_mov_b64 s[42:43], 0
.LBB118_315:
	s_mov_b64 s[44:45], 0
.LBB118_316:
	s_and_b64 vcc, exec, s[44:45]
	s_cbranch_vccz .LBB118_319
; %bb.317:
	v_cmp_eq_u16_e32 vcc, 44, v10
	s_mov_b64 s[42:43], -1
	s_cbranch_vccz .LBB118_319
; %bb.318:
	v_mov_b32_e32 v2, 0xff
	v_cndmask_b32_e64 v2, v19, v2, s[4:5]
	global_store_byte v[8:9], v2, off
	s_mov_b64 s[42:43], 0
.LBB118_319:
	s_mov_b64 s[44:45], 0
.LBB118_320:
	s_and_b64 vcc, exec, s[44:45]
	s_cbranch_vccz .LBB118_323
; %bb.321:
	v_cmp_eq_u16_e32 vcc, 29, v10
	s_mov_b64 s[42:43], -1
	s_cbranch_vccz .LBB118_323
; %bb.322:
	global_store_dwordx2 v[8:9], v[6:7], off
	s_mov_b64 s[42:43], 0
.LBB118_323:
	s_mov_b64 s[44:45], 0
.LBB118_324:
	s_and_b64 vcc, exec, s[44:45]
	s_cbranch_vccz .LBB118_336
; %bb.325:
	v_cmp_gt_i16_e32 vcc, 27, v10
	s_mov_b64 s[4:5], -1
	s_cbranch_vccnz .LBB118_331
; %bb.326:
	v_cmp_lt_i16_e32 vcc, 27, v10
	s_cbranch_vccz .LBB118_328
; %bb.327:
	s_mov_b64 s[4:5], 0
	global_store_dword v[8:9], v18, off
.LBB118_328:
	s_andn2_b64 vcc, exec, s[4:5]
	s_cbranch_vccnz .LBB118_330
; %bb.329:
	global_store_short v[8:9], v18, off
.LBB118_330:
	s_mov_b64 s[4:5], 0
.LBB118_331:
	s_andn2_b64 vcc, exec, s[4:5]
	s_cbranch_vccnz .LBB118_336
; %bb.332:
	s_andn2_b64 vcc, exec, s[22:23]
	v_mov_b32_e32 v2, 0x80
	s_cbranch_vccnz .LBB118_335
; %bb.333:
	s_or_b64 s[4:5], s[2:3], s[24:25]
	s_andn2_b64 vcc, exec, s[4:5]
	v_mov_b32_e32 v2, 0
	s_cbranch_vccnz .LBB118_335
; %bb.334:
	v_mov_b32_e32 v2, s52
	v_cndmask_b32_e64 v2, v17, v2, s[2:3]
	v_or_b32_e32 v2, s48, v2
.LBB118_335:
	global_store_byte v[8:9], v2, off
.LBB118_336:
	s_mov_b64 s[44:45], 0
.LBB118_337:
	s_mov_b64 s[2:3], 0
	s_and_b64 vcc, exec, s[44:45]
	s_cbranch_vccz .LBB118_359
; %bb.338:
	v_cmp_lt_i16_e32 vcc, 22, v10
	s_mov_b64 s[4:5], -1
	s_cbranch_vccz .LBB118_351
; %bb.339:
	v_cmp_gt_i16_e32 vcc, 24, v10
	s_cbranch_vccnz .LBB118_348
; %bb.340:
	v_cmp_lt_i16_e32 vcc, 24, v10
	s_cbranch_vccz .LBB118_345
; %bb.341:
	s_andn2_b64 vcc, exec, s[18:19]
	v_mov_b32_e32 v2, 0x80
	s_cbranch_vccnz .LBB118_344
; %bb.342:
	s_or_b64 s[4:5], s[0:1], s[20:21]
	s_andn2_b64 vcc, exec, s[4:5]
	v_mov_b32_e32 v2, 0
	s_cbranch_vccnz .LBB118_344
; %bb.343:
	v_cndmask_b32_e64 v2, v16, v15, s[0:1]
	v_or_b32_e32 v2, s48, v2
.LBB118_344:
	s_mov_b64 s[4:5], 0
	global_store_byte v[8:9], v2, off
.LBB118_345:
	s_and_b64 vcc, exec, s[4:5]
	s_cbranch_vccz .LBB118_347
; %bb.346:
	s_and_b64 s[0:1], s[16:17], exec
	s_cselect_b32 s4, s50, s49
	s_and_b64 s[0:1], s[14:15], exec
	s_cselect_b32 s0, s51, s4
	s_or_b32 s0, s0, s48
	v_mov_b32_e32 v2, s0
	global_store_byte v[8:9], v2, off
.LBB118_347:
	s_mov_b64 s[4:5], 0
.LBB118_348:
	s_andn2_b64 vcc, exec, s[4:5]
	s_cbranch_vccnz .LBB118_350
; %bb.349:
	v_mov_b32_e32 v2, s11
	global_store_byte v[8:9], v2, off
.LBB118_350:
	s_mov_b64 s[4:5], 0
.LBB118_351:
	s_andn2_b64 vcc, exec, s[4:5]
	s_mov_b64 s[0:1], 0
	s_cbranch_vccnz .LBB118_360
; %bb.352:
	v_cmp_lt_i16_e32 vcc, 14, v10
	s_mov_b64 s[4:5], -1
	s_cbranch_vccz .LBB118_356
; %bb.353:
	v_cmp_eq_u16_e32 vcc, 15, v10
	s_mov_b64 s[42:43], -1
	s_cbranch_vccz .LBB118_355
; %bb.354:
	global_store_short v[8:9], v14, off
	s_mov_b64 s[42:43], 0
.LBB118_355:
	s_mov_b64 s[4:5], 0
.LBB118_356:
	s_and_b64 vcc, exec, s[4:5]
	s_cbranch_vccz .LBB118_360
; %bb.357:
	v_cmp_ne_u16_e32 vcc, 11, v10
	s_andn2_b64 s[4:5], s[42:43], exec
	s_and_b64 s[14:15], vcc, exec
	s_mov_b64 s[0:1], -1
	s_or_b64 s[42:43], s[4:5], s[14:15]
	s_branch .LBB118_360
.LBB118_358:
	s_mov_b64 s[0:1], 0
	s_mov_b64 s[2:3], -1
	s_mov_b64 s[42:43], s[38:39]
	s_branch .LBB118_360
.LBB118_359:
	s_mov_b64 s[0:1], 0
.LBB118_360:
	s_and_b64 s[46:47], s[2:3], exec
	s_and_b64 s[44:45], s[0:1], exec
	s_andn2_b64 s[0:1], s[38:39], exec
	s_and_b64 s[2:3], s[42:43], exec
	s_or_b64 s[42:43], s[0:1], s[2:3]
.LBB118_361:
	s_or_b64 exec, exec, s[40:41]
	s_andn2_b64 s[0:1], s[38:39], exec
	s_and_b64 s[2:3], s[42:43], exec
	s_and_b64 s[46:47], s[46:47], exec
	;; [unrolled: 1-line block ×3, first 2 shown]
	s_or_b64 s[38:39], s[0:1], s[2:3]
.LBB118_362:
	s_or_b64 exec, exec, s[36:37]
	s_andn2_b64 s[0:1], s[30:31], exec
	s_and_b64 s[2:3], s[38:39], exec
	s_and_b64 s[36:37], s[46:47], exec
	;; [unrolled: 1-line block ×3, first 2 shown]
	s_or_b64 s[30:31], s[0:1], s[2:3]
.LBB118_363:
	s_or_b64 exec, exec, s[34:35]
	s_andn2_b64 s[0:1], s[26:27], exec
	s_and_b64 s[2:3], s[30:31], exec
	s_and_b64 s[36:37], s[36:37], exec
	;; [unrolled: 1-line block ×3, first 2 shown]
	s_or_b64 s[26:27], s[0:1], s[2:3]
	s_or_b64 exec, exec, s[28:29]
	s_mov_b64 s[0:1], 0
	s_and_saveexec_b64 s[2:3], s[26:27]
	s_cbranch_execz .LBB118_110
.LBB118_364:
	s_mov_b64 s[0:1], exec
	s_andn2_b64 s[34:35], s[34:35], exec
	s_trap 2
	s_or_b64 exec, exec, s[2:3]
	s_and_saveexec_b64 s[2:3], s[34:35]
	s_xor_b64 s[2:3], exec, s[2:3]
	s_cbranch_execnz .LBB118_111
.LBB118_365:
	s_or_b64 exec, exec, s[2:3]
	s_and_saveexec_b64 s[2:3], s[36:37]
	s_xor_b64 s[2:3], exec, s[2:3]
	s_cbranch_execz .LBB118_403
.LBB118_366:
	v_cmp_gt_i16_e32 vcc, 5, v10
	s_mov_b64 s[4:5], -1
	s_cbranch_vccnz .LBB118_387
; %bb.367:
	v_cmp_gt_i16_e32 vcc, 8, v10
	s_cbranch_vccnz .LBB118_377
; %bb.368:
	v_cmp_gt_i16_e32 vcc, 9, v10
	s_cbranch_vccnz .LBB118_374
; %bb.369:
	v_cmp_lt_i16_e32 vcc, 9, v10
	s_cbranch_vccz .LBB118_371
; %bb.370:
	v_mov_b32_e32 v2, 0
	v_mov_b32_e32 v3, v2
	s_mov_b64 s[4:5], 0
	global_store_dwordx4 v[8:9], v[0:3], off
.LBB118_371:
	s_andn2_b64 vcc, exec, s[4:5]
	s_cbranch_vccnz .LBB118_373
; %bb.372:
	v_mov_b32_e32 v2, s33
	v_mov_b32_e32 v3, 0
	global_store_dwordx2 v[8:9], v[2:3], off
.LBB118_373:
	s_mov_b64 s[4:5], 0
.LBB118_374:
	s_andn2_b64 vcc, exec, s[4:5]
	s_cbranch_vccnz .LBB118_376
; %bb.375:
	global_store_dword v[8:9], v12, off
.LBB118_376:
	s_mov_b64 s[4:5], 0
.LBB118_377:
	s_andn2_b64 vcc, exec, s[4:5]
	s_cbranch_vccnz .LBB118_386
; %bb.378:
	v_cmp_gt_i16_e32 vcc, 6, v10
	s_mov_b64 s[4:5], -1
	s_cbranch_vccnz .LBB118_384
; %bb.379:
	v_cmp_lt_i16_e32 vcc, 6, v10
	s_cbranch_vccz .LBB118_381
; %bb.380:
	s_mov_b64 s[4:5], 0
	global_store_dwordx2 v[8:9], v[0:1], off
.LBB118_381:
	s_andn2_b64 vcc, exec, s[4:5]
	s_cbranch_vccnz .LBB118_383
; %bb.382:
	v_mov_b32_e32 v0, s33
	global_store_dword v[8:9], v0, off
.LBB118_383:
	s_mov_b64 s[4:5], 0
.LBB118_384:
	s_andn2_b64 vcc, exec, s[4:5]
	s_cbranch_vccnz .LBB118_386
; %bb.385:
	global_store_short v[8:9], v12, off
.LBB118_386:
	s_mov_b64 s[4:5], 0
.LBB118_387:
	s_andn2_b64 vcc, exec, s[4:5]
	s_cbranch_vccnz .LBB118_403
; %bb.388:
	v_cmp_gt_i16_e32 vcc, 2, v10
	s_mov_b64 s[4:5], -1
	s_cbranch_vccnz .LBB118_398
; %bb.389:
	v_cmp_gt_i16_e32 vcc, 3, v10
	s_cbranch_vccnz .LBB118_395
; %bb.390:
	v_cmp_lt_i16_e32 vcc, 3, v10
	s_cbranch_vccz .LBB118_392
; %bb.391:
	s_mov_b64 s[4:5], 0
	global_store_dwordx2 v[8:9], v[4:5], off
.LBB118_392:
	s_andn2_b64 vcc, exec, s[4:5]
	s_cbranch_vccnz .LBB118_394
; %bb.393:
	global_store_dword v[8:9], v11, off
.LBB118_394:
	s_mov_b64 s[4:5], 0
.LBB118_395:
	s_andn2_b64 vcc, exec, s[4:5]
	s_cbranch_vccnz .LBB118_397
; %bb.396:
	global_store_short v[8:9], v11, off
.LBB118_397:
	s_mov_b64 s[4:5], 0
.LBB118_398:
	s_andn2_b64 vcc, exec, s[4:5]
	s_cbranch_vccnz .LBB118_403
; %bb.399:
	v_cmp_lt_i16_e32 vcc, 0, v10
	s_mov_b64 s[4:5], -1
	s_cbranch_vccz .LBB118_401
; %bb.400:
	s_mov_b64 s[4:5], 0
	global_store_byte v[8:9], v11, off
.LBB118_401:
	s_andn2_b64 vcc, exec, s[4:5]
	s_cbranch_vccnz .LBB118_403
; %bb.402:
	global_store_byte v[8:9], v4, off
.LBB118_403:
	s_or_b64 exec, exec, s[2:3]
	s_and_b64 s[2:3], s[0:1], exec
                                        ; implicit-def: $vgpr10
                                        ; implicit-def: $vgpr20
.LBB118_404:
	s_or_saveexec_b64 s[4:5], s[6:7]
	s_mov_b64 s[0:1], 0
                                        ; implicit-def: $vgpr0_vgpr1
	s_xor_b64 exec, exec, s[4:5]
	s_cbranch_execz .LBB118_433
; %bb.405:
	v_mul_lo_u32 v2, s10, v20
	v_ashrrev_i32_e32 v1, 31, v2
	v_mov_b32_e32 v3, s9
	v_add_co_u32_e32 v0, vcc, s8, v2
	v_addc_co_u32_e32 v1, vcc, v3, v1, vcc
	v_cmp_gt_i16_e64 s[0:1], 11, v10
	s_and_b64 vcc, exec, s[0:1]
	s_cbranch_vccnz .LBB118_436
; %bb.406:
	v_cmp_lt_i16_e32 vcc, 25, v10
	s_mov_b64 s[16:17], -1
	s_mov_b64 s[14:15], 0
	s_mov_b64 s[6:7], 0
	s_cbranch_vccz .LBB118_446
; %bb.407:
	v_cmp_lt_i16_e32 vcc, 28, v10
	s_cbranch_vccz .LBB118_422
; %bb.408:
	v_cmp_lt_i16_e32 vcc, 43, v10
	;; [unrolled: 3-line block ×3, first 2 shown]
	s_cbranch_vccz .LBB118_412
; %bb.410:
	v_cmp_eq_u16_e32 vcc, 46, v10
	s_mov_b64 s[6:7], -1
	s_mov_b64 s[16:17], 0
	s_cbranch_vccz .LBB118_412
; %bb.411:
	s_lshl_b32 s6, s11, 8
	s_lshl_b32 s7, s11, 25
	s_lshr_b32 s14, s7, 4
	s_and_b32 s6, s6, 0x7f00
	s_or_b32 s14, s14, 0x70000000
	s_or_b32 s6, s6, 0.5
	s_cmp_lt_u32 s7, 0x8000000
	v_mov_b32_e32 v4, 0x7800000
	v_add_f32_e64 v3, s6, -0.5
	v_mul_f32_e32 v4, s14, v4
	s_cselect_b64 vcc, -1, 0
	s_lshl_b32 s6, s11, 24
	v_cndmask_b32_e32 v3, v4, v3, vcc
	s_and_b32 s6, s6, 0x80000000
	v_or_b32_e32 v4, s6, v3
	v_bfe_u32 v3, v3, 16, 1
	v_add_u32_e32 v3, v4, v3
	v_add_u32_e32 v3, 0x7fff, v3
	v_lshrrev_b32_e32 v3, 16, v3
	v_mov_b32_e32 v5, 0x7fc0
	v_cmp_o_f32_e32 vcc, v4, v4
	v_cndmask_b32_e32 v3, v5, v3, vcc
	global_store_dword v[0:1], v3, off
	s_mov_b64 s[6:7], 0
	s_mov_b64 s[14:15], -1
.LBB118_412:
	s_and_b64 vcc, exec, s[16:17]
	s_cbranch_vccz .LBB118_417
; %bb.413:
	v_cmp_eq_u16_e32 vcc, 44, v10
	s_mov_b64 s[6:7], -1
	s_cbranch_vccz .LBB118_417
; %bb.414:
	s_lshl_b32 s6, s11, 8
	s_lshl_b32 s7, s11, 25
	s_lshr_b32 s14, s7, 4
	s_and_b32 s6, s6, 0x7f00
	s_or_b32 s14, s14, 0x70000000
	s_or_b32 s6, s6, 0.5
	s_cmp_lt_u32 s7, 0x8000000
	v_mov_b32_e32 v4, 0x7800000
	v_add_f32_e64 v3, s6, -0.5
	v_mul_f32_e32 v4, s14, v4
	s_cselect_b64 vcc, -1, 0
	v_cndmask_b32_e32 v3, v4, v3, vcc
	v_readfirstlane_b32 s6, v3
	s_bfe_u32 s7, s6, 0x80017
	s_cmpk_eq_i32 s7, 0xff
	v_mov_b32_e32 v4, 0xff
	s_cbranch_scc1 .LBB118_416
; %bb.415:
	s_bitcmp1_b32 s6, 22
	s_cselect_b64 s[14:15], -1, 0
	s_and_b32 s6, s6, 0x3fffff
	s_or_b32 s6, s7, s6
	s_cmp_lg_u32 s6, 0
	s_cselect_b64 s[6:7], -1, 0
	s_and_b64 s[6:7], s[14:15], s[6:7]
	v_lshrrev_b32_e32 v3, 23, v3
	v_cndmask_b32_e64 v4, 0, 1, s[6:7]
	v_add_u32_e32 v4, v3, v4
.LBB118_416:
	s_mov_b64 s[6:7], 0
	s_mov_b64 s[14:15], -1
	global_store_byte v[0:1], v4, off
.LBB118_417:
	s_mov_b64 s[16:17], 0
.LBB118_418:
	s_and_b64 vcc, exec, s[16:17]
	s_cbranch_vccz .LBB118_421
; %bb.419:
	v_cmp_eq_u16_e32 vcc, 29, v10
	s_mov_b64 s[6:7], -1
	s_cbranch_vccz .LBB118_421
; %bb.420:
	s_lshl_b32 s6, s11, 8
	s_lshl_b32 s7, s11, 25
	s_lshr_b32 s14, s7, 4
	s_and_b32 s6, s6, 0x7f00
	s_or_b32 s14, s14, 0x70000000
	s_or_b32 s6, s6, 0.5
	s_cmp_lt_u32 s7, 0x8000000
	v_mov_b32_e32 v4, 0x7800000
	v_add_f32_e64 v3, s6, -0.5
	v_mul_f32_e32 v4, s14, v4
	s_cselect_b64 vcc, -1, 0
	s_lshl_b32 s6, s11, 24
	v_cndmask_b32_e32 v3, v4, v3, vcc
	s_and_b32 s6, s6, 0x80000000
	v_or_b32_e32 v3, s6, v3
	v_trunc_f32_e32 v3, v3
	v_mul_f32_e32 v4, 0x2f800000, v3
	v_floor_f32_e32 v5, v4
	v_fmac_f32_e32 v3, 0xcf800000, v5
	v_cvt_u32_f32_e32 v4, v3
	v_cvt_u32_f32_e32 v5, v5
	s_mov_b64 s[6:7], 0
	s_mov_b64 s[14:15], -1
	global_store_dwordx2 v[0:1], v[4:5], off
.LBB118_421:
	s_mov_b64 s[16:17], 0
.LBB118_422:
	s_and_b64 vcc, exec, s[16:17]
	s_cbranch_vccz .LBB118_445
; %bb.423:
	v_cmp_gt_i16_e32 vcc, 27, v10
	s_mov_b64 s[14:15], -1
	s_cbranch_vccnz .LBB118_429
; %bb.424:
	v_cmp_lt_i16_e32 vcc, 27, v10
	s_cbranch_vccz .LBB118_426
; %bb.425:
	s_lshl_b32 s14, s11, 8
	s_lshl_b32 s15, s11, 25
	s_lshr_b32 s16, s15, 4
	s_and_b32 s14, s14, 0x7f00
	s_or_b32 s16, s16, 0x70000000
	s_or_b32 s14, s14, 0.5
	s_cmp_lt_u32 s15, 0x8000000
	v_mov_b32_e32 v4, 0x7800000
	v_add_f32_e64 v3, s14, -0.5
	v_mul_f32_e32 v4, s16, v4
	s_cselect_b64 vcc, -1, 0
	s_lshl_b32 s14, s11, 24
	v_cndmask_b32_e32 v3, v4, v3, vcc
	s_and_b32 s14, s14, 0x80000000
	v_or_b32_e32 v3, s14, v3
	v_cvt_u32_f32_e32 v3, v3
	s_mov_b64 s[14:15], 0
	global_store_dword v[0:1], v3, off
.LBB118_426:
	s_andn2_b64 vcc, exec, s[14:15]
	s_cbranch_vccnz .LBB118_428
; %bb.427:
	s_lshl_b32 s14, s11, 8
	s_lshl_b32 s15, s11, 25
	s_lshr_b32 s16, s15, 4
	s_and_b32 s14, s14, 0x7f00
	s_or_b32 s16, s16, 0x70000000
	s_or_b32 s14, s14, 0.5
	s_cmp_lt_u32 s15, 0x8000000
	v_mov_b32_e32 v4, 0x7800000
	v_add_f32_e64 v3, s14, -0.5
	v_mul_f32_e32 v4, s16, v4
	s_cselect_b64 vcc, -1, 0
	s_lshl_b32 s14, s11, 24
	v_cndmask_b32_e32 v3, v4, v3, vcc
	s_and_b32 s14, s14, 0x80000000
	v_or_b32_e32 v3, s14, v3
	v_cvt_u32_f32_e32 v3, v3
	global_store_short v[0:1], v3, off
.LBB118_428:
	s_mov_b64 s[14:15], 0
.LBB118_429:
	s_andn2_b64 vcc, exec, s[14:15]
	s_cbranch_vccnz .LBB118_444
; %bb.430:
	s_lshl_b32 s14, s11, 8
	s_lshl_b32 s15, s11, 25
	s_lshr_b32 s16, s15, 4
	s_and_b32 s14, s14, 0x7f00
	s_or_b32 s16, s16, 0x70000000
	s_or_b32 s14, s14, 0.5
	s_cmp_lt_u32 s15, 0x8000000
	v_mov_b32_e32 v4, 0x7800000
	v_add_f32_e64 v3, s14, -0.5
	v_mul_f32_e32 v4, s16, v4
	s_cselect_b64 vcc, -1, 0
	v_cndmask_b32_e32 v3, v4, v3, vcc
	s_lshl_b32 s14, s11, 24
	s_and_b32 s14, s14, 0x80000000
	v_readfirstlane_b32 s15, v3
	s_or_b32 s18, s14, s15
	s_and_b32 s14, s18, 0x7fffffff
	s_cmp_gt_u32 s14, 0x437fffff
	v_mov_b32_e32 v4, 0x80
	s_cbranch_scc1 .LBB118_443
; %bb.431:
	s_cmp_gt_u32 s14, 0x3bffffff
	s_cbranch_scc0 .LBB118_438
; %bb.432:
	v_bfe_u32 v3, v3, 20, 1
	v_add_u32_e32 v3, s18, v3
	v_add_u32_e32 v3, 0x487ffff, v3
	v_lshrrev_b32_e32 v3, 20, v3
	s_mov_b64 s[16:17], 0
	s_mov_b64 s[14:15], -1
	s_branch .LBB118_439
.LBB118_433:
	s_or_b64 exec, exec, s[4:5]
	s_and_saveexec_b64 s[4:5], s[2:3]
	s_cbranch_execz .LBB118_804
.LBB118_434:
	; divergent unreachable
	s_or_b64 exec, exec, s[4:5]
	s_and_saveexec_b64 s[2:3], s[12:13]
	s_xor_b64 s[2:3], exec, s[2:3]
	s_cbranch_execnz .LBB118_805
.LBB118_435:
	s_or_b64 exec, exec, s[2:3]
	s_and_saveexec_b64 s[2:3], s[0:1]
	s_cbranch_execnz .LBB118_806
	s_branch .LBB118_843
.LBB118_436:
	s_mov_b64 s[14:15], 0
	s_mov_b64 s[6:7], s[2:3]
	s_cbranch_execnz .LBB118_486
.LBB118_437:
	s_andn2_b64 vcc, exec, s[14:15]
	s_cbranch_vccz .LBB118_524
	s_branch .LBB118_802
.LBB118_438:
	s_mov_b64 s[16:17], -1
	s_mov_b64 s[14:15], 0
                                        ; implicit-def: $vgpr3
.LBB118_439:
	s_andn2_b64 vcc, exec, s[16:17]
                                        ; implicit-def: $sgpr16
	s_cbranch_vccnz .LBB118_441
; %bb.440:
	v_mov_b32_e32 v3, 0x46000000
	v_add_f32_e64 v3, |s18|, v3
	v_and_b32_e32 v3, 0xff, v3
	s_mov_b32 s16, 0
	v_cmp_ne_u32_e64 s[14:15], 0, v3
.LBB118_441:
	s_andn2_b64 vcc, exec, s[14:15]
	v_mov_b32_e32 v4, s16
	s_cbranch_vccnz .LBB118_443
; %bb.442:
	s_lshr_b32 s14, s18, 24
	s_and_b32 s14, s14, 0x80
	v_or_b32_e32 v4, s14, v3
.LBB118_443:
	global_store_byte v[0:1], v4, off
.LBB118_444:
	s_mov_b64 s[14:15], -1
.LBB118_445:
	s_mov_b64 s[16:17], 0
.LBB118_446:
	s_and_b64 vcc, exec, s[16:17]
	s_cbranch_vccz .LBB118_482
; %bb.447:
	v_cmp_lt_i16_e32 vcc, 22, v10
	s_mov_b64 s[12:13], -1
	s_cbranch_vccz .LBB118_475
; %bb.448:
	v_cmp_gt_i16_e32 vcc, 24, v10
	s_cbranch_vccnz .LBB118_472
; %bb.449:
	v_cmp_lt_i16_e32 vcc, 24, v10
	s_cbranch_vccz .LBB118_459
; %bb.450:
	s_lshl_b32 s12, s11, 8
	s_lshl_b32 s13, s11, 25
	s_lshr_b32 s14, s13, 4
	s_and_b32 s12, s12, 0x7f00
	s_or_b32 s14, s14, 0x70000000
	s_or_b32 s12, s12, 0.5
	s_cmp_lt_u32 s13, 0x8000000
	v_mov_b32_e32 v4, 0x7800000
	v_add_f32_e64 v3, s12, -0.5
	v_mul_f32_e32 v4, s14, v4
	s_cselect_b64 vcc, -1, 0
	v_cndmask_b32_e32 v3, v4, v3, vcc
	s_lshl_b32 s12, s11, 24
	s_and_b32 s12, s12, 0x80000000
	v_readfirstlane_b32 s13, v3
	s_or_b32 s16, s12, s13
	s_and_b32 s12, s16, 0x7fffffff
	s_cmp_gt_u32 s12, 0x477fffff
	v_mov_b32_e32 v4, 0x80
	s_cbranch_scc1 .LBB118_458
; %bb.451:
	s_cmp_gt_u32 s12, 0x37ffffff
	s_cbranch_scc0 .LBB118_453
; %bb.452:
	v_bfe_u32 v3, v3, 21, 1
	v_add_u32_e32 v3, s16, v3
	v_add_u32_e32 v3, 0x88fffff, v3
	v_lshrrev_b32_e32 v3, 21, v3
	s_mov_b64 s[14:15], 0
	s_mov_b64 s[12:13], -1
	s_branch .LBB118_454
.LBB118_453:
	s_mov_b64 s[14:15], -1
	s_mov_b64 s[12:13], 0
                                        ; implicit-def: $vgpr3
.LBB118_454:
	s_andn2_b64 vcc, exec, s[14:15]
                                        ; implicit-def: $sgpr14
	s_cbranch_vccnz .LBB118_456
; %bb.455:
	v_mov_b32_e32 v3, 0x42800000
	v_add_f32_e64 v3, |s16|, v3
	v_and_b32_e32 v3, 0xff, v3
	s_mov_b32 s14, 0
	v_cmp_ne_u32_e64 s[12:13], 0, v3
.LBB118_456:
	s_andn2_b64 vcc, exec, s[12:13]
	v_mov_b32_e32 v4, s14
	s_cbranch_vccnz .LBB118_458
; %bb.457:
	s_lshr_b32 s12, s16, 24
	s_and_b32 s12, s12, 0x80
	v_or_b32_e32 v4, s12, v3
.LBB118_458:
	s_mov_b64 s[12:13], 0
	global_store_byte v[0:1], v4, off
.LBB118_459:
	s_and_b64 vcc, exec, s[12:13]
	s_cbranch_vccz .LBB118_471
; %bb.460:
	s_lshl_b32 s12, s11, 8
	s_lshl_b32 s13, s11, 25
	s_lshr_b32 s14, s13, 4
	s_and_b32 s12, s12, 0x7f00
	s_or_b32 s14, s14, 0x70000000
	s_or_b32 s12, s12, 0.5
	s_cmp_lt_u32 s13, 0x8000000
	v_mov_b32_e32 v4, 0x7800000
	v_add_f32_e64 v3, s12, -0.5
	v_mul_f32_e32 v4, s14, v4
	s_cselect_b64 vcc, -1, 0
	v_cndmask_b32_e32 v3, v4, v3, vcc
	s_lshl_b32 s13, s11, 24
	v_readfirstlane_b32 s12, v3
	s_and_b32 s13, s13, 0x80000000
	s_or_b32 s14, s13, s12
	s_and_b32 s15, s14, 0x7fffffff
	s_cmp_lt_u32 s15, 0x43f00000
	s_cbranch_scc0 .LBB118_463
; %bb.461:
	s_cmp_gt_u32 s15, 0x3c7fffff
	s_cbranch_scc0 .LBB118_464
; %bb.462:
	s_bfe_u32 s12, s12, 0x10014
	s_add_i32 s12, s14, s12
	s_add_i32 s12, s12, 0x407ffff
	s_lshr_b32 s13, s12, 20
	s_and_b32 s12, s12, 0xff00000
	s_cmp_lg_u32 s12, 0x7f00000
	s_cselect_b32 s16, s13, 0x7e
	s_mov_b64 s[12:13], 0
	s_branch .LBB118_465
.LBB118_463:
	s_mov_b64 s[12:13], -1
                                        ; implicit-def: $vgpr3
	s_branch .LBB118_468
.LBB118_464:
	s_mov_b64 s[12:13], -1
                                        ; implicit-def: $sgpr16
.LBB118_465:
	s_andn2_b64 vcc, exec, s[12:13]
	v_mov_b32_e32 v3, s16
	s_cbranch_vccnz .LBB118_467
; %bb.466:
	v_mov_b32_e32 v3, 0x46800000
	v_add_f32_e64 v3, |s14|, v3
.LBB118_467:
	s_mov_b64 s[12:13], 0
.LBB118_468:
	s_andn2_b64 vcc, exec, s[12:13]
	s_cbranch_vccnz .LBB118_470
; %bb.469:
	s_cmp_gt_u32 s15, 0x7f800000
	s_movk_i32 s12, 0x7f
	s_cselect_b32 s12, s12, 0x7e
	v_mov_b32_e32 v3, s12
.LBB118_470:
	s_lshr_b32 s12, s14, 24
	s_and_b32 s12, s12, 0x80
	v_or_b32_e32 v3, s12, v3
	global_store_byte v[0:1], v3, off
.LBB118_471:
	s_mov_b64 s[12:13], 0
.LBB118_472:
	s_andn2_b64 vcc, exec, s[12:13]
	s_cbranch_vccnz .LBB118_474
; %bb.473:
	v_mov_b32_e32 v3, s11
	global_store_byte v[0:1], v3, off
.LBB118_474:
	s_mov_b64 s[12:13], 0
	s_mov_b64 s[14:15], -1
.LBB118_475:
	s_andn2_b64 vcc, exec, s[12:13]
	s_mov_b64 s[12:13], 0
	s_cbranch_vccnz .LBB118_482
; %bb.476:
	v_cmp_lt_i16_e32 vcc, 14, v10
	s_mov_b64 s[16:17], -1
	s_cbranch_vccz .LBB118_480
; %bb.477:
	v_cmp_eq_u16_e32 vcc, 15, v10
	s_mov_b64 s[6:7], -1
	s_cbranch_vccz .LBB118_479
; %bb.478:
	s_lshl_b32 s6, s11, 8
	s_lshl_b32 s7, s11, 25
	s_lshr_b32 s12, s7, 4
	s_and_b32 s6, s6, 0x7f00
	s_or_b32 s12, s12, 0x70000000
	s_or_b32 s6, s6, 0.5
	s_cmp_lt_u32 s7, 0x8000000
	v_mov_b32_e32 v4, 0x7800000
	v_add_f32_e64 v3, s6, -0.5
	v_mul_f32_e32 v4, s12, v4
	s_cselect_b64 vcc, -1, 0
	s_lshl_b32 s6, s11, 24
	v_cndmask_b32_e32 v3, v4, v3, vcc
	s_and_b32 s6, s6, 0x80000000
	v_or_b32_e32 v4, s6, v3
	v_bfe_u32 v3, v3, 16, 1
	v_add_u32_e32 v3, v4, v3
	v_add_u32_e32 v3, 0x7fff, v3
	v_lshrrev_b32_e32 v3, 16, v3
	v_mov_b32_e32 v5, 0x7fc0
	v_cmp_o_f32_e32 vcc, v4, v4
	v_cndmask_b32_e32 v3, v5, v3, vcc
	global_store_short v[0:1], v3, off
	s_mov_b64 s[6:7], 0
	s_mov_b64 s[14:15], -1
.LBB118_479:
	s_mov_b64 s[16:17], 0
.LBB118_480:
	s_mov_b64 s[12:13], 0
	s_and_b64 vcc, exec, s[16:17]
	s_cbranch_vccz .LBB118_482
; %bb.481:
	v_cmp_ne_u16_e64 s[6:7], 11, v10
	s_mov_b64 s[12:13], -1
.LBB118_482:
	s_and_b64 vcc, exec, s[6:7]
	s_mov_b64 s[6:7], s[2:3]
	s_cbranch_vccnz .LBB118_554
; %bb.483:
	s_andn2_b64 vcc, exec, s[12:13]
	s_cbranch_vccnz .LBB118_485
.LBB118_484:
	s_lshl_b32 s12, s11, 8
	s_lshl_b32 s13, s11, 25
	s_lshr_b32 s14, s13, 4
	s_and_b32 s12, s12, 0x7f00
	s_or_b32 s14, s14, 0x70000000
	s_or_b32 s12, s12, 0.5
	s_cmp_lt_u32 s13, 0x8000000
	v_mov_b32_e32 v4, 0x7800000
	v_add_f32_e64 v3, s12, -0.5
	v_mul_f32_e32 v4, s14, v4
	s_cselect_b64 vcc, -1, 0
	v_cndmask_b32_e32 v3, v4, v3, vcc
	v_cmp_neq_f32_e32 vcc, 0, v3
	v_cndmask_b32_e64 v3, 0, 1, vcc
	s_mov_b64 s[14:15], -1
	global_store_byte v[0:1], v3, off
.LBB118_485:
	s_branch .LBB118_437
.LBB118_486:
	v_cmp_gt_i16_e32 vcc, 5, v10
	s_mov_b64 s[12:13], -1
	s_cbranch_vccnz .LBB118_507
; %bb.487:
	v_cmp_gt_i16_e32 vcc, 8, v10
	s_cbranch_vccnz .LBB118_497
; %bb.488:
	v_cmp_gt_i16_e32 vcc, 9, v10
	s_cbranch_vccnz .LBB118_494
; %bb.489:
	v_cmp_lt_i16_e32 vcc, 9, v10
	s_cbranch_vccz .LBB118_491
; %bb.490:
	s_lshl_b32 s12, s11, 8
	s_lshl_b32 s13, s11, 25
	s_lshr_b32 s14, s13, 4
	s_and_b32 s12, s12, 0x7f00
	s_or_b32 s14, s14, 0x70000000
	s_or_b32 s12, s12, 0.5
	s_cmp_lt_u32 s13, 0x8000000
	v_mov_b32_e32 v4, 0x7800000
	v_add_f32_e64 v3, s12, -0.5
	v_mul_f32_e32 v4, s14, v4
	s_cselect_b64 vcc, -1, 0
	s_lshl_b32 s12, s11, 24
	v_cndmask_b32_e32 v3, v4, v3, vcc
	s_and_b32 s12, s12, 0x80000000
	v_or_b32_e32 v3, s12, v3
	v_mov_b32_e32 v6, 0
	v_cvt_f64_f32_e32 v[4:5], v3
	v_mov_b32_e32 v7, v6
	global_store_dwordx4 v[0:1], v[4:7], off
	s_mov_b64 s[12:13], 0
.LBB118_491:
	s_andn2_b64 vcc, exec, s[12:13]
	s_cbranch_vccnz .LBB118_493
; %bb.492:
	s_lshl_b32 s12, s11, 8
	s_lshl_b32 s13, s11, 25
	s_lshr_b32 s14, s13, 4
	s_and_b32 s12, s12, 0x7f00
	s_or_b32 s14, s14, 0x70000000
	s_or_b32 s12, s12, 0.5
	s_cmp_lt_u32 s13, 0x8000000
	v_mov_b32_e32 v4, 0x7800000
	v_add_f32_e64 v3, s12, -0.5
	v_mul_f32_e32 v4, s14, v4
	s_cselect_b64 vcc, -1, 0
	s_lshl_b32 s12, s11, 24
	v_cndmask_b32_e32 v3, v4, v3, vcc
	s_and_b32 s12, s12, 0x80000000
	v_or_b32_e32 v4, s12, v3
	v_mov_b32_e32 v5, 0
	global_store_dwordx2 v[0:1], v[4:5], off
.LBB118_493:
	s_mov_b64 s[12:13], 0
.LBB118_494:
	s_andn2_b64 vcc, exec, s[12:13]
	s_cbranch_vccnz .LBB118_496
; %bb.495:
	s_lshl_b32 s12, s11, 8
	s_lshl_b32 s13, s11, 25
	s_lshr_b32 s14, s13, 4
	s_and_b32 s12, s12, 0x7f00
	s_or_b32 s14, s14, 0x70000000
	s_or_b32 s12, s12, 0.5
	s_cmp_lt_u32 s13, 0x8000000
	v_mov_b32_e32 v4, 0x7800000
	v_add_f32_e64 v3, s12, -0.5
	v_mul_f32_e32 v4, s14, v4
	s_cselect_b64 vcc, -1, 0
	s_lshl_b32 s12, s11, 24
	v_cndmask_b32_e32 v3, v4, v3, vcc
	s_and_b32 s12, s12, 0x80000000
	v_or_b32_e32 v3, s12, v3
	v_cvt_f16_f32_e32 v3, v3
	global_store_dword v[0:1], v3, off
.LBB118_496:
	s_mov_b64 s[12:13], 0
.LBB118_497:
	s_andn2_b64 vcc, exec, s[12:13]
	s_cbranch_vccnz .LBB118_506
; %bb.498:
	v_cmp_gt_i16_e32 vcc, 6, v10
	s_mov_b64 s[12:13], -1
	s_cbranch_vccnz .LBB118_504
; %bb.499:
	v_cmp_lt_i16_e32 vcc, 6, v10
	s_cbranch_vccz .LBB118_501
; %bb.500:
	s_lshl_b32 s12, s11, 8
	s_lshl_b32 s13, s11, 25
	s_lshr_b32 s14, s13, 4
	s_and_b32 s12, s12, 0x7f00
	s_or_b32 s14, s14, 0x70000000
	s_or_b32 s12, s12, 0.5
	s_cmp_lt_u32 s13, 0x8000000
	v_mov_b32_e32 v4, 0x7800000
	v_add_f32_e64 v3, s12, -0.5
	v_mul_f32_e32 v4, s14, v4
	s_cselect_b64 vcc, -1, 0
	s_lshl_b32 s12, s11, 24
	v_cndmask_b32_e32 v3, v4, v3, vcc
	s_and_b32 s12, s12, 0x80000000
	v_or_b32_e32 v3, s12, v3
	v_cvt_f64_f32_e32 v[4:5], v3
	global_store_dwordx2 v[0:1], v[4:5], off
	s_mov_b64 s[12:13], 0
.LBB118_501:
	s_andn2_b64 vcc, exec, s[12:13]
	s_cbranch_vccnz .LBB118_503
; %bb.502:
	s_lshl_b32 s12, s11, 8
	s_lshl_b32 s13, s11, 25
	s_lshr_b32 s14, s13, 4
	s_and_b32 s12, s12, 0x7f00
	s_or_b32 s14, s14, 0x70000000
	s_or_b32 s12, s12, 0.5
	s_cmp_lt_u32 s13, 0x8000000
	v_mov_b32_e32 v4, 0x7800000
	v_add_f32_e64 v3, s12, -0.5
	v_mul_f32_e32 v4, s14, v4
	s_cselect_b64 vcc, -1, 0
	s_lshl_b32 s12, s11, 24
	v_cndmask_b32_e32 v3, v4, v3, vcc
	s_and_b32 s12, s12, 0x80000000
	v_or_b32_e32 v3, s12, v3
	global_store_dword v[0:1], v3, off
.LBB118_503:
	s_mov_b64 s[12:13], 0
.LBB118_504:
	s_andn2_b64 vcc, exec, s[12:13]
	s_cbranch_vccnz .LBB118_506
; %bb.505:
	s_lshl_b32 s12, s11, 8
	s_lshl_b32 s13, s11, 25
	s_lshr_b32 s14, s13, 4
	s_and_b32 s12, s12, 0x7f00
	s_or_b32 s14, s14, 0x70000000
	s_or_b32 s12, s12, 0.5
	s_cmp_lt_u32 s13, 0x8000000
	v_mov_b32_e32 v4, 0x7800000
	v_add_f32_e64 v3, s12, -0.5
	v_mul_f32_e32 v4, s14, v4
	s_cselect_b64 vcc, -1, 0
	s_lshl_b32 s12, s11, 24
	v_cndmask_b32_e32 v3, v4, v3, vcc
	s_and_b32 s12, s12, 0x80000000
	v_or_b32_e32 v3, s12, v3
	v_cvt_f16_f32_e32 v3, v3
	global_store_short v[0:1], v3, off
.LBB118_506:
	s_mov_b64 s[12:13], 0
.LBB118_507:
	s_andn2_b64 vcc, exec, s[12:13]
	s_cbranch_vccnz .LBB118_523
; %bb.508:
	v_cmp_gt_i16_e32 vcc, 2, v10
	s_mov_b64 s[12:13], -1
	s_cbranch_vccnz .LBB118_518
; %bb.509:
	v_cmp_gt_i16_e32 vcc, 3, v10
	s_cbranch_vccnz .LBB118_515
; %bb.510:
	v_cmp_lt_i16_e32 vcc, 3, v10
	s_cbranch_vccz .LBB118_512
; %bb.511:
	s_lshl_b32 s12, s11, 8
	s_lshl_b32 s13, s11, 25
	s_lshr_b32 s14, s13, 4
	s_and_b32 s12, s12, 0x7f00
	s_or_b32 s14, s14, 0x70000000
	s_or_b32 s12, s12, 0.5
	s_cmp_lt_u32 s13, 0x8000000
	v_mov_b32_e32 v4, 0x7800000
	v_add_f32_e64 v3, s12, -0.5
	v_mul_f32_e32 v4, s14, v4
	s_cselect_b64 vcc, -1, 0
	s_lshl_b32 s12, s11, 24
	v_cndmask_b32_e32 v3, v4, v3, vcc
	s_and_b32 s12, s12, 0x80000000
	v_or_b32_e32 v3, s12, v3
	v_trunc_f32_e32 v3, v3
	s_mov_b32 s12, 0x2f800000
	v_mul_f32_e64 v4, |v3|, s12
	v_floor_f32_e32 v4, v4
	s_mov_b32 s12, 0xcf800000
	v_fma_f32 v5, v4, s12, |v3|
	v_cvt_u32_f32_e32 v5, v5
	v_cvt_u32_f32_e32 v4, v4
	v_ashrrev_i32_e32 v3, 31, v3
	s_mov_b64 s[12:13], 0
	v_xor_b32_e32 v5, v5, v3
	v_xor_b32_e32 v6, v4, v3
	v_sub_co_u32_e32 v4, vcc, v5, v3
	v_subb_co_u32_e32 v5, vcc, v6, v3, vcc
	global_store_dwordx2 v[0:1], v[4:5], off
.LBB118_512:
	s_andn2_b64 vcc, exec, s[12:13]
	s_cbranch_vccnz .LBB118_514
; %bb.513:
	s_lshl_b32 s12, s11, 8
	s_lshl_b32 s13, s11, 25
	s_lshr_b32 s14, s13, 4
	s_and_b32 s12, s12, 0x7f00
	s_or_b32 s14, s14, 0x70000000
	s_or_b32 s12, s12, 0.5
	s_cmp_lt_u32 s13, 0x8000000
	v_mov_b32_e32 v4, 0x7800000
	v_add_f32_e64 v3, s12, -0.5
	v_mul_f32_e32 v4, s14, v4
	s_cselect_b64 vcc, -1, 0
	s_lshl_b32 s12, s11, 24
	v_cndmask_b32_e32 v3, v4, v3, vcc
	s_and_b32 s12, s12, 0x80000000
	v_or_b32_e32 v3, s12, v3
	v_cvt_i32_f32_e32 v3, v3
	global_store_dword v[0:1], v3, off
.LBB118_514:
	s_mov_b64 s[12:13], 0
.LBB118_515:
	s_andn2_b64 vcc, exec, s[12:13]
	s_cbranch_vccnz .LBB118_517
; %bb.516:
	s_lshl_b32 s12, s11, 8
	s_lshl_b32 s13, s11, 25
	s_lshr_b32 s14, s13, 4
	s_and_b32 s12, s12, 0x7f00
	s_or_b32 s14, s14, 0x70000000
	s_or_b32 s12, s12, 0.5
	s_cmp_lt_u32 s13, 0x8000000
	v_mov_b32_e32 v4, 0x7800000
	v_add_f32_e64 v3, s12, -0.5
	v_mul_f32_e32 v4, s14, v4
	s_cselect_b64 vcc, -1, 0
	s_lshl_b32 s12, s11, 24
	v_cndmask_b32_e32 v3, v4, v3, vcc
	s_and_b32 s12, s12, 0x80000000
	v_or_b32_e32 v3, s12, v3
	v_cvt_i32_f32_e32 v3, v3
	global_store_short v[0:1], v3, off
.LBB118_517:
	s_mov_b64 s[12:13], 0
.LBB118_518:
	s_andn2_b64 vcc, exec, s[12:13]
	s_cbranch_vccnz .LBB118_523
; %bb.519:
	v_cmp_lt_i16_e32 vcc, 0, v10
	s_mov_b64 s[12:13], -1
	s_cbranch_vccz .LBB118_521
; %bb.520:
	s_lshl_b32 s12, s11, 8
	s_lshl_b32 s13, s11, 25
	s_lshr_b32 s14, s13, 4
	s_and_b32 s12, s12, 0x7f00
	s_or_b32 s14, s14, 0x70000000
	s_or_b32 s12, s12, 0.5
	s_cmp_lt_u32 s13, 0x8000000
	v_mov_b32_e32 v4, 0x7800000
	v_add_f32_e64 v3, s12, -0.5
	v_mul_f32_e32 v4, s14, v4
	s_cselect_b64 vcc, -1, 0
	s_lshl_b32 s12, s11, 24
	v_cndmask_b32_e32 v3, v4, v3, vcc
	s_and_b32 s12, s12, 0x80000000
	v_or_b32_e32 v3, s12, v3
	v_cvt_i32_f32_e32 v3, v3
	s_mov_b64 s[12:13], 0
	global_store_byte v[0:1], v3, off
.LBB118_521:
	s_andn2_b64 vcc, exec, s[12:13]
	s_cbranch_vccnz .LBB118_523
; %bb.522:
	s_lshl_b32 s12, s11, 8
	s_lshl_b32 s13, s11, 25
	s_lshr_b32 s14, s13, 4
	s_and_b32 s12, s12, 0x7f00
	s_or_b32 s14, s14, 0x70000000
	s_or_b32 s12, s12, 0.5
	s_cmp_lt_u32 s13, 0x8000000
	v_mov_b32_e32 v4, 0x7800000
	v_add_f32_e64 v3, s12, -0.5
	v_mul_f32_e32 v4, s14, v4
	s_cselect_b64 vcc, -1, 0
	s_lshl_b32 s12, s11, 24
	v_cndmask_b32_e32 v3, v4, v3, vcc
	s_and_b32 s12, s12, 0x80000000
	v_or_b32_e32 v3, s12, v3
	v_trunc_f32_e32 v3, v3
	s_mov_b32 s12, 0x2f800000
	v_mul_f32_e64 v4, |v3|, s12
	v_floor_f32_e32 v4, v4
	s_mov_b32 s12, 0xcf800000
	v_fma_f32 v4, v4, s12, |v3|
	v_cvt_u32_f32_e32 v4, v4
	v_ashrrev_i32_e32 v3, 31, v3
	v_xor_b32_e32 v4, v4, v3
	v_sub_u32_e32 v3, v4, v3
	global_store_byte v[0:1], v3, off
.LBB118_523:
.LBB118_524:
	s_lshl_b32 s10, s10, 7
	v_add_u32_e32 v2, s10, v2
	v_ashrrev_i32_e32 v1, 31, v2
	v_mov_b32_e32 v3, s9
	v_add_co_u32_e32 v0, vcc, s8, v2
	v_addc_co_u32_e32 v1, vcc, v3, v1, vcc
	s_and_b64 vcc, exec, s[0:1]
	s_cbranch_vccnz .LBB118_552
; %bb.525:
	v_cmp_lt_i16_e32 vcc, 25, v10
	s_mov_b64 s[18:19], -1
	s_mov_b64 s[14:15], 0
	s_mov_b64 s[16:17], 0
	;; [unrolled: 1-line block ×3, first 2 shown]
	s_cbranch_vccz .LBB118_563
; %bb.526:
	v_cmp_lt_i16_e32 vcc, 28, v10
	s_cbranch_vccz .LBB118_541
; %bb.527:
	v_cmp_lt_i16_e32 vcc, 43, v10
	;; [unrolled: 3-line block ×3, first 2 shown]
	s_cbranch_vccz .LBB118_531
; %bb.529:
	v_cmp_eq_u16_e32 vcc, 46, v10
	s_mov_b64 s[12:13], -1
	s_mov_b64 s[18:19], 0
	s_cbranch_vccz .LBB118_531
; %bb.530:
	s_lshl_b32 s12, s11, 8
	s_lshl_b32 s13, s11, 25
	s_lshr_b32 s16, s13, 4
	s_and_b32 s12, s12, 0x7f00
	s_or_b32 s16, s16, 0x70000000
	s_or_b32 s12, s12, 0.5
	s_cmp_lt_u32 s13, 0x8000000
	v_mov_b32_e32 v4, 0x7800000
	v_add_f32_e64 v3, s12, -0.5
	v_mul_f32_e32 v4, s16, v4
	s_cselect_b64 vcc, -1, 0
	s_lshl_b32 s12, s11, 24
	v_cndmask_b32_e32 v3, v4, v3, vcc
	s_and_b32 s12, s12, 0x80000000
	v_or_b32_e32 v4, s12, v3
	v_bfe_u32 v3, v3, 16, 1
	v_add_u32_e32 v3, v4, v3
	v_add_u32_e32 v3, 0x7fff, v3
	v_lshrrev_b32_e32 v3, 16, v3
	v_mov_b32_e32 v5, 0x7fc0
	v_cmp_o_f32_e32 vcc, v4, v4
	v_cndmask_b32_e32 v3, v5, v3, vcc
	global_store_dword v[0:1], v3, off
	s_mov_b64 s[12:13], 0
	s_mov_b64 s[16:17], -1
.LBB118_531:
	s_and_b64 vcc, exec, s[18:19]
	s_cbranch_vccz .LBB118_536
; %bb.532:
	v_cmp_eq_u16_e32 vcc, 44, v10
	s_mov_b64 s[12:13], -1
	s_cbranch_vccz .LBB118_536
; %bb.533:
	s_lshl_b32 s12, s11, 8
	s_lshl_b32 s13, s11, 25
	s_lshr_b32 s16, s13, 4
	s_and_b32 s12, s12, 0x7f00
	s_or_b32 s16, s16, 0x70000000
	s_or_b32 s12, s12, 0.5
	s_cmp_lt_u32 s13, 0x8000000
	v_mov_b32_e32 v4, 0x7800000
	v_add_f32_e64 v3, s12, -0.5
	v_mul_f32_e32 v4, s16, v4
	s_cselect_b64 vcc, -1, 0
	v_cndmask_b32_e32 v3, v4, v3, vcc
	v_readfirstlane_b32 s12, v3
	s_bfe_u32 s13, s12, 0x80017
	s_cmpk_eq_i32 s13, 0xff
	v_mov_b32_e32 v4, 0xff
	s_cbranch_scc1 .LBB118_535
; %bb.534:
	s_bitcmp1_b32 s12, 22
	s_cselect_b64 s[16:17], -1, 0
	s_and_b32 s12, s12, 0x3fffff
	s_or_b32 s12, s13, s12
	s_cmp_lg_u32 s12, 0
	s_cselect_b64 s[12:13], -1, 0
	s_and_b64 s[12:13], s[16:17], s[12:13]
	v_lshrrev_b32_e32 v3, 23, v3
	v_cndmask_b32_e64 v4, 0, 1, s[12:13]
	v_add_u32_e32 v4, v3, v4
.LBB118_535:
	s_mov_b64 s[12:13], 0
	s_mov_b64 s[16:17], -1
	global_store_byte v[0:1], v4, off
.LBB118_536:
	s_mov_b64 s[18:19], 0
.LBB118_537:
	s_and_b64 vcc, exec, s[18:19]
	s_cbranch_vccz .LBB118_540
; %bb.538:
	v_cmp_eq_u16_e32 vcc, 29, v10
	s_mov_b64 s[12:13], -1
	s_cbranch_vccz .LBB118_540
; %bb.539:
	s_lshl_b32 s12, s11, 8
	s_lshl_b32 s13, s11, 25
	s_lshr_b32 s16, s13, 4
	s_and_b32 s12, s12, 0x7f00
	s_or_b32 s16, s16, 0x70000000
	s_or_b32 s12, s12, 0.5
	s_cmp_lt_u32 s13, 0x8000000
	v_mov_b32_e32 v4, 0x7800000
	v_add_f32_e64 v3, s12, -0.5
	v_mul_f32_e32 v4, s16, v4
	s_cselect_b64 vcc, -1, 0
	s_lshl_b32 s12, s11, 24
	v_cndmask_b32_e32 v3, v4, v3, vcc
	s_and_b32 s12, s12, 0x80000000
	v_or_b32_e32 v3, s12, v3
	v_trunc_f32_e32 v3, v3
	v_mul_f32_e32 v4, 0x2f800000, v3
	v_floor_f32_e32 v5, v4
	v_fmac_f32_e32 v3, 0xcf800000, v5
	v_cvt_u32_f32_e32 v4, v3
	v_cvt_u32_f32_e32 v5, v5
	s_mov_b64 s[12:13], 0
	s_mov_b64 s[16:17], -1
	global_store_dwordx2 v[0:1], v[4:5], off
.LBB118_540:
	s_mov_b64 s[18:19], 0
.LBB118_541:
	s_and_b64 vcc, exec, s[18:19]
	s_cbranch_vccz .LBB118_562
; %bb.542:
	v_cmp_gt_i16_e32 vcc, 27, v10
	s_mov_b64 s[16:17], -1
	s_cbranch_vccnz .LBB118_548
; %bb.543:
	v_cmp_lt_i16_e32 vcc, 27, v10
	s_cbranch_vccz .LBB118_545
; %bb.544:
	s_lshl_b32 s16, s11, 8
	s_lshl_b32 s17, s11, 25
	s_lshr_b32 s18, s17, 4
	s_and_b32 s16, s16, 0x7f00
	s_or_b32 s18, s18, 0x70000000
	s_or_b32 s16, s16, 0.5
	s_cmp_lt_u32 s17, 0x8000000
	v_mov_b32_e32 v4, 0x7800000
	v_add_f32_e64 v3, s16, -0.5
	v_mul_f32_e32 v4, s18, v4
	s_cselect_b64 vcc, -1, 0
	s_lshl_b32 s16, s11, 24
	v_cndmask_b32_e32 v3, v4, v3, vcc
	s_and_b32 s16, s16, 0x80000000
	v_or_b32_e32 v3, s16, v3
	v_cvt_u32_f32_e32 v3, v3
	s_mov_b64 s[16:17], 0
	global_store_dword v[0:1], v3, off
.LBB118_545:
	s_andn2_b64 vcc, exec, s[16:17]
	s_cbranch_vccnz .LBB118_547
; %bb.546:
	s_lshl_b32 s16, s11, 8
	s_lshl_b32 s17, s11, 25
	s_lshr_b32 s18, s17, 4
	s_and_b32 s16, s16, 0x7f00
	s_or_b32 s18, s18, 0x70000000
	s_or_b32 s16, s16, 0.5
	s_cmp_lt_u32 s17, 0x8000000
	v_mov_b32_e32 v4, 0x7800000
	v_add_f32_e64 v3, s16, -0.5
	v_mul_f32_e32 v4, s18, v4
	s_cselect_b64 vcc, -1, 0
	s_lshl_b32 s16, s11, 24
	v_cndmask_b32_e32 v3, v4, v3, vcc
	s_and_b32 s16, s16, 0x80000000
	v_or_b32_e32 v3, s16, v3
	v_cvt_u32_f32_e32 v3, v3
	global_store_short v[0:1], v3, off
.LBB118_547:
	s_mov_b64 s[16:17], 0
.LBB118_548:
	s_andn2_b64 vcc, exec, s[16:17]
	s_cbranch_vccnz .LBB118_561
; %bb.549:
	s_lshl_b32 s16, s11, 8
	s_lshl_b32 s17, s11, 25
	s_lshr_b32 s18, s17, 4
	s_and_b32 s16, s16, 0x7f00
	s_or_b32 s18, s18, 0x70000000
	s_or_b32 s16, s16, 0.5
	s_cmp_lt_u32 s17, 0x8000000
	v_mov_b32_e32 v4, 0x7800000
	v_add_f32_e64 v3, s16, -0.5
	v_mul_f32_e32 v4, s18, v4
	s_cselect_b64 vcc, -1, 0
	v_cndmask_b32_e32 v3, v4, v3, vcc
	s_lshl_b32 s16, s11, 24
	s_and_b32 s16, s16, 0x80000000
	v_readfirstlane_b32 s17, v3
	s_or_b32 s20, s16, s17
	s_and_b32 s16, s20, 0x7fffffff
	s_cmp_gt_u32 s16, 0x437fffff
	v_mov_b32_e32 v4, 0x80
	s_cbranch_scc1 .LBB118_560
; %bb.550:
	s_cmp_gt_u32 s16, 0x3bffffff
	s_cbranch_scc0 .LBB118_555
; %bb.551:
	v_bfe_u32 v3, v3, 20, 1
	v_add_u32_e32 v3, s20, v3
	v_add_u32_e32 v3, 0x487ffff, v3
	v_lshrrev_b32_e32 v3, 20, v3
	s_mov_b64 s[18:19], 0
	s_mov_b64 s[16:17], -1
	s_branch .LBB118_556
.LBB118_552:
	s_mov_b64 s[16:17], 0
	s_cbranch_execnz .LBB118_603
.LBB118_553:
	s_andn2_b64 vcc, exec, s[16:17]
	s_cbranch_vccz .LBB118_641
	s_branch .LBB118_802
.LBB118_554:
	s_or_b64 s[6:7], s[2:3], exec
	s_trap 2
	s_cbranch_execz .LBB118_484
	s_branch .LBB118_485
.LBB118_555:
	s_mov_b64 s[18:19], -1
	s_mov_b64 s[16:17], 0
                                        ; implicit-def: $vgpr3
.LBB118_556:
	s_andn2_b64 vcc, exec, s[18:19]
                                        ; implicit-def: $sgpr18
	s_cbranch_vccnz .LBB118_558
; %bb.557:
	v_mov_b32_e32 v3, 0x46000000
	v_add_f32_e64 v3, |s20|, v3
	v_and_b32_e32 v3, 0xff, v3
	s_mov_b32 s18, 0
	v_cmp_ne_u32_e64 s[16:17], 0, v3
.LBB118_558:
	s_andn2_b64 vcc, exec, s[16:17]
	v_mov_b32_e32 v4, s18
	s_cbranch_vccnz .LBB118_560
; %bb.559:
	s_lshr_b32 s16, s20, 24
	s_and_b32 s16, s16, 0x80
	v_or_b32_e32 v4, s16, v3
.LBB118_560:
	global_store_byte v[0:1], v4, off
.LBB118_561:
	s_mov_b64 s[16:17], -1
.LBB118_562:
	s_mov_b64 s[18:19], 0
.LBB118_563:
	s_and_b64 vcc, exec, s[18:19]
	s_cbranch_vccz .LBB118_599
; %bb.564:
	v_cmp_lt_i16_e32 vcc, 22, v10
	s_mov_b64 s[14:15], -1
	s_cbranch_vccz .LBB118_592
; %bb.565:
	v_cmp_gt_i16_e32 vcc, 24, v10
	s_cbranch_vccnz .LBB118_589
; %bb.566:
	v_cmp_lt_i16_e32 vcc, 24, v10
	s_cbranch_vccz .LBB118_576
; %bb.567:
	s_lshl_b32 s14, s11, 8
	s_lshl_b32 s15, s11, 25
	s_lshr_b32 s16, s15, 4
	s_and_b32 s14, s14, 0x7f00
	s_or_b32 s16, s16, 0x70000000
	s_or_b32 s14, s14, 0.5
	s_cmp_lt_u32 s15, 0x8000000
	v_mov_b32_e32 v4, 0x7800000
	v_add_f32_e64 v3, s14, -0.5
	v_mul_f32_e32 v4, s16, v4
	s_cselect_b64 vcc, -1, 0
	v_cndmask_b32_e32 v3, v4, v3, vcc
	s_lshl_b32 s14, s11, 24
	s_and_b32 s14, s14, 0x80000000
	v_readfirstlane_b32 s15, v3
	s_or_b32 s18, s14, s15
	s_and_b32 s14, s18, 0x7fffffff
	s_cmp_gt_u32 s14, 0x477fffff
	v_mov_b32_e32 v4, 0x80
	s_cbranch_scc1 .LBB118_575
; %bb.568:
	s_cmp_gt_u32 s14, 0x37ffffff
	s_cbranch_scc0 .LBB118_570
; %bb.569:
	v_bfe_u32 v3, v3, 21, 1
	v_add_u32_e32 v3, s18, v3
	v_add_u32_e32 v3, 0x88fffff, v3
	v_lshrrev_b32_e32 v3, 21, v3
	s_mov_b64 s[16:17], 0
	s_mov_b64 s[14:15], -1
	s_branch .LBB118_571
.LBB118_570:
	s_mov_b64 s[16:17], -1
	s_mov_b64 s[14:15], 0
                                        ; implicit-def: $vgpr3
.LBB118_571:
	s_andn2_b64 vcc, exec, s[16:17]
                                        ; implicit-def: $sgpr16
	s_cbranch_vccnz .LBB118_573
; %bb.572:
	v_mov_b32_e32 v3, 0x42800000
	v_add_f32_e64 v3, |s18|, v3
	v_and_b32_e32 v3, 0xff, v3
	s_mov_b32 s16, 0
	v_cmp_ne_u32_e64 s[14:15], 0, v3
.LBB118_573:
	s_andn2_b64 vcc, exec, s[14:15]
	v_mov_b32_e32 v4, s16
	s_cbranch_vccnz .LBB118_575
; %bb.574:
	s_lshr_b32 s14, s18, 24
	s_and_b32 s14, s14, 0x80
	v_or_b32_e32 v4, s14, v3
.LBB118_575:
	s_mov_b64 s[14:15], 0
	global_store_byte v[0:1], v4, off
.LBB118_576:
	s_and_b64 vcc, exec, s[14:15]
	s_cbranch_vccz .LBB118_588
; %bb.577:
	s_lshl_b32 s14, s11, 8
	s_lshl_b32 s15, s11, 25
	s_lshr_b32 s16, s15, 4
	s_and_b32 s14, s14, 0x7f00
	s_or_b32 s16, s16, 0x70000000
	s_or_b32 s14, s14, 0.5
	s_cmp_lt_u32 s15, 0x8000000
	v_mov_b32_e32 v4, 0x7800000
	v_add_f32_e64 v3, s14, -0.5
	v_mul_f32_e32 v4, s16, v4
	s_cselect_b64 vcc, -1, 0
	v_cndmask_b32_e32 v3, v4, v3, vcc
	s_lshl_b32 s15, s11, 24
	v_readfirstlane_b32 s14, v3
	s_and_b32 s15, s15, 0x80000000
	s_or_b32 s16, s15, s14
	s_and_b32 s17, s16, 0x7fffffff
	s_cmp_lt_u32 s17, 0x43f00000
	s_cbranch_scc0 .LBB118_580
; %bb.578:
	s_cmp_gt_u32 s17, 0x3c7fffff
	s_cbranch_scc0 .LBB118_581
; %bb.579:
	s_bfe_u32 s14, s14, 0x10014
	s_add_i32 s14, s16, s14
	s_add_i32 s14, s14, 0x407ffff
	s_lshr_b32 s15, s14, 20
	s_and_b32 s14, s14, 0xff00000
	s_cmp_lg_u32 s14, 0x7f00000
	s_cselect_b32 s18, s15, 0x7e
	s_mov_b64 s[14:15], 0
	s_branch .LBB118_582
.LBB118_580:
	s_mov_b64 s[14:15], -1
                                        ; implicit-def: $vgpr3
	s_branch .LBB118_585
.LBB118_581:
	s_mov_b64 s[14:15], -1
                                        ; implicit-def: $sgpr18
.LBB118_582:
	s_andn2_b64 vcc, exec, s[14:15]
	v_mov_b32_e32 v3, s18
	s_cbranch_vccnz .LBB118_584
; %bb.583:
	v_mov_b32_e32 v3, 0x46800000
	v_add_f32_e64 v3, |s16|, v3
.LBB118_584:
	s_mov_b64 s[14:15], 0
.LBB118_585:
	s_andn2_b64 vcc, exec, s[14:15]
	s_cbranch_vccnz .LBB118_587
; %bb.586:
	s_cmp_gt_u32 s17, 0x7f800000
	s_movk_i32 s14, 0x7f
	s_cselect_b32 s14, s14, 0x7e
	v_mov_b32_e32 v3, s14
.LBB118_587:
	s_lshr_b32 s14, s16, 24
	s_and_b32 s14, s14, 0x80
	v_or_b32_e32 v3, s14, v3
	global_store_byte v[0:1], v3, off
.LBB118_588:
	s_mov_b64 s[14:15], 0
.LBB118_589:
	s_andn2_b64 vcc, exec, s[14:15]
	s_cbranch_vccnz .LBB118_591
; %bb.590:
	v_mov_b32_e32 v3, s11
	global_store_byte v[0:1], v3, off
.LBB118_591:
	s_mov_b64 s[14:15], 0
	s_mov_b64 s[16:17], -1
.LBB118_592:
	s_andn2_b64 vcc, exec, s[14:15]
	s_mov_b64 s[14:15], 0
	s_cbranch_vccnz .LBB118_599
; %bb.593:
	v_cmp_lt_i16_e32 vcc, 14, v10
	s_mov_b64 s[18:19], -1
	s_cbranch_vccz .LBB118_597
; %bb.594:
	v_cmp_eq_u16_e32 vcc, 15, v10
	s_mov_b64 s[12:13], -1
	s_cbranch_vccz .LBB118_596
; %bb.595:
	s_lshl_b32 s12, s11, 8
	s_lshl_b32 s13, s11, 25
	s_lshr_b32 s14, s13, 4
	s_and_b32 s12, s12, 0x7f00
	s_or_b32 s14, s14, 0x70000000
	s_or_b32 s12, s12, 0.5
	s_cmp_lt_u32 s13, 0x8000000
	v_mov_b32_e32 v4, 0x7800000
	v_add_f32_e64 v3, s12, -0.5
	v_mul_f32_e32 v4, s14, v4
	s_cselect_b64 vcc, -1, 0
	s_lshl_b32 s12, s11, 24
	v_cndmask_b32_e32 v3, v4, v3, vcc
	s_and_b32 s12, s12, 0x80000000
	v_or_b32_e32 v4, s12, v3
	v_bfe_u32 v3, v3, 16, 1
	v_add_u32_e32 v3, v4, v3
	v_add_u32_e32 v3, 0x7fff, v3
	v_lshrrev_b32_e32 v3, 16, v3
	v_mov_b32_e32 v5, 0x7fc0
	v_cmp_o_f32_e32 vcc, v4, v4
	v_cndmask_b32_e32 v3, v5, v3, vcc
	global_store_short v[0:1], v3, off
	s_mov_b64 s[12:13], 0
	s_mov_b64 s[16:17], -1
.LBB118_596:
	s_mov_b64 s[18:19], 0
.LBB118_597:
	s_mov_b64 s[14:15], 0
	s_and_b64 vcc, exec, s[18:19]
	s_cbranch_vccz .LBB118_599
; %bb.598:
	v_cmp_ne_u16_e64 s[12:13], 11, v10
	s_mov_b64 s[14:15], -1
.LBB118_599:
	s_and_b64 vcc, exec, s[12:13]
	s_cbranch_vccnz .LBB118_701
; %bb.600:
	s_andn2_b64 vcc, exec, s[14:15]
	s_cbranch_vccnz .LBB118_602
.LBB118_601:
	s_lshl_b32 s12, s11, 8
	s_lshl_b32 s13, s11, 25
	s_lshr_b32 s14, s13, 4
	s_and_b32 s12, s12, 0x7f00
	s_or_b32 s14, s14, 0x70000000
	s_or_b32 s12, s12, 0.5
	s_cmp_lt_u32 s13, 0x8000000
	v_mov_b32_e32 v4, 0x7800000
	v_add_f32_e64 v3, s12, -0.5
	v_mul_f32_e32 v4, s14, v4
	s_cselect_b64 vcc, -1, 0
	v_cndmask_b32_e32 v3, v4, v3, vcc
	v_cmp_neq_f32_e32 vcc, 0, v3
	v_cndmask_b32_e64 v3, 0, 1, vcc
	s_mov_b64 s[16:17], -1
	global_store_byte v[0:1], v3, off
.LBB118_602:
	s_branch .LBB118_553
.LBB118_603:
	v_cmp_gt_i16_e32 vcc, 5, v10
	s_mov_b64 s[12:13], -1
	s_cbranch_vccnz .LBB118_624
; %bb.604:
	v_cmp_gt_i16_e32 vcc, 8, v10
	s_cbranch_vccnz .LBB118_614
; %bb.605:
	v_cmp_gt_i16_e32 vcc, 9, v10
	s_cbranch_vccnz .LBB118_611
; %bb.606:
	v_cmp_lt_i16_e32 vcc, 9, v10
	s_cbranch_vccz .LBB118_608
; %bb.607:
	s_lshl_b32 s12, s11, 8
	s_lshl_b32 s13, s11, 25
	s_lshr_b32 s14, s13, 4
	s_and_b32 s12, s12, 0x7f00
	s_or_b32 s14, s14, 0x70000000
	s_or_b32 s12, s12, 0.5
	s_cmp_lt_u32 s13, 0x8000000
	v_mov_b32_e32 v4, 0x7800000
	v_add_f32_e64 v3, s12, -0.5
	v_mul_f32_e32 v4, s14, v4
	s_cselect_b64 vcc, -1, 0
	s_lshl_b32 s12, s11, 24
	v_cndmask_b32_e32 v3, v4, v3, vcc
	s_and_b32 s12, s12, 0x80000000
	v_or_b32_e32 v3, s12, v3
	v_mov_b32_e32 v6, 0
	v_cvt_f64_f32_e32 v[4:5], v3
	v_mov_b32_e32 v7, v6
	global_store_dwordx4 v[0:1], v[4:7], off
	s_mov_b64 s[12:13], 0
.LBB118_608:
	s_andn2_b64 vcc, exec, s[12:13]
	s_cbranch_vccnz .LBB118_610
; %bb.609:
	s_lshl_b32 s12, s11, 8
	s_lshl_b32 s13, s11, 25
	s_lshr_b32 s14, s13, 4
	s_and_b32 s12, s12, 0x7f00
	s_or_b32 s14, s14, 0x70000000
	s_or_b32 s12, s12, 0.5
	s_cmp_lt_u32 s13, 0x8000000
	v_mov_b32_e32 v4, 0x7800000
	v_add_f32_e64 v3, s12, -0.5
	v_mul_f32_e32 v4, s14, v4
	s_cselect_b64 vcc, -1, 0
	s_lshl_b32 s12, s11, 24
	v_cndmask_b32_e32 v3, v4, v3, vcc
	s_and_b32 s12, s12, 0x80000000
	v_or_b32_e32 v4, s12, v3
	v_mov_b32_e32 v5, 0
	global_store_dwordx2 v[0:1], v[4:5], off
.LBB118_610:
	s_mov_b64 s[12:13], 0
.LBB118_611:
	s_andn2_b64 vcc, exec, s[12:13]
	s_cbranch_vccnz .LBB118_613
; %bb.612:
	s_lshl_b32 s12, s11, 8
	s_lshl_b32 s13, s11, 25
	s_lshr_b32 s14, s13, 4
	s_and_b32 s12, s12, 0x7f00
	s_or_b32 s14, s14, 0x70000000
	s_or_b32 s12, s12, 0.5
	s_cmp_lt_u32 s13, 0x8000000
	v_mov_b32_e32 v4, 0x7800000
	v_add_f32_e64 v3, s12, -0.5
	v_mul_f32_e32 v4, s14, v4
	s_cselect_b64 vcc, -1, 0
	s_lshl_b32 s12, s11, 24
	v_cndmask_b32_e32 v3, v4, v3, vcc
	s_and_b32 s12, s12, 0x80000000
	v_or_b32_e32 v3, s12, v3
	v_cvt_f16_f32_e32 v3, v3
	global_store_dword v[0:1], v3, off
.LBB118_613:
	s_mov_b64 s[12:13], 0
.LBB118_614:
	s_andn2_b64 vcc, exec, s[12:13]
	s_cbranch_vccnz .LBB118_623
; %bb.615:
	v_cmp_gt_i16_e32 vcc, 6, v10
	s_mov_b64 s[12:13], -1
	s_cbranch_vccnz .LBB118_621
; %bb.616:
	v_cmp_lt_i16_e32 vcc, 6, v10
	s_cbranch_vccz .LBB118_618
; %bb.617:
	s_lshl_b32 s12, s11, 8
	s_lshl_b32 s13, s11, 25
	s_lshr_b32 s14, s13, 4
	s_and_b32 s12, s12, 0x7f00
	s_or_b32 s14, s14, 0x70000000
	s_or_b32 s12, s12, 0.5
	s_cmp_lt_u32 s13, 0x8000000
	v_mov_b32_e32 v4, 0x7800000
	v_add_f32_e64 v3, s12, -0.5
	v_mul_f32_e32 v4, s14, v4
	s_cselect_b64 vcc, -1, 0
	s_lshl_b32 s12, s11, 24
	v_cndmask_b32_e32 v3, v4, v3, vcc
	s_and_b32 s12, s12, 0x80000000
	v_or_b32_e32 v3, s12, v3
	v_cvt_f64_f32_e32 v[4:5], v3
	global_store_dwordx2 v[0:1], v[4:5], off
	s_mov_b64 s[12:13], 0
.LBB118_618:
	s_andn2_b64 vcc, exec, s[12:13]
	s_cbranch_vccnz .LBB118_620
; %bb.619:
	s_lshl_b32 s12, s11, 8
	s_lshl_b32 s13, s11, 25
	s_lshr_b32 s14, s13, 4
	s_and_b32 s12, s12, 0x7f00
	s_or_b32 s14, s14, 0x70000000
	s_or_b32 s12, s12, 0.5
	s_cmp_lt_u32 s13, 0x8000000
	v_mov_b32_e32 v4, 0x7800000
	v_add_f32_e64 v3, s12, -0.5
	v_mul_f32_e32 v4, s14, v4
	s_cselect_b64 vcc, -1, 0
	s_lshl_b32 s12, s11, 24
	v_cndmask_b32_e32 v3, v4, v3, vcc
	s_and_b32 s12, s12, 0x80000000
	v_or_b32_e32 v3, s12, v3
	global_store_dword v[0:1], v3, off
.LBB118_620:
	s_mov_b64 s[12:13], 0
.LBB118_621:
	s_andn2_b64 vcc, exec, s[12:13]
	s_cbranch_vccnz .LBB118_623
; %bb.622:
	s_lshl_b32 s12, s11, 8
	s_lshl_b32 s13, s11, 25
	s_lshr_b32 s14, s13, 4
	s_and_b32 s12, s12, 0x7f00
	s_or_b32 s14, s14, 0x70000000
	s_or_b32 s12, s12, 0.5
	s_cmp_lt_u32 s13, 0x8000000
	v_mov_b32_e32 v4, 0x7800000
	v_add_f32_e64 v3, s12, -0.5
	v_mul_f32_e32 v4, s14, v4
	s_cselect_b64 vcc, -1, 0
	s_lshl_b32 s12, s11, 24
	v_cndmask_b32_e32 v3, v4, v3, vcc
	s_and_b32 s12, s12, 0x80000000
	v_or_b32_e32 v3, s12, v3
	v_cvt_f16_f32_e32 v3, v3
	global_store_short v[0:1], v3, off
.LBB118_623:
	s_mov_b64 s[12:13], 0
.LBB118_624:
	s_andn2_b64 vcc, exec, s[12:13]
	s_cbranch_vccnz .LBB118_640
; %bb.625:
	v_cmp_gt_i16_e32 vcc, 2, v10
	s_mov_b64 s[12:13], -1
	s_cbranch_vccnz .LBB118_635
; %bb.626:
	v_cmp_gt_i16_e32 vcc, 3, v10
	s_cbranch_vccnz .LBB118_632
; %bb.627:
	v_cmp_lt_i16_e32 vcc, 3, v10
	s_cbranch_vccz .LBB118_629
; %bb.628:
	s_lshl_b32 s12, s11, 8
	s_lshl_b32 s13, s11, 25
	s_lshr_b32 s14, s13, 4
	s_and_b32 s12, s12, 0x7f00
	s_or_b32 s14, s14, 0x70000000
	s_or_b32 s12, s12, 0.5
	s_cmp_lt_u32 s13, 0x8000000
	v_mov_b32_e32 v4, 0x7800000
	v_add_f32_e64 v3, s12, -0.5
	v_mul_f32_e32 v4, s14, v4
	s_cselect_b64 vcc, -1, 0
	s_lshl_b32 s12, s11, 24
	v_cndmask_b32_e32 v3, v4, v3, vcc
	s_and_b32 s12, s12, 0x80000000
	v_or_b32_e32 v3, s12, v3
	v_trunc_f32_e32 v3, v3
	s_mov_b32 s12, 0x2f800000
	v_mul_f32_e64 v4, |v3|, s12
	v_floor_f32_e32 v4, v4
	s_mov_b32 s12, 0xcf800000
	v_fma_f32 v5, v4, s12, |v3|
	v_cvt_u32_f32_e32 v5, v5
	v_cvt_u32_f32_e32 v4, v4
	v_ashrrev_i32_e32 v3, 31, v3
	s_mov_b64 s[12:13], 0
	v_xor_b32_e32 v5, v5, v3
	v_xor_b32_e32 v6, v4, v3
	v_sub_co_u32_e32 v4, vcc, v5, v3
	v_subb_co_u32_e32 v5, vcc, v6, v3, vcc
	global_store_dwordx2 v[0:1], v[4:5], off
.LBB118_629:
	s_andn2_b64 vcc, exec, s[12:13]
	s_cbranch_vccnz .LBB118_631
; %bb.630:
	s_lshl_b32 s12, s11, 8
	s_lshl_b32 s13, s11, 25
	s_lshr_b32 s14, s13, 4
	s_and_b32 s12, s12, 0x7f00
	s_or_b32 s14, s14, 0x70000000
	s_or_b32 s12, s12, 0.5
	s_cmp_lt_u32 s13, 0x8000000
	v_mov_b32_e32 v4, 0x7800000
	v_add_f32_e64 v3, s12, -0.5
	v_mul_f32_e32 v4, s14, v4
	s_cselect_b64 vcc, -1, 0
	s_lshl_b32 s12, s11, 24
	v_cndmask_b32_e32 v3, v4, v3, vcc
	s_and_b32 s12, s12, 0x80000000
	v_or_b32_e32 v3, s12, v3
	v_cvt_i32_f32_e32 v3, v3
	global_store_dword v[0:1], v3, off
.LBB118_631:
	s_mov_b64 s[12:13], 0
.LBB118_632:
	s_andn2_b64 vcc, exec, s[12:13]
	s_cbranch_vccnz .LBB118_634
; %bb.633:
	s_lshl_b32 s12, s11, 8
	s_lshl_b32 s13, s11, 25
	s_lshr_b32 s14, s13, 4
	s_and_b32 s12, s12, 0x7f00
	s_or_b32 s14, s14, 0x70000000
	s_or_b32 s12, s12, 0.5
	s_cmp_lt_u32 s13, 0x8000000
	v_mov_b32_e32 v4, 0x7800000
	v_add_f32_e64 v3, s12, -0.5
	v_mul_f32_e32 v4, s14, v4
	s_cselect_b64 vcc, -1, 0
	s_lshl_b32 s12, s11, 24
	v_cndmask_b32_e32 v3, v4, v3, vcc
	s_and_b32 s12, s12, 0x80000000
	v_or_b32_e32 v3, s12, v3
	v_cvt_i32_f32_e32 v3, v3
	global_store_short v[0:1], v3, off
.LBB118_634:
	s_mov_b64 s[12:13], 0
.LBB118_635:
	s_andn2_b64 vcc, exec, s[12:13]
	s_cbranch_vccnz .LBB118_640
; %bb.636:
	v_cmp_lt_i16_e32 vcc, 0, v10
	s_mov_b64 s[12:13], -1
	s_cbranch_vccz .LBB118_638
; %bb.637:
	s_lshl_b32 s12, s11, 8
	s_lshl_b32 s13, s11, 25
	s_lshr_b32 s14, s13, 4
	s_and_b32 s12, s12, 0x7f00
	s_or_b32 s14, s14, 0x70000000
	s_or_b32 s12, s12, 0.5
	s_cmp_lt_u32 s13, 0x8000000
	v_mov_b32_e32 v4, 0x7800000
	v_add_f32_e64 v3, s12, -0.5
	v_mul_f32_e32 v4, s14, v4
	s_cselect_b64 vcc, -1, 0
	s_lshl_b32 s12, s11, 24
	v_cndmask_b32_e32 v3, v4, v3, vcc
	s_and_b32 s12, s12, 0x80000000
	v_or_b32_e32 v3, s12, v3
	v_cvt_i32_f32_e32 v3, v3
	s_mov_b64 s[12:13], 0
	global_store_byte v[0:1], v3, off
.LBB118_638:
	s_andn2_b64 vcc, exec, s[12:13]
	s_cbranch_vccnz .LBB118_640
; %bb.639:
	s_lshl_b32 s12, s11, 8
	s_lshl_b32 s13, s11, 25
	s_lshr_b32 s14, s13, 4
	s_and_b32 s12, s12, 0x7f00
	s_or_b32 s14, s14, 0x70000000
	s_or_b32 s12, s12, 0.5
	s_cmp_lt_u32 s13, 0x8000000
	v_mov_b32_e32 v4, 0x7800000
	v_add_f32_e64 v3, s12, -0.5
	v_mul_f32_e32 v4, s14, v4
	s_cselect_b64 vcc, -1, 0
	s_lshl_b32 s12, s11, 24
	v_cndmask_b32_e32 v3, v4, v3, vcc
	s_and_b32 s12, s12, 0x80000000
	v_or_b32_e32 v3, s12, v3
	v_trunc_f32_e32 v3, v3
	s_mov_b32 s12, 0x2f800000
	v_mul_f32_e64 v4, |v3|, s12
	v_floor_f32_e32 v4, v4
	s_mov_b32 s12, 0xcf800000
	v_fma_f32 v4, v4, s12, |v3|
	v_cvt_u32_f32_e32 v4, v4
	v_ashrrev_i32_e32 v3, 31, v3
	v_xor_b32_e32 v4, v4, v3
	v_sub_u32_e32 v3, v4, v3
	global_store_byte v[0:1], v3, off
.LBB118_640:
.LBB118_641:
	v_add_u32_e32 v2, s10, v2
	v_ashrrev_i32_e32 v1, 31, v2
	v_mov_b32_e32 v3, s9
	v_add_co_u32_e32 v0, vcc, s8, v2
	v_addc_co_u32_e32 v1, vcc, v3, v1, vcc
	s_and_b64 vcc, exec, s[0:1]
	s_cbranch_vccnz .LBB118_669
; %bb.642:
	v_cmp_lt_i16_e32 vcc, 25, v10
	s_mov_b64 s[18:19], -1
	s_mov_b64 s[14:15], 0
	s_mov_b64 s[16:17], 0
	;; [unrolled: 1-line block ×3, first 2 shown]
	s_cbranch_vccz .LBB118_710
; %bb.643:
	v_cmp_lt_i16_e32 vcc, 28, v10
	s_cbranch_vccz .LBB118_658
; %bb.644:
	v_cmp_lt_i16_e32 vcc, 43, v10
	;; [unrolled: 3-line block ×3, first 2 shown]
	s_cbranch_vccz .LBB118_648
; %bb.646:
	v_cmp_eq_u16_e32 vcc, 46, v10
	s_mov_b64 s[12:13], -1
	s_mov_b64 s[18:19], 0
	s_cbranch_vccz .LBB118_648
; %bb.647:
	s_lshl_b32 s12, s11, 8
	s_lshl_b32 s13, s11, 25
	s_lshr_b32 s16, s13, 4
	s_and_b32 s12, s12, 0x7f00
	s_or_b32 s16, s16, 0x70000000
	s_or_b32 s12, s12, 0.5
	s_cmp_lt_u32 s13, 0x8000000
	v_mov_b32_e32 v4, 0x7800000
	v_add_f32_e64 v3, s12, -0.5
	v_mul_f32_e32 v4, s16, v4
	s_cselect_b64 vcc, -1, 0
	s_lshl_b32 s12, s11, 24
	v_cndmask_b32_e32 v3, v4, v3, vcc
	s_and_b32 s12, s12, 0x80000000
	v_or_b32_e32 v4, s12, v3
	v_bfe_u32 v3, v3, 16, 1
	v_add_u32_e32 v3, v4, v3
	v_add_u32_e32 v3, 0x7fff, v3
	v_lshrrev_b32_e32 v3, 16, v3
	v_mov_b32_e32 v5, 0x7fc0
	v_cmp_o_f32_e32 vcc, v4, v4
	v_cndmask_b32_e32 v3, v5, v3, vcc
	global_store_dword v[0:1], v3, off
	s_mov_b64 s[12:13], 0
	s_mov_b64 s[16:17], -1
.LBB118_648:
	s_and_b64 vcc, exec, s[18:19]
	s_cbranch_vccz .LBB118_653
; %bb.649:
	v_cmp_eq_u16_e32 vcc, 44, v10
	s_mov_b64 s[12:13], -1
	s_cbranch_vccz .LBB118_653
; %bb.650:
	s_lshl_b32 s12, s11, 8
	s_lshl_b32 s13, s11, 25
	s_lshr_b32 s16, s13, 4
	s_and_b32 s12, s12, 0x7f00
	s_or_b32 s16, s16, 0x70000000
	s_or_b32 s12, s12, 0.5
	s_cmp_lt_u32 s13, 0x8000000
	v_mov_b32_e32 v4, 0x7800000
	v_add_f32_e64 v3, s12, -0.5
	v_mul_f32_e32 v4, s16, v4
	s_cselect_b64 vcc, -1, 0
	v_cndmask_b32_e32 v3, v4, v3, vcc
	v_readfirstlane_b32 s12, v3
	s_bfe_u32 s13, s12, 0x80017
	s_cmpk_eq_i32 s13, 0xff
	v_mov_b32_e32 v4, 0xff
	s_cbranch_scc1 .LBB118_652
; %bb.651:
	s_bitcmp1_b32 s12, 22
	s_cselect_b64 s[16:17], -1, 0
	s_and_b32 s12, s12, 0x3fffff
	s_or_b32 s12, s13, s12
	s_cmp_lg_u32 s12, 0
	s_cselect_b64 s[12:13], -1, 0
	s_and_b64 s[12:13], s[16:17], s[12:13]
	v_lshrrev_b32_e32 v3, 23, v3
	v_cndmask_b32_e64 v4, 0, 1, s[12:13]
	v_add_u32_e32 v4, v3, v4
.LBB118_652:
	s_mov_b64 s[12:13], 0
	s_mov_b64 s[16:17], -1
	global_store_byte v[0:1], v4, off
.LBB118_653:
	s_mov_b64 s[18:19], 0
.LBB118_654:
	s_and_b64 vcc, exec, s[18:19]
	s_cbranch_vccz .LBB118_657
; %bb.655:
	v_cmp_eq_u16_e32 vcc, 29, v10
	s_mov_b64 s[12:13], -1
	s_cbranch_vccz .LBB118_657
; %bb.656:
	s_lshl_b32 s12, s11, 8
	s_lshl_b32 s13, s11, 25
	s_lshr_b32 s16, s13, 4
	s_and_b32 s12, s12, 0x7f00
	s_or_b32 s16, s16, 0x70000000
	s_or_b32 s12, s12, 0.5
	s_cmp_lt_u32 s13, 0x8000000
	v_mov_b32_e32 v4, 0x7800000
	v_add_f32_e64 v3, s12, -0.5
	v_mul_f32_e32 v4, s16, v4
	s_cselect_b64 vcc, -1, 0
	s_lshl_b32 s12, s11, 24
	v_cndmask_b32_e32 v3, v4, v3, vcc
	s_and_b32 s12, s12, 0x80000000
	v_or_b32_e32 v3, s12, v3
	v_trunc_f32_e32 v3, v3
	v_mul_f32_e32 v4, 0x2f800000, v3
	v_floor_f32_e32 v5, v4
	v_fmac_f32_e32 v3, 0xcf800000, v5
	v_cvt_u32_f32_e32 v4, v3
	v_cvt_u32_f32_e32 v5, v5
	s_mov_b64 s[12:13], 0
	s_mov_b64 s[16:17], -1
	global_store_dwordx2 v[0:1], v[4:5], off
.LBB118_657:
	s_mov_b64 s[18:19], 0
.LBB118_658:
	s_and_b64 vcc, exec, s[18:19]
	s_cbranch_vccz .LBB118_709
; %bb.659:
	v_cmp_gt_i16_e32 vcc, 27, v10
	s_mov_b64 s[16:17], -1
	s_cbranch_vccnz .LBB118_665
; %bb.660:
	v_cmp_lt_i16_e32 vcc, 27, v10
	s_cbranch_vccz .LBB118_662
; %bb.661:
	s_lshl_b32 s16, s11, 8
	s_lshl_b32 s17, s11, 25
	s_lshr_b32 s18, s17, 4
	s_and_b32 s16, s16, 0x7f00
	s_or_b32 s18, s18, 0x70000000
	s_or_b32 s16, s16, 0.5
	s_cmp_lt_u32 s17, 0x8000000
	v_mov_b32_e32 v4, 0x7800000
	v_add_f32_e64 v3, s16, -0.5
	v_mul_f32_e32 v4, s18, v4
	s_cselect_b64 vcc, -1, 0
	s_lshl_b32 s16, s11, 24
	v_cndmask_b32_e32 v3, v4, v3, vcc
	s_and_b32 s16, s16, 0x80000000
	v_or_b32_e32 v3, s16, v3
	v_cvt_u32_f32_e32 v3, v3
	s_mov_b64 s[16:17], 0
	global_store_dword v[0:1], v3, off
.LBB118_662:
	s_andn2_b64 vcc, exec, s[16:17]
	s_cbranch_vccnz .LBB118_664
; %bb.663:
	s_lshl_b32 s16, s11, 8
	s_lshl_b32 s17, s11, 25
	s_lshr_b32 s18, s17, 4
	s_and_b32 s16, s16, 0x7f00
	s_or_b32 s18, s18, 0x70000000
	s_or_b32 s16, s16, 0.5
	s_cmp_lt_u32 s17, 0x8000000
	v_mov_b32_e32 v4, 0x7800000
	v_add_f32_e64 v3, s16, -0.5
	v_mul_f32_e32 v4, s18, v4
	s_cselect_b64 vcc, -1, 0
	s_lshl_b32 s16, s11, 24
	v_cndmask_b32_e32 v3, v4, v3, vcc
	s_and_b32 s16, s16, 0x80000000
	v_or_b32_e32 v3, s16, v3
	v_cvt_u32_f32_e32 v3, v3
	global_store_short v[0:1], v3, off
.LBB118_664:
	s_mov_b64 s[16:17], 0
.LBB118_665:
	s_andn2_b64 vcc, exec, s[16:17]
	s_cbranch_vccnz .LBB118_708
; %bb.666:
	s_lshl_b32 s16, s11, 8
	s_lshl_b32 s17, s11, 25
	s_lshr_b32 s18, s17, 4
	s_and_b32 s16, s16, 0x7f00
	s_or_b32 s18, s18, 0x70000000
	s_or_b32 s16, s16, 0.5
	s_cmp_lt_u32 s17, 0x8000000
	v_mov_b32_e32 v4, 0x7800000
	v_add_f32_e64 v3, s16, -0.5
	v_mul_f32_e32 v4, s18, v4
	s_cselect_b64 vcc, -1, 0
	v_cndmask_b32_e32 v3, v4, v3, vcc
	s_lshl_b32 s16, s11, 24
	s_and_b32 s16, s16, 0x80000000
	v_readfirstlane_b32 s17, v3
	s_or_b32 s20, s16, s17
	s_and_b32 s16, s20, 0x7fffffff
	s_cmp_gt_u32 s16, 0x437fffff
	v_mov_b32_e32 v4, 0x80
	s_cbranch_scc1 .LBB118_707
; %bb.667:
	s_cmp_gt_u32 s16, 0x3bffffff
	s_cbranch_scc0 .LBB118_702
; %bb.668:
	v_bfe_u32 v3, v3, 20, 1
	v_add_u32_e32 v3, s20, v3
	v_add_u32_e32 v3, 0x487ffff, v3
	v_lshrrev_b32_e32 v3, 20, v3
	s_mov_b64 s[18:19], 0
	s_mov_b64 s[16:17], -1
	s_branch .LBB118_703
.LBB118_669:
	s_mov_b64 s[16:17], 0
	s_cbranch_execnz .LBB118_764
.LBB118_670:
	s_andn2_b64 vcc, exec, s[16:17]
	s_cbranch_vccnz .LBB118_802
.LBB118_671:
	v_add_u32_e32 v0, s10, v2
	v_ashrrev_i32_e32 v1, 31, v0
	v_mov_b32_e32 v2, s9
	v_add_co_u32_e32 v0, vcc, s8, v0
	v_addc_co_u32_e32 v1, vcc, v2, v1, vcc
	s_and_b64 vcc, exec, s[0:1]
	s_cbranch_vccnz .LBB118_700
; %bb.672:
	v_cmp_lt_i16_e32 vcc, 25, v10
	s_mov_b64 s[12:13], -1
	s_mov_b64 s[8:9], 0
	s_mov_b64 s[0:1], 0
	s_cbranch_vccz .LBB118_724
; %bb.673:
	v_cmp_lt_i16_e32 vcc, 28, v10
	s_cbranch_vccz .LBB118_689
; %bb.674:
	v_cmp_lt_i16_e32 vcc, 43, v10
	;; [unrolled: 3-line block ×3, first 2 shown]
	s_cbranch_vccz .LBB118_679
; %bb.676:
	v_cmp_eq_u16_e32 vcc, 46, v10
	s_mov_b64 s[0:1], -1
	s_cbranch_vccz .LBB118_678
; %bb.677:
	s_lshl_b32 s0, s11, 8
	s_lshl_b32 s1, s11, 25
	s_lshr_b32 s10, s1, 4
	s_and_b32 s0, s0, 0x7f00
	s_or_b32 s10, s10, 0x70000000
	s_or_b32 s0, s0, 0.5
	s_cmp_lt_u32 s1, 0x8000000
	v_mov_b32_e32 v3, 0x7800000
	v_add_f32_e64 v2, s0, -0.5
	v_mul_f32_e32 v3, s10, v3
	s_cselect_b64 vcc, -1, 0
	s_lshl_b32 s0, s11, 24
	v_cndmask_b32_e32 v2, v3, v2, vcc
	s_and_b32 s0, s0, 0x80000000
	v_or_b32_e32 v3, s0, v2
	v_bfe_u32 v2, v2, 16, 1
	v_add_u32_e32 v2, v3, v2
	v_add_u32_e32 v2, 0x7fff, v2
	v_lshrrev_b32_e32 v2, 16, v2
	v_mov_b32_e32 v4, 0x7fc0
	v_cmp_o_f32_e32 vcc, v3, v3
	v_cndmask_b32_e32 v2, v4, v2, vcc
	global_store_dword v[0:1], v2, off
	s_mov_b64 s[0:1], 0
.LBB118_678:
	s_mov_b64 s[12:13], 0
.LBB118_679:
	s_and_b64 vcc, exec, s[12:13]
	s_cbranch_vccz .LBB118_684
; %bb.680:
	v_cmp_eq_u16_e32 vcc, 44, v10
	s_mov_b64 s[0:1], -1
	s_cbranch_vccz .LBB118_684
; %bb.681:
	s_lshl_b32 s0, s11, 8
	s_lshl_b32 s1, s11, 25
	s_lshr_b32 s10, s1, 4
	s_and_b32 s0, s0, 0x7f00
	s_or_b32 s10, s10, 0x70000000
	s_or_b32 s0, s0, 0.5
	s_cmp_lt_u32 s1, 0x8000000
	v_mov_b32_e32 v3, 0x7800000
	v_add_f32_e64 v2, s0, -0.5
	v_mul_f32_e32 v3, s10, v3
	s_cselect_b64 vcc, -1, 0
	v_cndmask_b32_e32 v2, v3, v2, vcc
	v_readfirstlane_b32 s0, v2
	s_bfe_u32 s1, s0, 0x80017
	s_cmpk_eq_i32 s1, 0xff
	v_mov_b32_e32 v3, 0xff
	s_cbranch_scc1 .LBB118_683
; %bb.682:
	s_bitcmp1_b32 s0, 22
	s_cselect_b64 s[12:13], -1, 0
	s_and_b32 s0, s0, 0x3fffff
	s_or_b32 s0, s1, s0
	s_cmp_lg_u32 s0, 0
	s_cselect_b64 s[0:1], -1, 0
	s_and_b64 s[0:1], s[12:13], s[0:1]
	v_lshrrev_b32_e32 v2, 23, v2
	v_cndmask_b32_e64 v3, 0, 1, s[0:1]
	v_add_u32_e32 v3, v2, v3
.LBB118_683:
	s_mov_b64 s[0:1], 0
	global_store_byte v[0:1], v3, off
.LBB118_684:
	s_mov_b64 s[12:13], 0
.LBB118_685:
	s_and_b64 vcc, exec, s[12:13]
	s_cbranch_vccz .LBB118_688
; %bb.686:
	v_cmp_eq_u16_e32 vcc, 29, v10
	s_mov_b64 s[0:1], -1
	s_cbranch_vccz .LBB118_688
; %bb.687:
	s_lshl_b32 s0, s11, 8
	s_lshl_b32 s1, s11, 25
	s_lshr_b32 s10, s1, 4
	s_and_b32 s0, s0, 0x7f00
	s_or_b32 s10, s10, 0x70000000
	s_or_b32 s0, s0, 0.5
	s_cmp_lt_u32 s1, 0x8000000
	v_mov_b32_e32 v3, 0x7800000
	v_add_f32_e64 v2, s0, -0.5
	v_mul_f32_e32 v3, s10, v3
	s_cselect_b64 vcc, -1, 0
	s_lshl_b32 s0, s11, 24
	v_cndmask_b32_e32 v2, v3, v2, vcc
	s_and_b32 s0, s0, 0x80000000
	v_or_b32_e32 v2, s0, v2
	v_trunc_f32_e32 v2, v2
	v_mul_f32_e32 v3, 0x2f800000, v2
	v_floor_f32_e32 v3, v3
	v_fmac_f32_e32 v2, 0xcf800000, v3
	v_cvt_u32_f32_e32 v2, v2
	v_cvt_u32_f32_e32 v3, v3
	s_mov_b64 s[0:1], 0
	global_store_dwordx2 v[0:1], v[2:3], off
.LBB118_688:
	s_mov_b64 s[12:13], 0
.LBB118_689:
	s_and_b64 vcc, exec, s[12:13]
	s_cbranch_vccz .LBB118_723
; %bb.690:
	v_cmp_gt_i16_e32 vcc, 27, v10
	s_mov_b64 s[12:13], -1
	s_cbranch_vccnz .LBB118_696
; %bb.691:
	v_cmp_lt_i16_e32 vcc, 27, v10
	s_cbranch_vccz .LBB118_693
; %bb.692:
	s_lshl_b32 s10, s11, 8
	s_lshl_b32 s12, s11, 25
	s_lshr_b32 s13, s12, 4
	s_and_b32 s10, s10, 0x7f00
	s_or_b32 s13, s13, 0x70000000
	s_or_b32 s10, s10, 0.5
	s_cmp_lt_u32 s12, 0x8000000
	v_mov_b32_e32 v3, 0x7800000
	v_add_f32_e64 v2, s10, -0.5
	v_mul_f32_e32 v3, s13, v3
	s_cselect_b64 vcc, -1, 0
	s_lshl_b32 s10, s11, 24
	v_cndmask_b32_e32 v2, v3, v2, vcc
	s_and_b32 s10, s10, 0x80000000
	v_or_b32_e32 v2, s10, v2
	v_cvt_u32_f32_e32 v2, v2
	s_mov_b64 s[12:13], 0
	global_store_dword v[0:1], v2, off
.LBB118_693:
	s_andn2_b64 vcc, exec, s[12:13]
	s_cbranch_vccnz .LBB118_695
; %bb.694:
	s_lshl_b32 s10, s11, 8
	s_lshl_b32 s12, s11, 25
	s_lshr_b32 s13, s12, 4
	s_and_b32 s10, s10, 0x7f00
	s_or_b32 s13, s13, 0x70000000
	s_or_b32 s10, s10, 0.5
	s_cmp_lt_u32 s12, 0x8000000
	v_mov_b32_e32 v3, 0x7800000
	v_add_f32_e64 v2, s10, -0.5
	v_mul_f32_e32 v3, s13, v3
	s_cselect_b64 vcc, -1, 0
	s_lshl_b32 s10, s11, 24
	v_cndmask_b32_e32 v2, v3, v2, vcc
	s_and_b32 s10, s10, 0x80000000
	v_or_b32_e32 v2, s10, v2
	v_cvt_u32_f32_e32 v2, v2
	global_store_short v[0:1], v2, off
.LBB118_695:
	s_mov_b64 s[12:13], 0
.LBB118_696:
	s_andn2_b64 vcc, exec, s[12:13]
	s_cbranch_vccnz .LBB118_723
; %bb.697:
	s_lshl_b32 s10, s11, 8
	s_lshl_b32 s12, s11, 25
	s_lshr_b32 s13, s12, 4
	s_and_b32 s10, s10, 0x7f00
	s_or_b32 s13, s13, 0x70000000
	s_or_b32 s10, s10, 0.5
	s_cmp_lt_u32 s12, 0x8000000
	v_mov_b32_e32 v3, 0x7800000
	v_add_f32_e64 v2, s10, -0.5
	v_mul_f32_e32 v3, s13, v3
	s_cselect_b64 vcc, -1, 0
	v_cndmask_b32_e32 v2, v3, v2, vcc
	s_lshl_b32 s10, s11, 24
	s_and_b32 s10, s10, 0x80000000
	v_readfirstlane_b32 s12, v2
	s_or_b32 s10, s10, s12
	s_and_b32 s12, s10, 0x7fffffff
	s_cmp_gt_u32 s12, 0x437fffff
	v_mov_b32_e32 v3, 0x80
	s_cbranch_scc1 .LBB118_722
; %bb.698:
	s_cmp_gt_u32 s12, 0x3bffffff
	s_cbranch_scc0 .LBB118_717
; %bb.699:
	v_bfe_u32 v2, v2, 20, 1
	v_add_u32_e32 v2, s10, v2
	v_add_u32_e32 v2, 0x487ffff, v2
	v_lshrrev_b32_e32 v2, 20, v2
	s_mov_b64 s[14:15], 0
	s_mov_b64 s[12:13], -1
	s_branch .LBB118_718
.LBB118_700:
	s_mov_b64 s[8:9], 0
	s_mov_b64 s[0:1], -1
	s_branch .LBB118_803
.LBB118_701:
	s_trap 2
	s_or_b64 s[6:7], s[6:7], exec
	s_cbranch_execz .LBB118_601
	s_branch .LBB118_602
.LBB118_702:
	s_mov_b64 s[18:19], -1
	s_mov_b64 s[16:17], 0
                                        ; implicit-def: $vgpr3
.LBB118_703:
	s_andn2_b64 vcc, exec, s[18:19]
                                        ; implicit-def: $sgpr18
	s_cbranch_vccnz .LBB118_705
; %bb.704:
	v_mov_b32_e32 v3, 0x46000000
	v_add_f32_e64 v3, |s20|, v3
	v_and_b32_e32 v3, 0xff, v3
	s_mov_b32 s18, 0
	v_cmp_ne_u32_e64 s[16:17], 0, v3
.LBB118_705:
	s_andn2_b64 vcc, exec, s[16:17]
	v_mov_b32_e32 v4, s18
	s_cbranch_vccnz .LBB118_707
; %bb.706:
	s_lshr_b32 s16, s20, 24
	s_and_b32 s16, s16, 0x80
	v_or_b32_e32 v4, s16, v3
.LBB118_707:
	global_store_byte v[0:1], v4, off
.LBB118_708:
	s_mov_b64 s[16:17], -1
.LBB118_709:
	s_mov_b64 s[18:19], 0
.LBB118_710:
	s_and_b64 vcc, exec, s[18:19]
	s_cbranch_vccz .LBB118_760
; %bb.711:
	v_cmp_lt_i16_e32 vcc, 22, v10
	s_mov_b64 s[14:15], -1
	s_cbranch_vccz .LBB118_753
; %bb.712:
	v_cmp_gt_i16_e32 vcc, 24, v10
	s_cbranch_vccnz .LBB118_750
; %bb.713:
	v_cmp_lt_i16_e32 vcc, 24, v10
	s_cbranch_vccz .LBB118_737
; %bb.714:
	s_lshl_b32 s14, s11, 8
	s_lshl_b32 s15, s11, 25
	s_lshr_b32 s16, s15, 4
	s_and_b32 s14, s14, 0x7f00
	s_or_b32 s16, s16, 0x70000000
	s_or_b32 s14, s14, 0.5
	s_cmp_lt_u32 s15, 0x8000000
	v_mov_b32_e32 v4, 0x7800000
	v_add_f32_e64 v3, s14, -0.5
	v_mul_f32_e32 v4, s16, v4
	s_cselect_b64 vcc, -1, 0
	v_cndmask_b32_e32 v3, v4, v3, vcc
	s_lshl_b32 s14, s11, 24
	s_and_b32 s14, s14, 0x80000000
	v_readfirstlane_b32 s15, v3
	s_or_b32 s18, s14, s15
	s_and_b32 s14, s18, 0x7fffffff
	s_cmp_gt_u32 s14, 0x477fffff
	v_mov_b32_e32 v4, 0x80
	s_cbranch_scc1 .LBB118_736
; %bb.715:
	s_cmp_gt_u32 s14, 0x37ffffff
	s_cbranch_scc0 .LBB118_731
; %bb.716:
	v_bfe_u32 v3, v3, 21, 1
	v_add_u32_e32 v3, s18, v3
	v_add_u32_e32 v3, 0x88fffff, v3
	v_lshrrev_b32_e32 v3, 21, v3
	s_mov_b64 s[16:17], 0
	s_mov_b64 s[14:15], -1
	s_branch .LBB118_732
.LBB118_717:
	s_mov_b64 s[14:15], -1
	s_mov_b64 s[12:13], 0
                                        ; implicit-def: $vgpr2
.LBB118_718:
	s_andn2_b64 vcc, exec, s[14:15]
                                        ; implicit-def: $sgpr14
	s_cbranch_vccnz .LBB118_720
; %bb.719:
	v_mov_b32_e32 v2, 0x46000000
	v_add_f32_e64 v2, |s10|, v2
	v_and_b32_e32 v2, 0xff, v2
	s_mov_b32 s14, 0
	v_cmp_ne_u32_e64 s[12:13], 0, v2
.LBB118_720:
	s_andn2_b64 vcc, exec, s[12:13]
	v_mov_b32_e32 v3, s14
	s_cbranch_vccnz .LBB118_722
; %bb.721:
	s_lshr_b32 s10, s10, 24
	s_and_b32 s10, s10, 0x80
	v_or_b32_e32 v3, s10, v2
.LBB118_722:
	global_store_byte v[0:1], v3, off
.LBB118_723:
	s_mov_b64 s[12:13], 0
.LBB118_724:
	s_and_b64 vcc, exec, s[12:13]
	s_cbranch_vccz .LBB118_874
; %bb.725:
	v_cmp_lt_i16_e32 vcc, 22, v10
	s_mov_b64 s[8:9], -1
	s_cbranch_vccz .LBB118_867
; %bb.726:
	v_cmp_gt_i16_e32 vcc, 24, v10
	s_cbranch_vccnz .LBB118_864
; %bb.727:
	v_cmp_lt_i16_e32 vcc, 24, v10
	s_cbranch_vccz .LBB118_851
; %bb.728:
	s_lshl_b32 s8, s11, 8
	s_lshl_b32 s9, s11, 25
	s_lshr_b32 s10, s9, 4
	s_and_b32 s8, s8, 0x7f00
	s_or_b32 s10, s10, 0x70000000
	s_or_b32 s8, s8, 0.5
	s_cmp_lt_u32 s9, 0x8000000
	v_mov_b32_e32 v3, 0x7800000
	v_add_f32_e64 v2, s8, -0.5
	v_mul_f32_e32 v3, s10, v3
	s_cselect_b64 vcc, -1, 0
	v_cndmask_b32_e32 v2, v3, v2, vcc
	s_lshl_b32 s8, s11, 24
	s_and_b32 s8, s8, 0x80000000
	v_readfirstlane_b32 s9, v2
	s_or_b32 s10, s8, s9
	s_and_b32 s8, s10, 0x7fffffff
	s_cmp_gt_u32 s8, 0x477fffff
	v_mov_b32_e32 v3, 0x80
	s_cbranch_scc1 .LBB118_850
; %bb.729:
	s_cmp_gt_u32 s8, 0x37ffffff
	s_cbranch_scc0 .LBB118_845
; %bb.730:
	v_bfe_u32 v2, v2, 21, 1
	v_add_u32_e32 v2, s10, v2
	v_add_u32_e32 v2, 0x88fffff, v2
	v_lshrrev_b32_e32 v2, 21, v2
	s_mov_b64 s[12:13], 0
	s_mov_b64 s[8:9], -1
	s_branch .LBB118_846
.LBB118_731:
	s_mov_b64 s[16:17], -1
	s_mov_b64 s[14:15], 0
                                        ; implicit-def: $vgpr3
.LBB118_732:
	s_andn2_b64 vcc, exec, s[16:17]
                                        ; implicit-def: $sgpr16
	s_cbranch_vccnz .LBB118_734
; %bb.733:
	v_mov_b32_e32 v3, 0x42800000
	v_add_f32_e64 v3, |s18|, v3
	v_and_b32_e32 v3, 0xff, v3
	s_mov_b32 s16, 0
	v_cmp_ne_u32_e64 s[14:15], 0, v3
.LBB118_734:
	s_andn2_b64 vcc, exec, s[14:15]
	v_mov_b32_e32 v4, s16
	s_cbranch_vccnz .LBB118_736
; %bb.735:
	s_lshr_b32 s14, s18, 24
	s_and_b32 s14, s14, 0x80
	v_or_b32_e32 v4, s14, v3
.LBB118_736:
	s_mov_b64 s[14:15], 0
	global_store_byte v[0:1], v4, off
.LBB118_737:
	s_and_b64 vcc, exec, s[14:15]
	s_cbranch_vccz .LBB118_749
; %bb.738:
	s_lshl_b32 s14, s11, 8
	s_lshl_b32 s15, s11, 25
	s_lshr_b32 s16, s15, 4
	s_and_b32 s14, s14, 0x7f00
	s_or_b32 s16, s16, 0x70000000
	s_or_b32 s14, s14, 0.5
	s_cmp_lt_u32 s15, 0x8000000
	v_mov_b32_e32 v4, 0x7800000
	v_add_f32_e64 v3, s14, -0.5
	v_mul_f32_e32 v4, s16, v4
	s_cselect_b64 vcc, -1, 0
	v_cndmask_b32_e32 v3, v4, v3, vcc
	s_lshl_b32 s15, s11, 24
	v_readfirstlane_b32 s14, v3
	s_and_b32 s15, s15, 0x80000000
	s_or_b32 s16, s15, s14
	s_and_b32 s17, s16, 0x7fffffff
	s_cmp_lt_u32 s17, 0x43f00000
	s_cbranch_scc0 .LBB118_741
; %bb.739:
	s_cmp_gt_u32 s17, 0x3c7fffff
	s_cbranch_scc0 .LBB118_742
; %bb.740:
	s_bfe_u32 s14, s14, 0x10014
	s_add_i32 s14, s16, s14
	s_add_i32 s14, s14, 0x407ffff
	s_lshr_b32 s15, s14, 20
	s_and_b32 s14, s14, 0xff00000
	s_cmp_lg_u32 s14, 0x7f00000
	s_cselect_b32 s18, s15, 0x7e
	s_mov_b64 s[14:15], 0
	s_branch .LBB118_743
.LBB118_741:
	s_mov_b64 s[14:15], -1
                                        ; implicit-def: $vgpr3
	s_branch .LBB118_746
.LBB118_742:
	s_mov_b64 s[14:15], -1
                                        ; implicit-def: $sgpr18
.LBB118_743:
	s_andn2_b64 vcc, exec, s[14:15]
	v_mov_b32_e32 v3, s18
	s_cbranch_vccnz .LBB118_745
; %bb.744:
	v_mov_b32_e32 v3, 0x46800000
	v_add_f32_e64 v3, |s16|, v3
.LBB118_745:
	s_mov_b64 s[14:15], 0
.LBB118_746:
	s_andn2_b64 vcc, exec, s[14:15]
	s_cbranch_vccnz .LBB118_748
; %bb.747:
	s_cmp_gt_u32 s17, 0x7f800000
	s_movk_i32 s14, 0x7f
	s_cselect_b32 s14, s14, 0x7e
	v_mov_b32_e32 v3, s14
.LBB118_748:
	s_lshr_b32 s14, s16, 24
	s_and_b32 s14, s14, 0x80
	v_or_b32_e32 v3, s14, v3
	global_store_byte v[0:1], v3, off
.LBB118_749:
	s_mov_b64 s[14:15], 0
.LBB118_750:
	s_andn2_b64 vcc, exec, s[14:15]
	s_cbranch_vccnz .LBB118_752
; %bb.751:
	v_mov_b32_e32 v3, s11
	global_store_byte v[0:1], v3, off
.LBB118_752:
	s_mov_b64 s[14:15], 0
	s_mov_b64 s[16:17], -1
.LBB118_753:
	s_andn2_b64 vcc, exec, s[14:15]
	s_mov_b64 s[14:15], 0
	s_cbranch_vccnz .LBB118_760
; %bb.754:
	v_cmp_lt_i16_e32 vcc, 14, v10
	s_mov_b64 s[18:19], -1
	s_cbranch_vccz .LBB118_758
; %bb.755:
	v_cmp_eq_u16_e32 vcc, 15, v10
	s_mov_b64 s[12:13], -1
	s_cbranch_vccz .LBB118_757
; %bb.756:
	s_lshl_b32 s12, s11, 8
	s_lshl_b32 s13, s11, 25
	s_lshr_b32 s14, s13, 4
	s_and_b32 s12, s12, 0x7f00
	s_or_b32 s14, s14, 0x70000000
	s_or_b32 s12, s12, 0.5
	s_cmp_lt_u32 s13, 0x8000000
	v_mov_b32_e32 v4, 0x7800000
	v_add_f32_e64 v3, s12, -0.5
	v_mul_f32_e32 v4, s14, v4
	s_cselect_b64 vcc, -1, 0
	s_lshl_b32 s12, s11, 24
	v_cndmask_b32_e32 v3, v4, v3, vcc
	s_and_b32 s12, s12, 0x80000000
	v_or_b32_e32 v4, s12, v3
	v_bfe_u32 v3, v3, 16, 1
	v_add_u32_e32 v3, v4, v3
	v_add_u32_e32 v3, 0x7fff, v3
	v_lshrrev_b32_e32 v3, 16, v3
	v_mov_b32_e32 v5, 0x7fc0
	v_cmp_o_f32_e32 vcc, v4, v4
	v_cndmask_b32_e32 v3, v5, v3, vcc
	global_store_short v[0:1], v3, off
	s_mov_b64 s[12:13], 0
	s_mov_b64 s[16:17], -1
.LBB118_757:
	s_mov_b64 s[18:19], 0
.LBB118_758:
	s_mov_b64 s[14:15], 0
	s_and_b64 vcc, exec, s[18:19]
	s_cbranch_vccz .LBB118_760
; %bb.759:
	v_cmp_ne_u16_e64 s[12:13], 11, v10
	s_mov_b64 s[14:15], -1
.LBB118_760:
	s_and_b64 vcc, exec, s[12:13]
	s_cbranch_vccnz .LBB118_844
; %bb.761:
	s_andn2_b64 vcc, exec, s[14:15]
	s_cbranch_vccnz .LBB118_763
.LBB118_762:
	s_lshl_b32 s12, s11, 8
	s_lshl_b32 s13, s11, 25
	s_lshr_b32 s14, s13, 4
	s_and_b32 s12, s12, 0x7f00
	s_or_b32 s14, s14, 0x70000000
	s_or_b32 s12, s12, 0.5
	s_cmp_lt_u32 s13, 0x8000000
	v_mov_b32_e32 v4, 0x7800000
	v_add_f32_e64 v3, s12, -0.5
	v_mul_f32_e32 v4, s14, v4
	s_cselect_b64 vcc, -1, 0
	v_cndmask_b32_e32 v3, v4, v3, vcc
	v_cmp_neq_f32_e32 vcc, 0, v3
	v_cndmask_b32_e64 v3, 0, 1, vcc
	s_mov_b64 s[16:17], -1
	global_store_byte v[0:1], v3, off
.LBB118_763:
	s_branch .LBB118_670
.LBB118_764:
	v_cmp_gt_i16_e32 vcc, 5, v10
	s_mov_b64 s[12:13], -1
	s_cbranch_vccnz .LBB118_785
; %bb.765:
	v_cmp_gt_i16_e32 vcc, 8, v10
	s_cbranch_vccnz .LBB118_775
; %bb.766:
	v_cmp_gt_i16_e32 vcc, 9, v10
	s_cbranch_vccnz .LBB118_772
; %bb.767:
	v_cmp_lt_i16_e32 vcc, 9, v10
	s_cbranch_vccz .LBB118_769
; %bb.768:
	s_lshl_b32 s12, s11, 8
	s_lshl_b32 s13, s11, 25
	s_lshr_b32 s14, s13, 4
	s_and_b32 s12, s12, 0x7f00
	s_or_b32 s14, s14, 0x70000000
	s_or_b32 s12, s12, 0.5
	s_cmp_lt_u32 s13, 0x8000000
	v_mov_b32_e32 v4, 0x7800000
	v_add_f32_e64 v3, s12, -0.5
	v_mul_f32_e32 v4, s14, v4
	s_cselect_b64 vcc, -1, 0
	s_lshl_b32 s12, s11, 24
	v_cndmask_b32_e32 v3, v4, v3, vcc
	s_and_b32 s12, s12, 0x80000000
	v_or_b32_e32 v3, s12, v3
	v_mov_b32_e32 v6, 0
	v_cvt_f64_f32_e32 v[4:5], v3
	v_mov_b32_e32 v7, v6
	global_store_dwordx4 v[0:1], v[4:7], off
	s_mov_b64 s[12:13], 0
.LBB118_769:
	s_andn2_b64 vcc, exec, s[12:13]
	s_cbranch_vccnz .LBB118_771
; %bb.770:
	s_lshl_b32 s12, s11, 8
	s_lshl_b32 s13, s11, 25
	s_lshr_b32 s14, s13, 4
	s_and_b32 s12, s12, 0x7f00
	s_or_b32 s14, s14, 0x70000000
	s_or_b32 s12, s12, 0.5
	s_cmp_lt_u32 s13, 0x8000000
	v_mov_b32_e32 v4, 0x7800000
	v_add_f32_e64 v3, s12, -0.5
	v_mul_f32_e32 v4, s14, v4
	s_cselect_b64 vcc, -1, 0
	s_lshl_b32 s12, s11, 24
	v_cndmask_b32_e32 v3, v4, v3, vcc
	s_and_b32 s12, s12, 0x80000000
	v_or_b32_e32 v4, s12, v3
	v_mov_b32_e32 v5, 0
	global_store_dwordx2 v[0:1], v[4:5], off
.LBB118_771:
	s_mov_b64 s[12:13], 0
.LBB118_772:
	s_andn2_b64 vcc, exec, s[12:13]
	s_cbranch_vccnz .LBB118_774
; %bb.773:
	s_lshl_b32 s12, s11, 8
	s_lshl_b32 s13, s11, 25
	s_lshr_b32 s14, s13, 4
	s_and_b32 s12, s12, 0x7f00
	s_or_b32 s14, s14, 0x70000000
	s_or_b32 s12, s12, 0.5
	s_cmp_lt_u32 s13, 0x8000000
	v_mov_b32_e32 v4, 0x7800000
	v_add_f32_e64 v3, s12, -0.5
	v_mul_f32_e32 v4, s14, v4
	s_cselect_b64 vcc, -1, 0
	s_lshl_b32 s12, s11, 24
	v_cndmask_b32_e32 v3, v4, v3, vcc
	s_and_b32 s12, s12, 0x80000000
	v_or_b32_e32 v3, s12, v3
	v_cvt_f16_f32_e32 v3, v3
	global_store_dword v[0:1], v3, off
.LBB118_774:
	s_mov_b64 s[12:13], 0
.LBB118_775:
	s_andn2_b64 vcc, exec, s[12:13]
	s_cbranch_vccnz .LBB118_784
; %bb.776:
	v_cmp_gt_i16_e32 vcc, 6, v10
	s_mov_b64 s[12:13], -1
	s_cbranch_vccnz .LBB118_782
; %bb.777:
	v_cmp_lt_i16_e32 vcc, 6, v10
	s_cbranch_vccz .LBB118_779
; %bb.778:
	s_lshl_b32 s12, s11, 8
	s_lshl_b32 s13, s11, 25
	s_lshr_b32 s14, s13, 4
	s_and_b32 s12, s12, 0x7f00
	s_or_b32 s14, s14, 0x70000000
	s_or_b32 s12, s12, 0.5
	s_cmp_lt_u32 s13, 0x8000000
	v_mov_b32_e32 v4, 0x7800000
	v_add_f32_e64 v3, s12, -0.5
	v_mul_f32_e32 v4, s14, v4
	s_cselect_b64 vcc, -1, 0
	s_lshl_b32 s12, s11, 24
	v_cndmask_b32_e32 v3, v4, v3, vcc
	s_and_b32 s12, s12, 0x80000000
	v_or_b32_e32 v3, s12, v3
	v_cvt_f64_f32_e32 v[4:5], v3
	global_store_dwordx2 v[0:1], v[4:5], off
	s_mov_b64 s[12:13], 0
.LBB118_779:
	s_andn2_b64 vcc, exec, s[12:13]
	s_cbranch_vccnz .LBB118_781
; %bb.780:
	s_lshl_b32 s12, s11, 8
	s_lshl_b32 s13, s11, 25
	s_lshr_b32 s14, s13, 4
	s_and_b32 s12, s12, 0x7f00
	s_or_b32 s14, s14, 0x70000000
	s_or_b32 s12, s12, 0.5
	s_cmp_lt_u32 s13, 0x8000000
	v_mov_b32_e32 v4, 0x7800000
	v_add_f32_e64 v3, s12, -0.5
	v_mul_f32_e32 v4, s14, v4
	s_cselect_b64 vcc, -1, 0
	s_lshl_b32 s12, s11, 24
	v_cndmask_b32_e32 v3, v4, v3, vcc
	s_and_b32 s12, s12, 0x80000000
	v_or_b32_e32 v3, s12, v3
	global_store_dword v[0:1], v3, off
.LBB118_781:
	s_mov_b64 s[12:13], 0
.LBB118_782:
	s_andn2_b64 vcc, exec, s[12:13]
	s_cbranch_vccnz .LBB118_784
; %bb.783:
	s_lshl_b32 s12, s11, 8
	s_lshl_b32 s13, s11, 25
	s_lshr_b32 s14, s13, 4
	s_and_b32 s12, s12, 0x7f00
	s_or_b32 s14, s14, 0x70000000
	s_or_b32 s12, s12, 0.5
	s_cmp_lt_u32 s13, 0x8000000
	v_mov_b32_e32 v4, 0x7800000
	v_add_f32_e64 v3, s12, -0.5
	v_mul_f32_e32 v4, s14, v4
	s_cselect_b64 vcc, -1, 0
	s_lshl_b32 s12, s11, 24
	v_cndmask_b32_e32 v3, v4, v3, vcc
	s_and_b32 s12, s12, 0x80000000
	v_or_b32_e32 v3, s12, v3
	v_cvt_f16_f32_e32 v3, v3
	global_store_short v[0:1], v3, off
.LBB118_784:
	s_mov_b64 s[12:13], 0
.LBB118_785:
	s_andn2_b64 vcc, exec, s[12:13]
	s_cbranch_vccnz .LBB118_801
; %bb.786:
	v_cmp_gt_i16_e32 vcc, 2, v10
	s_mov_b64 s[12:13], -1
	s_cbranch_vccnz .LBB118_796
; %bb.787:
	v_cmp_gt_i16_e32 vcc, 3, v10
	s_cbranch_vccnz .LBB118_793
; %bb.788:
	v_cmp_lt_i16_e32 vcc, 3, v10
	s_cbranch_vccz .LBB118_790
; %bb.789:
	s_lshl_b32 s12, s11, 8
	s_lshl_b32 s13, s11, 25
	s_lshr_b32 s14, s13, 4
	s_and_b32 s12, s12, 0x7f00
	s_or_b32 s14, s14, 0x70000000
	s_or_b32 s12, s12, 0.5
	s_cmp_lt_u32 s13, 0x8000000
	v_mov_b32_e32 v4, 0x7800000
	v_add_f32_e64 v3, s12, -0.5
	v_mul_f32_e32 v4, s14, v4
	s_cselect_b64 vcc, -1, 0
	s_lshl_b32 s12, s11, 24
	v_cndmask_b32_e32 v3, v4, v3, vcc
	s_and_b32 s12, s12, 0x80000000
	v_or_b32_e32 v3, s12, v3
	v_trunc_f32_e32 v3, v3
	s_mov_b32 s12, 0x2f800000
	v_mul_f32_e64 v4, |v3|, s12
	v_floor_f32_e32 v4, v4
	s_mov_b32 s12, 0xcf800000
	v_fma_f32 v5, v4, s12, |v3|
	v_cvt_u32_f32_e32 v5, v5
	v_cvt_u32_f32_e32 v4, v4
	v_ashrrev_i32_e32 v3, 31, v3
	s_mov_b64 s[12:13], 0
	v_xor_b32_e32 v5, v5, v3
	v_xor_b32_e32 v6, v4, v3
	v_sub_co_u32_e32 v4, vcc, v5, v3
	v_subb_co_u32_e32 v5, vcc, v6, v3, vcc
	global_store_dwordx2 v[0:1], v[4:5], off
.LBB118_790:
	s_andn2_b64 vcc, exec, s[12:13]
	s_cbranch_vccnz .LBB118_792
; %bb.791:
	s_lshl_b32 s12, s11, 8
	s_lshl_b32 s13, s11, 25
	s_lshr_b32 s14, s13, 4
	s_and_b32 s12, s12, 0x7f00
	s_or_b32 s14, s14, 0x70000000
	s_or_b32 s12, s12, 0.5
	s_cmp_lt_u32 s13, 0x8000000
	v_mov_b32_e32 v4, 0x7800000
	v_add_f32_e64 v3, s12, -0.5
	v_mul_f32_e32 v4, s14, v4
	s_cselect_b64 vcc, -1, 0
	s_lshl_b32 s12, s11, 24
	v_cndmask_b32_e32 v3, v4, v3, vcc
	s_and_b32 s12, s12, 0x80000000
	v_or_b32_e32 v3, s12, v3
	v_cvt_i32_f32_e32 v3, v3
	global_store_dword v[0:1], v3, off
.LBB118_792:
	s_mov_b64 s[12:13], 0
.LBB118_793:
	s_andn2_b64 vcc, exec, s[12:13]
	s_cbranch_vccnz .LBB118_795
; %bb.794:
	s_lshl_b32 s12, s11, 8
	s_lshl_b32 s13, s11, 25
	s_lshr_b32 s14, s13, 4
	s_and_b32 s12, s12, 0x7f00
	s_or_b32 s14, s14, 0x70000000
	s_or_b32 s12, s12, 0.5
	s_cmp_lt_u32 s13, 0x8000000
	v_mov_b32_e32 v4, 0x7800000
	v_add_f32_e64 v3, s12, -0.5
	v_mul_f32_e32 v4, s14, v4
	s_cselect_b64 vcc, -1, 0
	s_lshl_b32 s12, s11, 24
	v_cndmask_b32_e32 v3, v4, v3, vcc
	s_and_b32 s12, s12, 0x80000000
	v_or_b32_e32 v3, s12, v3
	v_cvt_i32_f32_e32 v3, v3
	global_store_short v[0:1], v3, off
.LBB118_795:
	s_mov_b64 s[12:13], 0
.LBB118_796:
	s_andn2_b64 vcc, exec, s[12:13]
	s_cbranch_vccnz .LBB118_801
; %bb.797:
	v_cmp_lt_i16_e32 vcc, 0, v10
	s_mov_b64 s[12:13], -1
	s_cbranch_vccz .LBB118_799
; %bb.798:
	s_lshl_b32 s12, s11, 8
	s_lshl_b32 s13, s11, 25
	s_lshr_b32 s14, s13, 4
	s_and_b32 s12, s12, 0x7f00
	s_or_b32 s14, s14, 0x70000000
	s_or_b32 s12, s12, 0.5
	s_cmp_lt_u32 s13, 0x8000000
	v_mov_b32_e32 v4, 0x7800000
	v_add_f32_e64 v3, s12, -0.5
	v_mul_f32_e32 v4, s14, v4
	s_cselect_b64 vcc, -1, 0
	s_lshl_b32 s12, s11, 24
	v_cndmask_b32_e32 v3, v4, v3, vcc
	s_and_b32 s12, s12, 0x80000000
	v_or_b32_e32 v3, s12, v3
	v_cvt_i32_f32_e32 v3, v3
	s_mov_b64 s[12:13], 0
	global_store_byte v[0:1], v3, off
.LBB118_799:
	s_andn2_b64 vcc, exec, s[12:13]
	s_cbranch_vccnz .LBB118_801
; %bb.800:
	s_lshl_b32 s12, s11, 8
	s_lshl_b32 s13, s11, 25
	s_lshr_b32 s14, s13, 4
	s_and_b32 s12, s12, 0x7f00
	s_or_b32 s14, s14, 0x70000000
	s_or_b32 s12, s12, 0.5
	s_cmp_lt_u32 s13, 0x8000000
	v_mov_b32_e32 v4, 0x7800000
	v_add_f32_e64 v3, s12, -0.5
	v_mul_f32_e32 v4, s14, v4
	s_cselect_b64 vcc, -1, 0
	s_lshl_b32 s12, s11, 24
	v_cndmask_b32_e32 v3, v4, v3, vcc
	s_and_b32 s12, s12, 0x80000000
	v_or_b32_e32 v3, s12, v3
	v_trunc_f32_e32 v3, v3
	s_mov_b32 s12, 0x2f800000
	v_mul_f32_e64 v4, |v3|, s12
	v_floor_f32_e32 v4, v4
	s_mov_b32 s12, 0xcf800000
	v_fma_f32 v4, v4, s12, |v3|
	v_cvt_u32_f32_e32 v4, v4
	v_ashrrev_i32_e32 v3, 31, v3
	v_xor_b32_e32 v4, v4, v3
	v_sub_u32_e32 v3, v4, v3
	global_store_byte v[0:1], v3, off
.LBB118_801:
	s_branch .LBB118_671
.LBB118_802:
	s_mov_b64 s[0:1], 0
	s_mov_b64 s[8:9], 0
                                        ; implicit-def: $vgpr10
                                        ; implicit-def: $vgpr0_vgpr1
.LBB118_803:
	s_andn2_b64 s[2:3], s[2:3], exec
	s_and_b64 s[6:7], s[6:7], exec
	s_and_b64 s[0:1], s[0:1], exec
	;; [unrolled: 1-line block ×3, first 2 shown]
	s_or_b64 s[2:3], s[2:3], s[6:7]
	s_or_b64 exec, exec, s[4:5]
	s_and_saveexec_b64 s[4:5], s[2:3]
	s_cbranch_execnz .LBB118_434
.LBB118_804:
	s_or_b64 exec, exec, s[4:5]
	s_and_saveexec_b64 s[2:3], s[12:13]
	s_xor_b64 s[2:3], exec, s[2:3]
	s_cbranch_execz .LBB118_435
.LBB118_805:
	s_lshl_b32 s4, s11, 8
	s_lshl_b32 s5, s11, 25
	s_lshr_b32 s6, s5, 4
	s_and_b32 s4, s4, 0x7f00
	s_or_b32 s6, s6, 0x70000000
	s_or_b32 s4, s4, 0.5
	s_cmp_lt_u32 s5, 0x8000000
	v_mov_b32_e32 v3, 0x7800000
	v_add_f32_e64 v2, s4, -0.5
	v_mul_f32_e32 v3, s6, v3
	s_cselect_b64 vcc, -1, 0
	v_cndmask_b32_e32 v2, v3, v2, vcc
	v_cmp_neq_f32_e32 vcc, 0, v2
	v_cndmask_b32_e64 v2, 0, 1, vcc
	global_store_byte v[0:1], v2, off
	s_or_b64 exec, exec, s[2:3]
	s_and_saveexec_b64 s[2:3], s[0:1]
	s_cbranch_execz .LBB118_843
.LBB118_806:
	v_cmp_gt_i16_e32 vcc, 5, v10
	s_mov_b64 s[0:1], -1
	s_cbranch_vccnz .LBB118_827
; %bb.807:
	v_cmp_gt_i16_e32 vcc, 8, v10
	s_cbranch_vccnz .LBB118_817
; %bb.808:
	v_cmp_gt_i16_e32 vcc, 9, v10
	s_cbranch_vccnz .LBB118_814
; %bb.809:
	v_cmp_lt_i16_e32 vcc, 9, v10
	s_cbranch_vccz .LBB118_811
; %bb.810:
	s_lshl_b32 s0, s11, 8
	s_lshl_b32 s1, s11, 25
	s_lshr_b32 s2, s1, 4
	s_and_b32 s0, s0, 0x7f00
	s_or_b32 s2, s2, 0x70000000
	s_or_b32 s0, s0, 0.5
	s_cmp_lt_u32 s1, 0x8000000
	v_mov_b32_e32 v3, 0x7800000
	v_add_f32_e64 v2, s0, -0.5
	v_mul_f32_e32 v3, s2, v3
	s_cselect_b64 vcc, -1, 0
	s_lshl_b32 s0, s11, 24
	v_cndmask_b32_e32 v2, v3, v2, vcc
	s_and_b32 s0, s0, 0x80000000
	v_or_b32_e32 v2, s0, v2
	v_mov_b32_e32 v4, 0
	v_cvt_f64_f32_e32 v[2:3], v2
	v_mov_b32_e32 v5, v4
	global_store_dwordx4 v[0:1], v[2:5], off
	s_mov_b64 s[0:1], 0
.LBB118_811:
	s_andn2_b64 vcc, exec, s[0:1]
	s_cbranch_vccnz .LBB118_813
; %bb.812:
	s_lshl_b32 s0, s11, 8
	s_lshl_b32 s1, s11, 25
	s_lshr_b32 s2, s1, 4
	s_and_b32 s0, s0, 0x7f00
	s_or_b32 s2, s2, 0x70000000
	s_or_b32 s0, s0, 0.5
	s_cmp_lt_u32 s1, 0x8000000
	v_mov_b32_e32 v3, 0x7800000
	v_add_f32_e64 v2, s0, -0.5
	v_mul_f32_e32 v3, s2, v3
	s_cselect_b64 vcc, -1, 0
	s_lshl_b32 s0, s11, 24
	v_cndmask_b32_e32 v2, v3, v2, vcc
	s_and_b32 s0, s0, 0x80000000
	v_or_b32_e32 v2, s0, v2
	v_mov_b32_e32 v3, 0
	global_store_dwordx2 v[0:1], v[2:3], off
.LBB118_813:
	s_mov_b64 s[0:1], 0
.LBB118_814:
	s_andn2_b64 vcc, exec, s[0:1]
	s_cbranch_vccnz .LBB118_816
; %bb.815:
	s_lshl_b32 s0, s11, 8
	s_lshl_b32 s1, s11, 25
	s_lshr_b32 s2, s1, 4
	s_and_b32 s0, s0, 0x7f00
	s_or_b32 s2, s2, 0x70000000
	s_or_b32 s0, s0, 0.5
	s_cmp_lt_u32 s1, 0x8000000
	v_mov_b32_e32 v3, 0x7800000
	v_add_f32_e64 v2, s0, -0.5
	v_mul_f32_e32 v3, s2, v3
	s_cselect_b64 vcc, -1, 0
	s_lshl_b32 s0, s11, 24
	v_cndmask_b32_e32 v2, v3, v2, vcc
	s_and_b32 s0, s0, 0x80000000
	v_or_b32_e32 v2, s0, v2
	v_cvt_f16_f32_e32 v2, v2
	global_store_dword v[0:1], v2, off
.LBB118_816:
	s_mov_b64 s[0:1], 0
.LBB118_817:
	s_andn2_b64 vcc, exec, s[0:1]
	s_cbranch_vccnz .LBB118_826
; %bb.818:
	v_cmp_gt_i16_e32 vcc, 6, v10
	s_mov_b64 s[0:1], -1
	s_cbranch_vccnz .LBB118_824
; %bb.819:
	v_cmp_lt_i16_e32 vcc, 6, v10
	s_cbranch_vccz .LBB118_821
; %bb.820:
	s_lshl_b32 s0, s11, 8
	s_lshl_b32 s1, s11, 25
	s_lshr_b32 s2, s1, 4
	s_and_b32 s0, s0, 0x7f00
	s_or_b32 s2, s2, 0x70000000
	s_or_b32 s0, s0, 0.5
	s_cmp_lt_u32 s1, 0x8000000
	v_mov_b32_e32 v3, 0x7800000
	v_add_f32_e64 v2, s0, -0.5
	v_mul_f32_e32 v3, s2, v3
	s_cselect_b64 vcc, -1, 0
	s_lshl_b32 s0, s11, 24
	v_cndmask_b32_e32 v2, v3, v2, vcc
	s_and_b32 s0, s0, 0x80000000
	v_or_b32_e32 v2, s0, v2
	v_cvt_f64_f32_e32 v[2:3], v2
	global_store_dwordx2 v[0:1], v[2:3], off
	s_mov_b64 s[0:1], 0
.LBB118_821:
	s_andn2_b64 vcc, exec, s[0:1]
	s_cbranch_vccnz .LBB118_823
; %bb.822:
	s_lshl_b32 s0, s11, 8
	s_lshl_b32 s1, s11, 25
	s_lshr_b32 s2, s1, 4
	s_and_b32 s0, s0, 0x7f00
	s_or_b32 s2, s2, 0x70000000
	s_or_b32 s0, s0, 0.5
	s_cmp_lt_u32 s1, 0x8000000
	v_mov_b32_e32 v3, 0x7800000
	v_add_f32_e64 v2, s0, -0.5
	v_mul_f32_e32 v3, s2, v3
	s_cselect_b64 vcc, -1, 0
	s_lshl_b32 s0, s11, 24
	v_cndmask_b32_e32 v2, v3, v2, vcc
	s_and_b32 s0, s0, 0x80000000
	v_or_b32_e32 v2, s0, v2
	global_store_dword v[0:1], v2, off
.LBB118_823:
	s_mov_b64 s[0:1], 0
.LBB118_824:
	s_andn2_b64 vcc, exec, s[0:1]
	s_cbranch_vccnz .LBB118_826
; %bb.825:
	s_lshl_b32 s0, s11, 8
	s_lshl_b32 s1, s11, 25
	s_lshr_b32 s2, s1, 4
	s_and_b32 s0, s0, 0x7f00
	s_or_b32 s2, s2, 0x70000000
	s_or_b32 s0, s0, 0.5
	s_cmp_lt_u32 s1, 0x8000000
	v_mov_b32_e32 v3, 0x7800000
	v_add_f32_e64 v2, s0, -0.5
	v_mul_f32_e32 v3, s2, v3
	s_cselect_b64 vcc, -1, 0
	s_lshl_b32 s0, s11, 24
	v_cndmask_b32_e32 v2, v3, v2, vcc
	s_and_b32 s0, s0, 0x80000000
	v_or_b32_e32 v2, s0, v2
	v_cvt_f16_f32_e32 v2, v2
	global_store_short v[0:1], v2, off
.LBB118_826:
	s_mov_b64 s[0:1], 0
.LBB118_827:
	s_andn2_b64 vcc, exec, s[0:1]
	s_cbranch_vccnz .LBB118_843
; %bb.828:
	v_cmp_gt_i16_e32 vcc, 2, v10
	s_mov_b64 s[0:1], -1
	s_cbranch_vccnz .LBB118_838
; %bb.829:
	v_cmp_gt_i16_e32 vcc, 3, v10
	s_cbranch_vccnz .LBB118_835
; %bb.830:
	v_cmp_lt_i16_e32 vcc, 3, v10
	s_cbranch_vccz .LBB118_832
; %bb.831:
	s_lshl_b32 s0, s11, 8
	s_lshl_b32 s1, s11, 25
	s_lshr_b32 s2, s1, 4
	s_and_b32 s0, s0, 0x7f00
	s_or_b32 s2, s2, 0x70000000
	s_or_b32 s0, s0, 0.5
	s_cmp_lt_u32 s1, 0x8000000
	v_mov_b32_e32 v3, 0x7800000
	v_add_f32_e64 v2, s0, -0.5
	v_mul_f32_e32 v3, s2, v3
	s_cselect_b64 vcc, -1, 0
	s_lshl_b32 s0, s11, 24
	v_cndmask_b32_e32 v2, v3, v2, vcc
	s_and_b32 s0, s0, 0x80000000
	v_or_b32_e32 v2, s0, v2
	v_trunc_f32_e32 v2, v2
	s_mov_b32 s0, 0x2f800000
	v_mul_f32_e64 v3, |v2|, s0
	v_floor_f32_e32 v3, v3
	s_mov_b32 s0, 0xcf800000
	v_fma_f32 v4, v3, s0, |v2|
	v_cvt_u32_f32_e32 v4, v4
	v_cvt_u32_f32_e32 v3, v3
	v_ashrrev_i32_e32 v5, 31, v2
	s_mov_b64 s[0:1], 0
	v_xor_b32_e32 v2, v4, v5
	v_xor_b32_e32 v3, v3, v5
	v_sub_co_u32_e32 v2, vcc, v2, v5
	v_subb_co_u32_e32 v3, vcc, v3, v5, vcc
	global_store_dwordx2 v[0:1], v[2:3], off
.LBB118_832:
	s_andn2_b64 vcc, exec, s[0:1]
	s_cbranch_vccnz .LBB118_834
; %bb.833:
	s_lshl_b32 s0, s11, 8
	s_lshl_b32 s1, s11, 25
	s_lshr_b32 s2, s1, 4
	s_and_b32 s0, s0, 0x7f00
	s_or_b32 s2, s2, 0x70000000
	s_or_b32 s0, s0, 0.5
	s_cmp_lt_u32 s1, 0x8000000
	v_mov_b32_e32 v3, 0x7800000
	v_add_f32_e64 v2, s0, -0.5
	v_mul_f32_e32 v3, s2, v3
	s_cselect_b64 vcc, -1, 0
	s_lshl_b32 s0, s11, 24
	v_cndmask_b32_e32 v2, v3, v2, vcc
	s_and_b32 s0, s0, 0x80000000
	v_or_b32_e32 v2, s0, v2
	v_cvt_i32_f32_e32 v2, v2
	global_store_dword v[0:1], v2, off
.LBB118_834:
	s_mov_b64 s[0:1], 0
.LBB118_835:
	s_andn2_b64 vcc, exec, s[0:1]
	s_cbranch_vccnz .LBB118_837
; %bb.836:
	s_lshl_b32 s0, s11, 8
	s_lshl_b32 s1, s11, 25
	s_lshr_b32 s2, s1, 4
	s_and_b32 s0, s0, 0x7f00
	s_or_b32 s2, s2, 0x70000000
	s_or_b32 s0, s0, 0.5
	s_cmp_lt_u32 s1, 0x8000000
	v_mov_b32_e32 v3, 0x7800000
	v_add_f32_e64 v2, s0, -0.5
	v_mul_f32_e32 v3, s2, v3
	s_cselect_b64 vcc, -1, 0
	s_lshl_b32 s0, s11, 24
	v_cndmask_b32_e32 v2, v3, v2, vcc
	s_and_b32 s0, s0, 0x80000000
	v_or_b32_e32 v2, s0, v2
	v_cvt_i32_f32_e32 v2, v2
	global_store_short v[0:1], v2, off
.LBB118_837:
	s_mov_b64 s[0:1], 0
.LBB118_838:
	s_andn2_b64 vcc, exec, s[0:1]
	s_cbranch_vccnz .LBB118_843
; %bb.839:
	v_cmp_lt_i16_e32 vcc, 0, v10
	s_mov_b64 s[0:1], -1
	s_cbranch_vccz .LBB118_841
; %bb.840:
	s_lshl_b32 s0, s11, 8
	s_lshl_b32 s1, s11, 25
	s_lshr_b32 s2, s1, 4
	s_and_b32 s0, s0, 0x7f00
	s_or_b32 s2, s2, 0x70000000
	s_or_b32 s0, s0, 0.5
	s_cmp_lt_u32 s1, 0x8000000
	v_mov_b32_e32 v3, 0x7800000
	v_add_f32_e64 v2, s0, -0.5
	v_mul_f32_e32 v3, s2, v3
	s_cselect_b64 vcc, -1, 0
	s_lshl_b32 s0, s11, 24
	v_cndmask_b32_e32 v2, v3, v2, vcc
	s_and_b32 s0, s0, 0x80000000
	v_or_b32_e32 v2, s0, v2
	v_cvt_i32_f32_e32 v2, v2
	s_mov_b64 s[0:1], 0
	global_store_byte v[0:1], v2, off
.LBB118_841:
	s_andn2_b64 vcc, exec, s[0:1]
	s_cbranch_vccnz .LBB118_843
; %bb.842:
	s_lshl_b32 s0, s11, 8
	s_lshl_b32 s1, s11, 25
	s_lshr_b32 s2, s1, 4
	s_and_b32 s0, s0, 0x7f00
	s_or_b32 s2, s2, 0x70000000
	s_or_b32 s0, s0, 0.5
	s_cmp_lt_u32 s1, 0x8000000
	v_mov_b32_e32 v3, 0x7800000
	v_add_f32_e64 v2, s0, -0.5
	v_mul_f32_e32 v3, s2, v3
	s_cselect_b64 vcc, -1, 0
	s_lshl_b32 s0, s11, 24
	v_cndmask_b32_e32 v2, v3, v2, vcc
	s_and_b32 s0, s0, 0x80000000
	v_or_b32_e32 v2, s0, v2
	v_trunc_f32_e32 v2, v2
	s_mov_b32 s0, 0x2f800000
	v_mul_f32_e64 v3, |v2|, s0
	v_floor_f32_e32 v3, v3
	s_mov_b32 s0, 0xcf800000
	v_fma_f32 v3, v3, s0, |v2|
	v_cvt_u32_f32_e32 v3, v3
	v_ashrrev_i32_e32 v2, 31, v2
	v_xor_b32_e32 v3, v3, v2
	v_sub_u32_e32 v2, v3, v2
	global_store_byte v[0:1], v2, off
	s_endpgm
.LBB118_843:
	s_endpgm
.LBB118_844:
	s_trap 2
	s_or_b64 s[6:7], s[6:7], exec
	s_cbranch_execz .LBB118_762
	s_branch .LBB118_763
.LBB118_845:
	s_mov_b64 s[12:13], -1
	s_mov_b64 s[8:9], 0
                                        ; implicit-def: $vgpr2
.LBB118_846:
	s_andn2_b64 vcc, exec, s[12:13]
                                        ; implicit-def: $sgpr12
	s_cbranch_vccnz .LBB118_848
; %bb.847:
	v_mov_b32_e32 v2, 0x42800000
	v_add_f32_e64 v2, |s10|, v2
	v_and_b32_e32 v2, 0xff, v2
	s_mov_b32 s12, 0
	v_cmp_ne_u32_e64 s[8:9], 0, v2
.LBB118_848:
	s_andn2_b64 vcc, exec, s[8:9]
	v_mov_b32_e32 v3, s12
	s_cbranch_vccnz .LBB118_850
; %bb.849:
	s_lshr_b32 s8, s10, 24
	s_and_b32 s8, s8, 0x80
	v_or_b32_e32 v3, s8, v2
.LBB118_850:
	s_mov_b64 s[8:9], 0
	global_store_byte v[0:1], v3, off
.LBB118_851:
	s_and_b64 vcc, exec, s[8:9]
	s_cbranch_vccz .LBB118_863
; %bb.852:
	s_lshl_b32 s8, s11, 8
	s_lshl_b32 s9, s11, 25
	s_lshr_b32 s10, s9, 4
	s_and_b32 s8, s8, 0x7f00
	s_or_b32 s10, s10, 0x70000000
	s_or_b32 s8, s8, 0.5
	s_cmp_lt_u32 s9, 0x8000000
	v_mov_b32_e32 v3, 0x7800000
	v_add_f32_e64 v2, s8, -0.5
	v_mul_f32_e32 v3, s10, v3
	s_cselect_b64 vcc, -1, 0
	v_cndmask_b32_e32 v2, v3, v2, vcc
	s_lshl_b32 s9, s11, 24
	v_readfirstlane_b32 s8, v2
	s_and_b32 s9, s9, 0x80000000
	s_or_b32 s10, s9, s8
	s_and_b32 s12, s10, 0x7fffffff
	s_cmp_lt_u32 s12, 0x43f00000
	s_cbranch_scc0 .LBB118_855
; %bb.853:
	s_cmp_gt_u32 s12, 0x3c7fffff
	s_cbranch_scc0 .LBB118_856
; %bb.854:
	s_bfe_u32 s8, s8, 0x10014
	s_add_i32 s8, s10, s8
	s_add_i32 s8, s8, 0x407ffff
	s_lshr_b32 s9, s8, 20
	s_and_b32 s8, s8, 0xff00000
	s_cmp_lg_u32 s8, 0x7f00000
	s_cselect_b32 s13, s9, 0x7e
	s_mov_b64 s[8:9], 0
	s_branch .LBB118_857
.LBB118_855:
	s_mov_b64 s[8:9], -1
                                        ; implicit-def: $vgpr2
	s_branch .LBB118_860
.LBB118_856:
	s_mov_b64 s[8:9], -1
                                        ; implicit-def: $sgpr13
.LBB118_857:
	s_andn2_b64 vcc, exec, s[8:9]
	v_mov_b32_e32 v2, s13
	s_cbranch_vccnz .LBB118_859
; %bb.858:
	v_mov_b32_e32 v2, 0x46800000
	v_add_f32_e64 v2, |s10|, v2
.LBB118_859:
	s_mov_b64 s[8:9], 0
.LBB118_860:
	s_andn2_b64 vcc, exec, s[8:9]
	s_cbranch_vccnz .LBB118_862
; %bb.861:
	s_cmp_gt_u32 s12, 0x7f800000
	s_movk_i32 s8, 0x7f
	s_cselect_b32 s8, s8, 0x7e
	v_mov_b32_e32 v2, s8
.LBB118_862:
	s_lshr_b32 s8, s10, 24
	s_and_b32 s8, s8, 0x80
	v_or_b32_e32 v2, s8, v2
	global_store_byte v[0:1], v2, off
.LBB118_863:
	s_mov_b64 s[8:9], 0
.LBB118_864:
	s_andn2_b64 vcc, exec, s[8:9]
	s_cbranch_vccnz .LBB118_866
; %bb.865:
	v_mov_b32_e32 v2, s11
	global_store_byte v[0:1], v2, off
.LBB118_866:
	s_mov_b64 s[8:9], 0
.LBB118_867:
	s_andn2_b64 vcc, exec, s[8:9]
	s_mov_b64 s[8:9], 0
	s_cbranch_vccnz .LBB118_874
; %bb.868:
	v_cmp_lt_i16_e32 vcc, 14, v10
	s_mov_b64 s[12:13], -1
	s_cbranch_vccz .LBB118_872
; %bb.869:
	v_cmp_eq_u16_e32 vcc, 15, v10
	s_mov_b64 s[0:1], -1
	s_cbranch_vccz .LBB118_871
; %bb.870:
	s_lshl_b32 s0, s11, 8
	s_lshl_b32 s1, s11, 25
	s_lshr_b32 s8, s1, 4
	s_and_b32 s0, s0, 0x7f00
	s_or_b32 s8, s8, 0x70000000
	s_or_b32 s0, s0, 0.5
	s_cmp_lt_u32 s1, 0x8000000
	v_mov_b32_e32 v3, 0x7800000
	v_add_f32_e64 v2, s0, -0.5
	v_mul_f32_e32 v3, s8, v3
	s_cselect_b64 vcc, -1, 0
	s_lshl_b32 s0, s11, 24
	v_cndmask_b32_e32 v2, v3, v2, vcc
	s_and_b32 s0, s0, 0x80000000
	v_or_b32_e32 v3, s0, v2
	v_bfe_u32 v2, v2, 16, 1
	v_add_u32_e32 v2, v3, v2
	v_add_u32_e32 v2, 0x7fff, v2
	v_lshrrev_b32_e32 v2, 16, v2
	v_mov_b32_e32 v4, 0x7fc0
	v_cmp_o_f32_e32 vcc, v3, v3
	v_cndmask_b32_e32 v2, v4, v2, vcc
	global_store_short v[0:1], v2, off
	s_mov_b64 s[0:1], 0
.LBB118_871:
	s_mov_b64 s[12:13], 0
.LBB118_872:
	s_mov_b64 s[8:9], 0
	s_and_b64 vcc, exec, s[12:13]
	s_cbranch_vccz .LBB118_874
; %bb.873:
	v_cmp_ne_u16_e64 s[0:1], 11, v10
	s_mov_b64 s[8:9], -1
.LBB118_874:
	s_and_b64 vcc, exec, s[0:1]
	s_cbranch_vccnz .LBB118_876
.LBB118_875:
	s_mov_b64 s[0:1], 0
	s_branch .LBB118_803
.LBB118_876:
	s_mov_b64 s[8:9], 0
	s_or_b64 s[6:7], s[6:7], exec
	s_trap 2
	s_branch .LBB118_875
	.section	.rodata,"a",@progbits
	.p2align	6, 0x0
	.amdhsa_kernel _ZN2at6native32elementwise_kernel_manual_unrollILi128ELi4EZNS0_15gpu_kernel_implINS0_11FillFunctorIN3c1011Float8_e5m2EEEEEvRNS_18TensorIteratorBaseERKT_EUlibE_EEviT1_
		.amdhsa_group_segment_fixed_size 0
		.amdhsa_private_segment_fixed_size 0
		.amdhsa_kernarg_size 24
		.amdhsa_user_sgpr_count 6
		.amdhsa_user_sgpr_private_segment_buffer 1
		.amdhsa_user_sgpr_dispatch_ptr 0
		.amdhsa_user_sgpr_queue_ptr 0
		.amdhsa_user_sgpr_kernarg_segment_ptr 1
		.amdhsa_user_sgpr_dispatch_id 0
		.amdhsa_user_sgpr_flat_scratch_init 0
		.amdhsa_user_sgpr_kernarg_preload_length 0
		.amdhsa_user_sgpr_kernarg_preload_offset 0
		.amdhsa_user_sgpr_private_segment_size 0
		.amdhsa_uses_dynamic_stack 0
		.amdhsa_system_sgpr_private_segment_wavefront_offset 0
		.amdhsa_system_sgpr_workgroup_id_x 1
		.amdhsa_system_sgpr_workgroup_id_y 0
		.amdhsa_system_sgpr_workgroup_id_z 0
		.amdhsa_system_sgpr_workgroup_info 0
		.amdhsa_system_vgpr_workitem_id 0
		.amdhsa_next_free_vgpr 21
		.amdhsa_next_free_sgpr 53
		.amdhsa_accum_offset 24
		.amdhsa_reserve_vcc 1
		.amdhsa_reserve_flat_scratch 0
		.amdhsa_float_round_mode_32 0
		.amdhsa_float_round_mode_16_64 0
		.amdhsa_float_denorm_mode_32 3
		.amdhsa_float_denorm_mode_16_64 3
		.amdhsa_dx10_clamp 1
		.amdhsa_ieee_mode 1
		.amdhsa_fp16_overflow 0
		.amdhsa_tg_split 0
		.amdhsa_exception_fp_ieee_invalid_op 0
		.amdhsa_exception_fp_denorm_src 0
		.amdhsa_exception_fp_ieee_div_zero 0
		.amdhsa_exception_fp_ieee_overflow 0
		.amdhsa_exception_fp_ieee_underflow 0
		.amdhsa_exception_fp_ieee_inexact 0
		.amdhsa_exception_int_div_zero 0
	.end_amdhsa_kernel
	.section	.text._ZN2at6native32elementwise_kernel_manual_unrollILi128ELi4EZNS0_15gpu_kernel_implINS0_11FillFunctorIN3c1011Float8_e5m2EEEEEvRNS_18TensorIteratorBaseERKT_EUlibE_EEviT1_,"axG",@progbits,_ZN2at6native32elementwise_kernel_manual_unrollILi128ELi4EZNS0_15gpu_kernel_implINS0_11FillFunctorIN3c1011Float8_e5m2EEEEEvRNS_18TensorIteratorBaseERKT_EUlibE_EEviT1_,comdat
.Lfunc_end118:
	.size	_ZN2at6native32elementwise_kernel_manual_unrollILi128ELi4EZNS0_15gpu_kernel_implINS0_11FillFunctorIN3c1011Float8_e5m2EEEEEvRNS_18TensorIteratorBaseERKT_EUlibE_EEviT1_, .Lfunc_end118-_ZN2at6native32elementwise_kernel_manual_unrollILi128ELi4EZNS0_15gpu_kernel_implINS0_11FillFunctorIN3c1011Float8_e5m2EEEEEvRNS_18TensorIteratorBaseERKT_EUlibE_EEviT1_
                                        ; -- End function
	.section	.AMDGPU.csdata,"",@progbits
; Kernel info:
; codeLenInByte = 18796
; NumSgprs: 57
; NumVgprs: 21
; NumAgprs: 0
; TotalNumVgprs: 21
; ScratchSize: 0
; MemoryBound: 0
; FloatMode: 240
; IeeeMode: 1
; LDSByteSize: 0 bytes/workgroup (compile time only)
; SGPRBlocks: 7
; VGPRBlocks: 2
; NumSGPRsForWavesPerEU: 57
; NumVGPRsForWavesPerEU: 21
; AccumOffset: 24
; Occupancy: 8
; WaveLimiterHint : 0
; COMPUTE_PGM_RSRC2:SCRATCH_EN: 0
; COMPUTE_PGM_RSRC2:USER_SGPR: 6
; COMPUTE_PGM_RSRC2:TRAP_HANDLER: 0
; COMPUTE_PGM_RSRC2:TGID_X_EN: 1
; COMPUTE_PGM_RSRC2:TGID_Y_EN: 0
; COMPUTE_PGM_RSRC2:TGID_Z_EN: 0
; COMPUTE_PGM_RSRC2:TIDIG_COMP_CNT: 0
; COMPUTE_PGM_RSRC3_GFX90A:ACCUM_OFFSET: 5
; COMPUTE_PGM_RSRC3_GFX90A:TG_SPLIT: 0
	.section	.text._ZN2at6native32elementwise_kernel_manual_unrollILi128ELi4EZNS0_15gpu_kernel_implINS0_11FillFunctorIN3c1011Float8_e5m2EEEEEvRNS_18TensorIteratorBaseERKT_EUlibE0_EEviT1_,"axG",@progbits,_ZN2at6native32elementwise_kernel_manual_unrollILi128ELi4EZNS0_15gpu_kernel_implINS0_11FillFunctorIN3c1011Float8_e5m2EEEEEvRNS_18TensorIteratorBaseERKT_EUlibE0_EEviT1_,comdat
	.protected	_ZN2at6native32elementwise_kernel_manual_unrollILi128ELi4EZNS0_15gpu_kernel_implINS0_11FillFunctorIN3c1011Float8_e5m2EEEEEvRNS_18TensorIteratorBaseERKT_EUlibE0_EEviT1_ ; -- Begin function _ZN2at6native32elementwise_kernel_manual_unrollILi128ELi4EZNS0_15gpu_kernel_implINS0_11FillFunctorIN3c1011Float8_e5m2EEEEEvRNS_18TensorIteratorBaseERKT_EUlibE0_EEviT1_
	.globl	_ZN2at6native32elementwise_kernel_manual_unrollILi128ELi4EZNS0_15gpu_kernel_implINS0_11FillFunctorIN3c1011Float8_e5m2EEEEEvRNS_18TensorIteratorBaseERKT_EUlibE0_EEviT1_
	.p2align	8
	.type	_ZN2at6native32elementwise_kernel_manual_unrollILi128ELi4EZNS0_15gpu_kernel_implINS0_11FillFunctorIN3c1011Float8_e5m2EEEEEvRNS_18TensorIteratorBaseERKT_EUlibE0_EEviT1_,@function
_ZN2at6native32elementwise_kernel_manual_unrollILi128ELi4EZNS0_15gpu_kernel_implINS0_11FillFunctorIN3c1011Float8_e5m2EEEEEvRNS_18TensorIteratorBaseERKT_EUlibE0_EEviT1_: ; @_ZN2at6native32elementwise_kernel_manual_unrollILi128ELi4EZNS0_15gpu_kernel_implINS0_11FillFunctorIN3c1011Float8_e5m2EEEEEvRNS_18TensorIteratorBaseERKT_EUlibE0_EEviT1_
; %bb.0:
	s_load_dword s82, s[4:5], 0x0
	s_load_dword s33, s[4:5], 0x8
	s_or_b32 s4, s4, 8
	v_lshl_or_b32 v13, s6, 9, v0
	v_or_b32_e32 v9, 0x180, v13
	s_waitcnt lgkmcnt(0)
	v_cmp_le_i32_e32 vcc, s82, v9
	s_add_i32 s74, s33, -1
	s_cmp_gt_u32 s74, 1
	s_cselect_b64 s[30:31], -1, 0
	s_mov_b64 s[28:29], 0
	s_mov_b64 s[6:7], 0
	s_and_saveexec_b64 s[0:1], vcc
	s_xor_b64 s[34:35], exec, s[0:1]
	s_cbranch_execz .LBB119_462
; %bb.1:
	s_cmp_lg_u32 s33, 0
	s_cselect_b64 s[58:59], -1, 0
	s_add_u32 s56, s4, 0xc4
	s_load_dwordx2 s[50:51], s[4:5], 0xc4
	s_load_dwordx2 s[48:49], s[4:5], 0x108
	s_load_dword s76, s[4:5], 0x110
	s_load_dwordx4 s[16:19], s[4:5], 0x4
	s_load_dwordx2 s[52:53], s[4:5], 0x14
	s_addc_u32 s57, s5, 0
	s_min_u32 s83, s74, 15
	s_cmp_gt_u32 s33, 1
	s_cselect_b64 s[54:55], -1, 0
	s_waitcnt lgkmcnt(0)
	s_and_b32 s0, s76, 0xffff
	s_lshl_b32 s0, s0, 8
	s_and_b32 s0, s0, 0x7f00
	s_or_b32 s0, s0, 0.5
	s_lshl_b32 s1, s76, 25
	v_add_f32_e64 v0, s0, -0.5
	s_lshl_b32 s0, s76, 24
	s_lshr_b32 s2, s1, 4
	s_and_b32 s0, s0, 0x80000000
	s_or_b32 s2, s2, 0x70000000
	s_cmp_lt_u32 s1, 0x8000000
	v_mov_b32_e32 v1, 0x7800000
	v_mul_f32_e32 v1, s2, v1
	s_cselect_b64 vcc, -1, 0
	v_cndmask_b32_e32 v0, v1, v0, vcc
	v_readfirstlane_b32 s8, v0
	s_or_b32 s75, s0, s8
	v_trunc_f32_e32 v2, s75
	v_mul_f32_e32 v1, 0x2f800000, v2
	v_floor_f32_e32 v1, v1
	v_mov_b32_e32 v3, v2
	v_fmac_f32_e32 v3, 0xcf800000, v1
	v_and_b32_e32 v4, 0x400000, v0
	v_cvt_u32_f32_e32 v6, v3
	v_bfe_u32 v3, v0, 23, 8
	s_movk_i32 s0, 0xff
	v_cmp_ne_u32_e32 vcc, 0, v4
	v_and_b32_e32 v4, 0x3fffff, v0
	v_cmp_eq_u32_e64 s[6:7], s0, v3
	v_or_b32_e32 v3, v3, v4
	v_cmp_ne_u32_e64 s[0:1], 0, v3
	s_and_b64 s[0:1], vcc, s[0:1]
	v_cvt_u32_f32_e32 v7, v1
	v_lshrrev_b32_e32 v1, 23, v0
	v_cndmask_b32_e64 v3, 0, 1, s[0:1]
	v_add_u32_e32 v20, v1, v3
	s_and_b32 s11, s75, 0x7fffffff
	v_mov_b32_e32 v1, 0x46000000
	s_cmp_lt_u32 s11, 0x43800000
	v_add_f32_e64 v18, |s75|, v1
	v_bfe_u32 v1, v0, 21, 1
	s_cselect_b64 s[44:45], -1, 0
	s_cmp_gt_u32 s11, 0x3bffffff
	v_add_u32_e32 v1, s75, v1
	s_cselect_b64 s[2:3], -1, 0
	s_bfe_u32 s0, s8, 0x10014
	v_add_u32_e32 v1, 0x88fffff, v1
	s_add_i32 s8, s75, s0
	v_lshrrev_b32_e32 v16, 21, v1
	v_mov_b32_e32 v1, 0x42800000
	s_add_i32 s0, s8, 0x487ffff
	v_add_f32_e64 v17, |s75|, v1
	v_mov_b32_e32 v1, 0x46800000
	s_lshr_b32 s81, s0, 20
	v_readfirstlane_b32 s0, v18
	v_add_f32_e64 v1, |s75|, v1
	s_and_b32 s0, s0, 0xff
	v_readfirstlane_b32 s79, v1
	v_bfe_u32 v1, v0, 16, 1
	s_cmp_lg_u32 s0, 0
	v_add_u32_e32 v1, s75, v1
	s_cselect_b64 s[46:47], -1, 0
	s_lshr_b32 s0, s75, 24
	v_add_u32_e32 v1, 0x7fff, v1
	s_mov_b32 s9, 0x2f800000
	s_and_b32 s77, s0, 0x80
	v_lshrrev_b32_e32 v1, 16, v1
	v_mov_b32_e32 v3, 0x7fc0
	v_cmp_o_f32_e64 vcc, s75, s75
	s_cmp_lt_u32 s11, 0x47800000
	v_cndmask_b32_e32 v15, v3, v1, vcc
	v_mul_f32_e64 v3, |v2|, s9
	s_mov_b32 s10, 0xcf800000
	s_cselect_b64 s[40:41], -1, 0
	s_cmp_gt_u32 s11, 0x37ffffff
	v_readfirstlane_b32 s12, v17
	v_floor_f32_e32 v3, v3
	s_cselect_b64 s[0:1], -1, 0
	s_and_b32 s12, s12, 0xff
	v_fma_f32 v4, v3, s10, |v2|
	s_cmp_lg_u32 s12, 0
	v_cvt_u32_f32_e32 v4, v4
	s_cselect_b64 s[42:43], -1, 0
	s_cmp_gt_u32 s11, 0x43efffff
	v_cvt_u32_f32_e32 v3, v3
	s_cselect_b64 s[36:37], -1, 0
	s_cmp_lt_u32 s11, 0x3c800000
	s_cselect_b64 s[38:39], -1, 0
	s_add_i32 s8, s8, 0x407ffff
	v_ashrrev_i32_e32 v2, 31, v2
	v_cvt_u32_f32_e32 v19, s75
	s_lshr_b32 s12, s8, 20
	s_and_b32 s8, s8, 0xff00000
	v_cmp_neq_f32_e32 vcc, 0, v0
	v_cvt_f16_f32_e32 v12, s75
	v_xor_b32_e32 v4, v4, v2
	v_cvt_i32_f32_e32 v11, s75
	s_cmp_lg_u32 s8, 0x7f00000
	v_cndmask_b32_e64 v14, 0, 1, vcc
	v_xor_b32_e32 v3, v3, v2
	v_sub_co_u32_e32 v4, vcc, v4, v2
	s_cselect_b32 s78, s12, 0x7e
	s_cmp_gt_u32 s11, 0x7f800000
	s_movk_i32 s8, 0x7f
	v_subb_co_u32_e32 v5, vcc, v3, v2, vcc
	v_lshrrev_b16_e64 v10, 8, s76
	s_cselect_b32 s80, s8, 0x7e
	v_cvt_f64_f32_e32 v[0:1], s75
	v_cmp_gt_i32_e32 vcc, s82, v13
	s_mov_b64 s[10:11], -1
	s_mov_b64 s[66:67], 0
	s_mov_b64 s[60:61], 0
	s_and_saveexec_b64 s[62:63], vcc
	s_cbranch_execz .LBB119_114
; %bb.2:
	s_andn2_b64 vcc, exec, s[30:31]
	s_cbranch_vccnz .LBB119_7
; %bb.3:
	s_andn2_b64 vcc, exec, s[58:59]
	s_cbranch_vccnz .LBB119_8
; %bb.4:
	s_add_i32 s69, s83, 1
	s_mov_b32 s68, 0
	s_cmp_eq_u32 s74, 2
	v_mov_b32_e32 v2, 0
	s_cbranch_scc1 .LBB119_9
; %bb.5:
	s_and_b32 s68, s69, 28
	s_mov_b32 s70, 0
	v_mov_b32_e32 v2, 0
	s_mov_b64 s[60:61], s[4:5]
	s_mov_b64 s[64:65], s[56:57]
	v_mov_b32_e32 v8, v13
.LBB119_6:                              ; =>This Inner Loop Header: Depth=1
	s_load_dwordx8 s[8:15], s[60:61], 0x4
	s_load_dwordx4 s[20:23], s[60:61], 0x24
	s_load_dwordx4 s[24:27], s[64:65], 0x0
	s_add_u32 s60, s60, 48
	s_addc_u32 s61, s61, 0
	s_waitcnt lgkmcnt(0)
	v_mul_hi_u32 v3, s9, v8
	v_add_u32_e32 v3, v8, v3
	v_lshrrev_b32_e32 v3, s10, v3
	v_mul_lo_u32 v9, v3, s8
	v_mul_hi_u32 v21, s12, v3
	v_sub_u32_e32 v8, v8, v9
	v_add_u32_e32 v9, v3, v21
	v_lshrrev_b32_e32 v9, s13, v9
	v_mul_lo_u32 v21, v9, s11
	v_mul_hi_u32 v22, s15, v9
	v_sub_u32_e32 v3, v3, v21
	v_add_u32_e32 v21, v9, v22
	v_mul_lo_u32 v8, v8, s24
	v_mul_lo_u32 v3, v3, s25
	v_lshrrev_b32_e32 v21, s20, v21
	v_add3_u32 v2, v8, v2, v3
	v_mul_hi_u32 v8, s22, v21
	v_add_u32_e32 v8, v21, v8
	v_mul_lo_u32 v3, v21, s14
	v_lshrrev_b32_e32 v8, s23, v8
	s_add_i32 s70, s70, 4
	v_sub_u32_e32 v3, v9, v3
	v_mul_lo_u32 v9, v8, s21
	s_add_u32 s64, s64, 16
	v_sub_u32_e32 v9, v21, v9
	s_addc_u32 s65, s65, 0
	v_mul_lo_u32 v3, v3, s26
	v_mul_lo_u32 v9, v9, s27
	s_cmp_lg_u32 s68, s70
	v_add3_u32 v2, v3, v2, v9
	s_cbranch_scc1 .LBB119_6
	s_branch .LBB119_10
.LBB119_7:
                                        ; implicit-def: $vgpr2
	s_branch .LBB119_14
.LBB119_8:
	v_mov_b32_e32 v2, 0
	s_branch .LBB119_13
.LBB119_9:
	v_mov_b32_e32 v8, v13
.LBB119_10:
	s_and_b32 s12, s69, 3
	s_cmp_eq_u32 s12, 0
	s_cbranch_scc1 .LBB119_13
; %bb.11:
	s_lshl_b32 s8, s68, 2
	s_add_u32 s8, s8, s4
	s_addc_u32 s9, s5, 0
	s_add_u32 s8, s8, 0xc4
	s_addc_u32 s9, s9, 0
	s_mul_i32 s10, s68, 12
	s_add_u32 s10, s4, s10
	s_addc_u32 s11, s5, 0
.LBB119_12:                             ; =>This Inner Loop Header: Depth=1
	s_load_dwordx2 s[14:15], s[10:11], 0x4
	s_load_dword s13, s[10:11], 0xc
	s_load_dword s20, s[8:9], 0x0
	s_add_u32 s10, s10, 12
	s_addc_u32 s11, s11, 0
	s_waitcnt lgkmcnt(0)
	v_mul_hi_u32 v3, s15, v8
	v_add_u32_e32 v3, v8, v3
	v_lshrrev_b32_e32 v3, s13, v3
	s_add_u32 s8, s8, 4
	v_mul_lo_u32 v9, v3, s14
	s_addc_u32 s9, s9, 0
	s_add_i32 s12, s12, -1
	v_sub_u32_e32 v9, v8, v9
	s_cmp_lg_u32 s12, 0
	v_mov_b32_e32 v8, v3
	v_mad_u64_u32 v[2:3], s[14:15], v9, s20, v[2:3]
	s_cbranch_scc1 .LBB119_12
.LBB119_13:
	s_cbranch_execnz .LBB119_16
.LBB119_14:
	v_mul_hi_u32 v2, s17, v13
	v_add_u32_e32 v2, v13, v2
	v_lshrrev_b32_e32 v3, s18, v2
	v_mul_lo_u32 v2, v3, s16
	v_sub_u32_e32 v2, v13, v2
	s_andn2_b64 vcc, exec, s[54:55]
	v_mul_lo_u32 v2, v2, s50
	s_cbranch_vccnz .LBB119_16
; %bb.15:
	v_mul_hi_u32 v8, s52, v3
	v_add_u32_e32 v8, v3, v8
	v_lshrrev_b32_e32 v8, s53, v8
	v_mul_lo_u32 v8, v8, s19
	v_sub_u32_e32 v3, v3, v8
	v_mad_u64_u32 v[2:3], s[8:9], v3, s51, v[2:3]
.LBB119_16:
	v_mov_b32_e32 v3, s49
	v_add_co_u32_e32 v8, vcc, s48, v2
	v_addc_co_u32_e32 v9, vcc, 0, v3, vcc
	v_cmp_gt_i16_e32 vcc, 11, v10
	s_cbranch_vccnz .LBB119_23
; %bb.17:
	v_cmp_lt_i16_e32 vcc, 25, v10
	s_cbranch_vccz .LBB119_26
; %bb.18:
	v_cmp_lt_i16_e32 vcc, 28, v10
	s_cbranch_vccz .LBB119_27
	;; [unrolled: 3-line block ×4, first 2 shown]
; %bb.21:
	v_cmp_eq_u16_e32 vcc, 46, v10
	s_mov_b64 s[12:13], 0
	s_mov_b64 s[8:9], -1
	s_mov_b64 s[10:11], 0
	s_cbranch_vccz .LBB119_30
; %bb.22:
	global_store_dword v[8:9], v15, off
	s_mov_b64 s[10:11], -1
	s_mov_b64 s[8:9], 0
	s_branch .LBB119_30
.LBB119_23:
	s_mov_b64 s[8:9], 0
	s_mov_b64 s[10:11], 0
	s_cbranch_execnz .LBB119_74
.LBB119_24:
	s_andn2_b64 vcc, exec, s[10:11]
	s_cbranch_vccnz .LBB119_112
.LBB119_25:
	v_add_u32_e32 v13, 0x80, v13
	s_mov_b64 s[10:11], -1
	s_branch .LBB119_113
.LBB119_26:
	s_mov_b64 s[8:9], 0
	s_mov_b64 s[10:11], 0
	s_cbranch_execnz .LBB119_52
	s_branch .LBB119_73
.LBB119_27:
	s_mov_b64 s[12:13], -1
	s_mov_b64 s[8:9], 0
	s_mov_b64 s[10:11], 0
	s_branch .LBB119_38
.LBB119_28:
	s_mov_b64 s[12:13], -1
	s_mov_b64 s[8:9], 0
	s_mov_b64 s[10:11], 0
	s_branch .LBB119_34
.LBB119_29:
	s_mov_b64 s[12:13], -1
	s_mov_b64 s[8:9], 0
	s_mov_b64 s[10:11], 0
.LBB119_30:
	s_and_b64 vcc, exec, s[12:13]
	s_cbranch_vccz .LBB119_33
; %bb.31:
	v_cmp_eq_u16_e32 vcc, 44, v10
	s_mov_b64 s[8:9], -1
	s_cbranch_vccz .LBB119_33
; %bb.32:
	v_mov_b32_e32 v2, 0xff
	v_cndmask_b32_e64 v2, v20, v2, s[6:7]
	global_store_byte v[8:9], v2, off
	s_mov_b64 s[10:11], -1
	s_mov_b64 s[8:9], 0
.LBB119_33:
	s_mov_b64 s[12:13], 0
.LBB119_34:
	s_and_b64 vcc, exec, s[12:13]
	s_cbranch_vccz .LBB119_37
; %bb.35:
	v_cmp_eq_u16_e32 vcc, 29, v10
	s_mov_b64 s[8:9], -1
	s_cbranch_vccz .LBB119_37
; %bb.36:
	global_store_dwordx2 v[8:9], v[6:7], off
	s_mov_b64 s[10:11], -1
	s_mov_b64 s[8:9], 0
.LBB119_37:
	s_mov_b64 s[12:13], 0
.LBB119_38:
	s_and_b64 vcc, exec, s[12:13]
	s_cbranch_vccz .LBB119_51
; %bb.39:
	v_cmp_gt_i16_e32 vcc, 27, v10
	s_mov_b64 s[10:11], -1
	s_cbranch_vccnz .LBB119_45
; %bb.40:
	v_cmp_lt_i16_e32 vcc, 27, v10
	s_cbranch_vccz .LBB119_42
; %bb.41:
	s_mov_b64 s[10:11], 0
	global_store_dword v[8:9], v19, off
.LBB119_42:
	s_andn2_b64 vcc, exec, s[10:11]
	s_cbranch_vccnz .LBB119_44
; %bb.43:
	global_store_short v[8:9], v19, off
.LBB119_44:
	s_mov_b64 s[10:11], 0
.LBB119_45:
	s_andn2_b64 vcc, exec, s[10:11]
	s_cbranch_vccnz .LBB119_50
; %bb.46:
	s_andn2_b64 vcc, exec, s[44:45]
	v_mov_b32_e32 v2, 0x80
	s_cbranch_vccnz .LBB119_49
; %bb.47:
	s_or_b64 s[10:11], s[2:3], s[46:47]
	s_andn2_b64 vcc, exec, s[10:11]
	v_mov_b32_e32 v2, 0
	s_cbranch_vccnz .LBB119_49
; %bb.48:
	v_mov_b32_e32 v2, s81
	v_cndmask_b32_e64 v2, v18, v2, s[2:3]
	v_or_b32_e32 v2, s77, v2
.LBB119_49:
	global_store_byte v[8:9], v2, off
.LBB119_50:
	s_mov_b64 s[10:11], -1
.LBB119_51:
	s_branch .LBB119_73
.LBB119_52:
	v_cmp_lt_i16_e32 vcc, 22, v10
	s_mov_b64 s[12:13], -1
	s_cbranch_vccz .LBB119_65
; %bb.53:
	v_cmp_gt_i16_e32 vcc, 24, v10
	s_mov_b64 s[10:11], -1
	s_cbranch_vccnz .LBB119_62
; %bb.54:
	v_cmp_lt_i16_e32 vcc, 24, v10
	s_cbranch_vccz .LBB119_59
; %bb.55:
	s_andn2_b64 vcc, exec, s[40:41]
	v_mov_b32_e32 v2, 0x80
	s_cbranch_vccnz .LBB119_58
; %bb.56:
	s_or_b64 s[10:11], s[0:1], s[42:43]
	s_andn2_b64 vcc, exec, s[10:11]
	v_mov_b32_e32 v2, 0
	s_cbranch_vccnz .LBB119_58
; %bb.57:
	v_cndmask_b32_e64 v2, v17, v16, s[0:1]
	v_or_b32_e32 v2, s77, v2
.LBB119_58:
	s_mov_b64 s[10:11], 0
	global_store_byte v[8:9], v2, off
.LBB119_59:
	s_and_b64 vcc, exec, s[10:11]
	s_cbranch_vccz .LBB119_61
; %bb.60:
	s_and_b64 s[10:11], s[38:39], exec
	s_cselect_b32 s12, s79, s78
	s_and_b64 s[10:11], s[36:37], exec
	s_cselect_b32 s10, s80, s12
	s_or_b32 s10, s10, s77
	v_mov_b32_e32 v2, s10
	global_store_byte v[8:9], v2, off
.LBB119_61:
	s_mov_b64 s[10:11], 0
.LBB119_62:
	s_andn2_b64 vcc, exec, s[10:11]
	s_cbranch_vccnz .LBB119_64
; %bb.63:
	v_mov_b32_e32 v2, s76
	global_store_byte v[8:9], v2, off
.LBB119_64:
	s_mov_b64 s[12:13], 0
	s_mov_b64 s[10:11], -1
.LBB119_65:
	s_andn2_b64 vcc, exec, s[12:13]
	s_cbranch_vccnz .LBB119_73
; %bb.66:
	v_cmp_lt_i16_e32 vcc, 14, v10
	s_mov_b64 s[12:13], -1
	s_cbranch_vccz .LBB119_70
; %bb.67:
	v_cmp_eq_u16_e32 vcc, 15, v10
	s_mov_b64 s[8:9], -1
	s_cbranch_vccz .LBB119_69
; %bb.68:
	global_store_short v[8:9], v15, off
	s_mov_b64 s[10:11], -1
	s_mov_b64 s[8:9], 0
.LBB119_69:
	s_mov_b64 s[12:13], 0
.LBB119_70:
	s_and_b64 vcc, exec, s[12:13]
	s_cbranch_vccz .LBB119_73
; %bb.71:
	v_cmp_eq_u16_e32 vcc, 11, v10
	s_mov_b64 s[8:9], -1
	s_cbranch_vccz .LBB119_73
; %bb.72:
	s_mov_b64 s[10:11], -1
	s_mov_b64 s[8:9], 0
	global_store_byte v[8:9], v14, off
.LBB119_73:
	s_branch .LBB119_24
.LBB119_74:
	v_cmp_gt_i16_e32 vcc, 5, v10
	s_mov_b64 s[10:11], -1
	s_cbranch_vccnz .LBB119_95
; %bb.75:
	v_cmp_gt_i16_e32 vcc, 8, v10
	s_cbranch_vccnz .LBB119_85
; %bb.76:
	v_cmp_gt_i16_e32 vcc, 9, v10
	s_cbranch_vccnz .LBB119_82
; %bb.77:
	v_cmp_lt_i16_e32 vcc, 9, v10
	s_cbranch_vccz .LBB119_79
; %bb.78:
	v_mov_b32_e32 v2, 0
	v_mov_b32_e32 v3, v2
	global_store_dwordx4 v[8:9], v[0:3], off
	s_mov_b64 s[10:11], 0
.LBB119_79:
	s_andn2_b64 vcc, exec, s[10:11]
	s_cbranch_vccnz .LBB119_81
; %bb.80:
	v_mov_b32_e32 v2, s75
	v_mov_b32_e32 v3, 0
	global_store_dwordx2 v[8:9], v[2:3], off
.LBB119_81:
	s_mov_b64 s[10:11], 0
.LBB119_82:
	s_andn2_b64 vcc, exec, s[10:11]
	s_cbranch_vccnz .LBB119_84
; %bb.83:
	global_store_dword v[8:9], v12, off
.LBB119_84:
	s_mov_b64 s[10:11], 0
.LBB119_85:
	s_andn2_b64 vcc, exec, s[10:11]
	s_cbranch_vccnz .LBB119_94
; %bb.86:
	v_cmp_gt_i16_e32 vcc, 6, v10
	s_mov_b64 s[10:11], -1
	s_cbranch_vccnz .LBB119_92
; %bb.87:
	v_cmp_lt_i16_e32 vcc, 6, v10
	s_cbranch_vccz .LBB119_89
; %bb.88:
	global_store_dwordx2 v[8:9], v[0:1], off
	s_mov_b64 s[10:11], 0
.LBB119_89:
	s_andn2_b64 vcc, exec, s[10:11]
	s_cbranch_vccnz .LBB119_91
; %bb.90:
	v_mov_b32_e32 v2, s75
	global_store_dword v[8:9], v2, off
.LBB119_91:
	s_mov_b64 s[10:11], 0
.LBB119_92:
	s_andn2_b64 vcc, exec, s[10:11]
	s_cbranch_vccnz .LBB119_94
; %bb.93:
	global_store_short v[8:9], v12, off
.LBB119_94:
	s_mov_b64 s[10:11], 0
.LBB119_95:
	s_andn2_b64 vcc, exec, s[10:11]
	s_cbranch_vccnz .LBB119_111
; %bb.96:
	v_cmp_gt_i16_e32 vcc, 2, v10
	s_mov_b64 s[10:11], -1
	s_cbranch_vccnz .LBB119_106
; %bb.97:
	v_cmp_gt_i16_e32 vcc, 3, v10
	s_cbranch_vccnz .LBB119_103
; %bb.98:
	v_cmp_lt_i16_e32 vcc, 3, v10
	s_cbranch_vccz .LBB119_100
; %bb.99:
	global_store_dwordx2 v[8:9], v[4:5], off
	s_mov_b64 s[10:11], 0
.LBB119_100:
	s_andn2_b64 vcc, exec, s[10:11]
	s_cbranch_vccnz .LBB119_102
; %bb.101:
	global_store_dword v[8:9], v11, off
.LBB119_102:
	s_mov_b64 s[10:11], 0
.LBB119_103:
	s_andn2_b64 vcc, exec, s[10:11]
	s_cbranch_vccnz .LBB119_105
; %bb.104:
	global_store_short v[8:9], v11, off
.LBB119_105:
	s_mov_b64 s[10:11], 0
.LBB119_106:
	s_andn2_b64 vcc, exec, s[10:11]
	s_cbranch_vccnz .LBB119_111
; %bb.107:
	v_cmp_lt_i16_e32 vcc, 0, v10
	s_mov_b64 s[10:11], -1
	s_cbranch_vccz .LBB119_109
; %bb.108:
	global_store_byte v[8:9], v11, off
	s_mov_b64 s[10:11], 0
.LBB119_109:
	s_andn2_b64 vcc, exec, s[10:11]
	s_cbranch_vccnz .LBB119_111
; %bb.110:
	global_store_byte v[8:9], v4, off
.LBB119_111:
	s_branch .LBB119_25
.LBB119_112:
	s_mov_b64 s[10:11], 0
                                        ; implicit-def: $vgpr13
.LBB119_113:
	s_and_b64 s[60:61], s[8:9], exec
	s_orn2_b64 s[10:11], s[10:11], exec
.LBB119_114:
	s_or_b64 exec, exec, s[62:63]
	s_mov_b64 s[8:9], 0
                                        ; implicit-def: $vgpr8_vgpr9
	s_and_saveexec_b64 s[62:63], s[10:11]
	s_cbranch_execz .LBB119_121
; %bb.115:
	v_cmp_gt_i32_e32 vcc, s82, v13
	s_mov_b64 s[8:9], -1
	s_mov_b64 s[64:65], s[60:61]
	s_and_saveexec_b64 s[66:67], vcc
	s_cbranch_execz .LBB119_232
; %bb.116:
	s_andn2_b64 vcc, exec, s[30:31]
	s_cbranch_vccnz .LBB119_124
; %bb.117:
	s_andn2_b64 vcc, exec, s[58:59]
	s_cbranch_vccnz .LBB119_125
; %bb.118:
	s_add_i32 s71, s83, 1
	s_mov_b32 s70, 0
	s_cmp_eq_u32 s74, 2
	v_mov_b32_e32 v2, 0
	s_cbranch_scc1 .LBB119_126
; %bb.119:
	s_and_b32 s70, s71, 28
	s_mov_b32 s72, 0
	v_mov_b32_e32 v2, 0
	s_mov_b64 s[64:65], s[4:5]
	s_mov_b64 s[68:69], s[56:57]
	v_mov_b32_e32 v8, v13
.LBB119_120:                            ; =>This Inner Loop Header: Depth=1
	s_load_dwordx8 s[8:15], s[64:65], 0x4
	s_load_dwordx4 s[20:23], s[64:65], 0x24
	s_load_dwordx4 s[24:27], s[68:69], 0x0
	s_add_u32 s64, s64, 48
	s_addc_u32 s65, s65, 0
	s_waitcnt lgkmcnt(0)
	v_mul_hi_u32 v3, s9, v8
	v_add_u32_e32 v3, v8, v3
	v_lshrrev_b32_e32 v3, s10, v3
	v_mul_lo_u32 v9, v3, s8
	v_mul_hi_u32 v21, s12, v3
	v_sub_u32_e32 v8, v8, v9
	v_add_u32_e32 v9, v3, v21
	v_lshrrev_b32_e32 v9, s13, v9
	v_mul_lo_u32 v21, v9, s11
	v_mul_hi_u32 v22, s15, v9
	v_sub_u32_e32 v3, v3, v21
	v_add_u32_e32 v21, v9, v22
	v_mul_lo_u32 v8, v8, s24
	v_mul_lo_u32 v3, v3, s25
	v_lshrrev_b32_e32 v21, s20, v21
	v_add3_u32 v2, v8, v2, v3
	v_mul_hi_u32 v8, s22, v21
	v_add_u32_e32 v8, v21, v8
	v_mul_lo_u32 v3, v21, s14
	v_lshrrev_b32_e32 v8, s23, v8
	s_add_i32 s72, s72, 4
	v_sub_u32_e32 v3, v9, v3
	v_mul_lo_u32 v9, v8, s21
	s_add_u32 s68, s68, 16
	v_sub_u32_e32 v9, v21, v9
	s_addc_u32 s69, s69, 0
	v_mul_lo_u32 v3, v3, s26
	v_mul_lo_u32 v9, v9, s27
	s_cmp_eq_u32 s70, s72
	v_add3_u32 v2, v3, v2, v9
	s_cbranch_scc0 .LBB119_120
	s_branch .LBB119_127
.LBB119_121:
	s_or_b64 exec, exec, s[62:63]
	s_mov_b64 s[0:1], 0
	s_and_saveexec_b64 s[2:3], s[60:61]
	s_cbranch_execnz .LBB119_422
.LBB119_122:
	s_or_b64 exec, exec, s[2:3]
	s_and_saveexec_b64 s[2:3], s[66:67]
	s_xor_b64 s[2:3], exec, s[2:3]
	s_cbranch_execz .LBB119_423
.LBB119_123:
	global_store_byte v[8:9], v14, off
	s_or_b64 exec, exec, s[2:3]
	s_and_saveexec_b64 s[2:3], s[8:9]
	s_xor_b64 s[2:3], exec, s[2:3]
	s_cbranch_execz .LBB119_461
	s_branch .LBB119_424
.LBB119_124:
                                        ; implicit-def: $vgpr2
	s_andn2_b64 vcc, exec, s[8:9]
	s_cbranch_vccz .LBB119_131
	s_branch .LBB119_133
.LBB119_125:
	v_mov_b32_e32 v2, 0
	s_branch .LBB119_130
.LBB119_126:
	v_mov_b32_e32 v8, v13
.LBB119_127:
	s_and_b32 s12, s71, 3
	s_cmp_eq_u32 s12, 0
	s_cbranch_scc1 .LBB119_130
; %bb.128:
	s_lshl_b32 s8, s70, 2
	s_add_u32 s8, s8, s4
	s_addc_u32 s9, s5, 0
	s_add_u32 s8, s8, 0xc4
	s_addc_u32 s9, s9, 0
	s_mul_i32 s10, s70, 12
	s_add_u32 s10, s4, s10
	s_addc_u32 s11, s5, 0
.LBB119_129:                            ; =>This Inner Loop Header: Depth=1
	s_load_dwordx2 s[14:15], s[10:11], 0x4
	s_load_dword s13, s[10:11], 0xc
	s_load_dword s20, s[8:9], 0x0
	s_add_u32 s10, s10, 12
	s_addc_u32 s11, s11, 0
	s_waitcnt lgkmcnt(0)
	v_mul_hi_u32 v3, s15, v8
	v_add_u32_e32 v3, v8, v3
	v_lshrrev_b32_e32 v3, s13, v3
	s_add_u32 s8, s8, 4
	v_mul_lo_u32 v9, v3, s14
	s_addc_u32 s9, s9, 0
	s_add_i32 s12, s12, -1
	v_sub_u32_e32 v9, v8, v9
	s_cmp_lg_u32 s12, 0
	v_mov_b32_e32 v8, v3
	v_mad_u64_u32 v[2:3], s[14:15], v9, s20, v[2:3]
	s_cbranch_scc1 .LBB119_129
.LBB119_130:
	s_cbranch_execnz .LBB119_133
.LBB119_131:
	v_mul_hi_u32 v2, s17, v13
	v_add_u32_e32 v2, v13, v2
	v_lshrrev_b32_e32 v3, s18, v2
	v_mul_lo_u32 v2, v3, s16
	v_sub_u32_e32 v2, v13, v2
	s_andn2_b64 vcc, exec, s[54:55]
	v_mul_lo_u32 v2, v2, s50
	s_cbranch_vccnz .LBB119_133
; %bb.132:
	v_mul_hi_u32 v8, s52, v3
	v_add_u32_e32 v8, v3, v8
	v_lshrrev_b32_e32 v8, s53, v8
	v_mul_lo_u32 v8, v8, s19
	v_sub_u32_e32 v3, v3, v8
	v_mad_u64_u32 v[2:3], s[8:9], v3, s51, v[2:3]
.LBB119_133:
	v_mov_b32_e32 v3, s49
	v_add_co_u32_e32 v8, vcc, s48, v2
	v_addc_co_u32_e32 v9, vcc, 0, v3, vcc
	v_cmp_gt_i16_e32 vcc, 11, v10
	s_cbranch_vccnz .LBB119_140
; %bb.134:
	v_cmp_lt_i16_e32 vcc, 25, v10
	s_cbranch_vccz .LBB119_143
; %bb.135:
	v_cmp_lt_i16_e32 vcc, 28, v10
	s_cbranch_vccz .LBB119_144
	;; [unrolled: 3-line block ×4, first 2 shown]
; %bb.138:
	v_cmp_eq_u16_e32 vcc, 46, v10
	s_mov_b64 s[12:13], 0
	s_mov_b64 s[8:9], -1
	s_mov_b64 s[10:11], 0
	s_cbranch_vccz .LBB119_147
; %bb.139:
	global_store_dword v[8:9], v15, off
	s_mov_b64 s[10:11], -1
	s_mov_b64 s[8:9], 0
	s_branch .LBB119_147
.LBB119_140:
	s_mov_b64 s[10:11], 0
	s_mov_b64 s[8:9], s[60:61]
	s_cbranch_execnz .LBB119_192
.LBB119_141:
	s_andn2_b64 vcc, exec, s[10:11]
	s_cbranch_vccnz .LBB119_230
.LBB119_142:
	v_add_u32_e32 v13, 0x80, v13
	s_mov_b64 s[10:11], -1
	s_branch .LBB119_231
.LBB119_143:
	s_mov_b64 s[12:13], -1
	s_mov_b64 s[10:11], 0
	s_mov_b64 s[8:9], s[60:61]
	s_branch .LBB119_169
.LBB119_144:
	s_mov_b64 s[12:13], -1
	s_mov_b64 s[10:11], 0
	s_mov_b64 s[8:9], s[60:61]
	s_branch .LBB119_155
.LBB119_145:
	s_mov_b64 s[12:13], -1
	s_mov_b64 s[10:11], 0
	s_mov_b64 s[8:9], s[60:61]
	s_branch .LBB119_151
.LBB119_146:
	s_mov_b64 s[12:13], -1
	s_mov_b64 s[10:11], 0
	s_mov_b64 s[8:9], s[60:61]
.LBB119_147:
	s_and_b64 vcc, exec, s[12:13]
	s_cbranch_vccz .LBB119_150
; %bb.148:
	v_cmp_eq_u16_e32 vcc, 44, v10
	s_mov_b64 s[8:9], -1
	s_cbranch_vccz .LBB119_150
; %bb.149:
	v_mov_b32_e32 v2, 0xff
	v_cndmask_b32_e64 v2, v20, v2, s[6:7]
	s_mov_b64 s[10:11], -1
	s_mov_b64 s[8:9], 0
	global_store_byte v[8:9], v2, off
.LBB119_150:
	s_mov_b64 s[12:13], 0
.LBB119_151:
	s_and_b64 vcc, exec, s[12:13]
	s_cbranch_vccz .LBB119_154
; %bb.152:
	v_cmp_eq_u16_e32 vcc, 29, v10
	s_mov_b64 s[8:9], -1
	s_cbranch_vccz .LBB119_154
; %bb.153:
	global_store_dwordx2 v[8:9], v[6:7], off
	s_mov_b64 s[10:11], -1
	s_mov_b64 s[8:9], 0
.LBB119_154:
	s_mov_b64 s[12:13], 0
.LBB119_155:
	s_and_b64 vcc, exec, s[12:13]
	s_cbranch_vccz .LBB119_168
; %bb.156:
	v_cmp_gt_i16_e32 vcc, 27, v10
	s_mov_b64 s[10:11], -1
	s_cbranch_vccnz .LBB119_162
; %bb.157:
	v_cmp_lt_i16_e32 vcc, 27, v10
	s_cbranch_vccz .LBB119_159
; %bb.158:
	s_mov_b64 s[10:11], 0
	global_store_dword v[8:9], v19, off
.LBB119_159:
	s_andn2_b64 vcc, exec, s[10:11]
	s_cbranch_vccnz .LBB119_161
; %bb.160:
	global_store_short v[8:9], v19, off
.LBB119_161:
	s_mov_b64 s[10:11], 0
.LBB119_162:
	s_andn2_b64 vcc, exec, s[10:11]
	s_cbranch_vccnz .LBB119_167
; %bb.163:
	s_andn2_b64 vcc, exec, s[44:45]
	v_mov_b32_e32 v2, 0x80
	s_cbranch_vccnz .LBB119_166
; %bb.164:
	s_or_b64 s[10:11], s[2:3], s[46:47]
	s_andn2_b64 vcc, exec, s[10:11]
	v_mov_b32_e32 v2, 0
	s_cbranch_vccnz .LBB119_166
; %bb.165:
	v_mov_b32_e32 v2, s81
	v_cndmask_b32_e64 v2, v18, v2, s[2:3]
	v_or_b32_e32 v2, s77, v2
.LBB119_166:
	global_store_byte v[8:9], v2, off
.LBB119_167:
	s_mov_b64 s[10:11], -1
.LBB119_168:
	s_mov_b64 s[12:13], 0
.LBB119_169:
	s_and_b64 vcc, exec, s[12:13]
	s_cbranch_vccz .LBB119_191
; %bb.170:
	v_cmp_lt_i16_e32 vcc, 22, v10
	s_mov_b64 s[12:13], -1
	s_cbranch_vccz .LBB119_183
; %bb.171:
	v_cmp_gt_i16_e32 vcc, 24, v10
	s_mov_b64 s[10:11], -1
	s_cbranch_vccnz .LBB119_180
; %bb.172:
	v_cmp_lt_i16_e32 vcc, 24, v10
	s_cbranch_vccz .LBB119_177
; %bb.173:
	s_andn2_b64 vcc, exec, s[40:41]
	v_mov_b32_e32 v2, 0x80
	s_cbranch_vccnz .LBB119_176
; %bb.174:
	s_or_b64 s[10:11], s[0:1], s[42:43]
	s_andn2_b64 vcc, exec, s[10:11]
	v_mov_b32_e32 v2, 0
	s_cbranch_vccnz .LBB119_176
; %bb.175:
	v_cndmask_b32_e64 v2, v17, v16, s[0:1]
	v_or_b32_e32 v2, s77, v2
.LBB119_176:
	s_mov_b64 s[10:11], 0
	global_store_byte v[8:9], v2, off
.LBB119_177:
	s_and_b64 vcc, exec, s[10:11]
	s_cbranch_vccz .LBB119_179
; %bb.178:
	s_and_b64 s[10:11], s[38:39], exec
	s_cselect_b32 s12, s79, s78
	s_and_b64 s[10:11], s[36:37], exec
	s_cselect_b32 s10, s80, s12
	s_or_b32 s10, s10, s77
	v_mov_b32_e32 v2, s10
	global_store_byte v[8:9], v2, off
.LBB119_179:
	s_mov_b64 s[10:11], 0
.LBB119_180:
	s_andn2_b64 vcc, exec, s[10:11]
	s_cbranch_vccnz .LBB119_182
; %bb.181:
	v_mov_b32_e32 v2, s76
	global_store_byte v[8:9], v2, off
.LBB119_182:
	s_mov_b64 s[12:13], 0
	s_mov_b64 s[10:11], -1
.LBB119_183:
	s_andn2_b64 vcc, exec, s[12:13]
	s_cbranch_vccnz .LBB119_191
; %bb.184:
	v_cmp_lt_i16_e32 vcc, 14, v10
	s_mov_b64 s[12:13], -1
	s_cbranch_vccz .LBB119_188
; %bb.185:
	v_cmp_eq_u16_e32 vcc, 15, v10
	s_mov_b64 s[8:9], -1
	s_cbranch_vccz .LBB119_187
; %bb.186:
	global_store_short v[8:9], v15, off
	s_mov_b64 s[10:11], -1
	s_mov_b64 s[8:9], 0
.LBB119_187:
	s_mov_b64 s[12:13], 0
.LBB119_188:
	s_and_b64 vcc, exec, s[12:13]
	s_cbranch_vccz .LBB119_191
; %bb.189:
	v_cmp_eq_u16_e32 vcc, 11, v10
	s_mov_b64 s[8:9], -1
	s_cbranch_vccz .LBB119_191
; %bb.190:
	s_mov_b64 s[10:11], -1
	s_mov_b64 s[8:9], 0
	global_store_byte v[8:9], v14, off
.LBB119_191:
	s_branch .LBB119_141
.LBB119_192:
	v_cmp_gt_i16_e32 vcc, 5, v10
	s_mov_b64 s[10:11], -1
	s_cbranch_vccnz .LBB119_213
; %bb.193:
	v_cmp_gt_i16_e32 vcc, 8, v10
	s_cbranch_vccnz .LBB119_203
; %bb.194:
	v_cmp_gt_i16_e32 vcc, 9, v10
	s_cbranch_vccnz .LBB119_200
; %bb.195:
	v_cmp_lt_i16_e32 vcc, 9, v10
	s_cbranch_vccz .LBB119_197
; %bb.196:
	v_mov_b32_e32 v2, 0
	v_mov_b32_e32 v3, v2
	s_mov_b64 s[10:11], 0
	global_store_dwordx4 v[8:9], v[0:3], off
.LBB119_197:
	s_andn2_b64 vcc, exec, s[10:11]
	s_cbranch_vccnz .LBB119_199
; %bb.198:
	v_mov_b32_e32 v2, s75
	v_mov_b32_e32 v3, 0
	global_store_dwordx2 v[8:9], v[2:3], off
.LBB119_199:
	s_mov_b64 s[10:11], 0
.LBB119_200:
	s_andn2_b64 vcc, exec, s[10:11]
	s_cbranch_vccnz .LBB119_202
; %bb.201:
	global_store_dword v[8:9], v12, off
.LBB119_202:
	s_mov_b64 s[10:11], 0
.LBB119_203:
	s_andn2_b64 vcc, exec, s[10:11]
	s_cbranch_vccnz .LBB119_212
; %bb.204:
	v_cmp_gt_i16_e32 vcc, 6, v10
	s_mov_b64 s[10:11], -1
	s_cbranch_vccnz .LBB119_210
; %bb.205:
	v_cmp_lt_i16_e32 vcc, 6, v10
	s_cbranch_vccz .LBB119_207
; %bb.206:
	s_mov_b64 s[10:11], 0
	global_store_dwordx2 v[8:9], v[0:1], off
.LBB119_207:
	s_andn2_b64 vcc, exec, s[10:11]
	s_cbranch_vccnz .LBB119_209
; %bb.208:
	v_mov_b32_e32 v2, s75
	global_store_dword v[8:9], v2, off
.LBB119_209:
	s_mov_b64 s[10:11], 0
.LBB119_210:
	s_andn2_b64 vcc, exec, s[10:11]
	s_cbranch_vccnz .LBB119_212
; %bb.211:
	global_store_short v[8:9], v12, off
.LBB119_212:
	s_mov_b64 s[10:11], 0
.LBB119_213:
	s_andn2_b64 vcc, exec, s[10:11]
	s_cbranch_vccnz .LBB119_229
; %bb.214:
	v_cmp_gt_i16_e32 vcc, 2, v10
	s_mov_b64 s[10:11], -1
	s_cbranch_vccnz .LBB119_224
; %bb.215:
	v_cmp_gt_i16_e32 vcc, 3, v10
	s_cbranch_vccnz .LBB119_221
; %bb.216:
	v_cmp_lt_i16_e32 vcc, 3, v10
	s_cbranch_vccz .LBB119_218
; %bb.217:
	s_mov_b64 s[10:11], 0
	global_store_dwordx2 v[8:9], v[4:5], off
.LBB119_218:
	s_andn2_b64 vcc, exec, s[10:11]
	s_cbranch_vccnz .LBB119_220
; %bb.219:
	global_store_dword v[8:9], v11, off
.LBB119_220:
	s_mov_b64 s[10:11], 0
.LBB119_221:
	s_andn2_b64 vcc, exec, s[10:11]
	s_cbranch_vccnz .LBB119_223
; %bb.222:
	global_store_short v[8:9], v11, off
.LBB119_223:
	s_mov_b64 s[10:11], 0
.LBB119_224:
	s_andn2_b64 vcc, exec, s[10:11]
	s_cbranch_vccnz .LBB119_229
; %bb.225:
	v_cmp_lt_i16_e32 vcc, 0, v10
	s_mov_b64 s[10:11], -1
	s_cbranch_vccz .LBB119_227
; %bb.226:
	s_mov_b64 s[10:11], 0
	global_store_byte v[8:9], v11, off
.LBB119_227:
	s_andn2_b64 vcc, exec, s[10:11]
	s_cbranch_vccnz .LBB119_229
; %bb.228:
	global_store_byte v[8:9], v4, off
.LBB119_229:
	s_branch .LBB119_142
.LBB119_230:
	s_mov_b64 s[10:11], 0
                                        ; implicit-def: $vgpr13
.LBB119_231:
	s_andn2_b64 s[12:13], s[60:61], exec
	s_and_b64 s[8:9], s[8:9], exec
	s_or_b64 s[64:65], s[12:13], s[8:9]
	s_orn2_b64 s[8:9], s[10:11], exec
.LBB119_232:
	s_or_b64 exec, exec, s[66:67]
	s_mov_b64 s[10:11], 0
	s_mov_b64 s[12:13], 0
                                        ; implicit-def: $vgpr8_vgpr9
	s_and_saveexec_b64 s[66:67], s[8:9]
	s_cbranch_execz .LBB119_421
; %bb.233:
	v_cmp_gt_i32_e32 vcc, s82, v13
	s_mov_b64 s[10:11], -1
	s_mov_b64 s[70:71], s[64:65]
	s_and_saveexec_b64 s[68:69], vcc
	s_cbranch_execz .LBB119_349
; %bb.234:
	s_andn2_b64 vcc, exec, s[30:31]
	s_cbranch_vccnz .LBB119_239
; %bb.235:
	s_andn2_b64 vcc, exec, s[58:59]
	s_cbranch_vccnz .LBB119_240
; %bb.236:
	s_add_i32 s85, s83, 1
	s_mov_b32 s84, 0
	s_cmp_eq_u32 s74, 2
	v_mov_b32_e32 v2, 0
	s_cbranch_scc1 .LBB119_241
; %bb.237:
	s_and_b32 s84, s85, 28
	s_mov_b32 s86, 0
	v_mov_b32_e32 v2, 0
	s_mov_b64 s[70:71], s[4:5]
	s_mov_b64 s[72:73], s[56:57]
	v_mov_b32_e32 v8, v13
.LBB119_238:                            ; =>This Inner Loop Header: Depth=1
	s_load_dwordx8 s[8:15], s[70:71], 0x4
	s_load_dwordx4 s[20:23], s[70:71], 0x24
	s_load_dwordx4 s[24:27], s[72:73], 0x0
	s_add_u32 s70, s70, 48
	s_addc_u32 s71, s71, 0
	s_waitcnt lgkmcnt(0)
	v_mul_hi_u32 v3, s9, v8
	v_add_u32_e32 v3, v8, v3
	v_lshrrev_b32_e32 v3, s10, v3
	v_mul_lo_u32 v9, v3, s8
	v_mul_hi_u32 v21, s12, v3
	v_sub_u32_e32 v8, v8, v9
	v_add_u32_e32 v9, v3, v21
	v_lshrrev_b32_e32 v9, s13, v9
	v_mul_lo_u32 v21, v9, s11
	v_mul_hi_u32 v22, s15, v9
	v_sub_u32_e32 v3, v3, v21
	v_add_u32_e32 v21, v9, v22
	v_mul_lo_u32 v8, v8, s24
	v_mul_lo_u32 v3, v3, s25
	v_lshrrev_b32_e32 v21, s20, v21
	v_add3_u32 v2, v8, v2, v3
	v_mul_hi_u32 v8, s22, v21
	v_add_u32_e32 v8, v21, v8
	v_mul_lo_u32 v3, v21, s14
	v_lshrrev_b32_e32 v8, s23, v8
	s_add_i32 s86, s86, 4
	v_sub_u32_e32 v3, v9, v3
	v_mul_lo_u32 v9, v8, s21
	s_add_u32 s72, s72, 16
	v_sub_u32_e32 v9, v21, v9
	s_addc_u32 s73, s73, 0
	v_mul_lo_u32 v3, v3, s26
	v_mul_lo_u32 v9, v9, s27
	s_cmp_eq_u32 s84, s86
	v_add3_u32 v2, v3, v2, v9
	s_cbranch_scc0 .LBB119_238
	s_branch .LBB119_242
.LBB119_239:
	s_mov_b64 s[8:9], -1
                                        ; implicit-def: $vgpr2
	s_branch .LBB119_246
.LBB119_240:
	v_mov_b32_e32 v2, 0
	s_branch .LBB119_245
.LBB119_241:
	v_mov_b32_e32 v8, v13
.LBB119_242:
	s_and_b32 s12, s85, 3
	s_cmp_eq_u32 s12, 0
	s_cbranch_scc1 .LBB119_245
; %bb.243:
	s_lshl_b32 s8, s84, 2
	s_add_u32 s8, s8, s4
	s_addc_u32 s9, s5, 0
	s_add_u32 s8, s8, 0xc4
	s_addc_u32 s9, s9, 0
	s_mul_i32 s10, s84, 12
	s_add_u32 s10, s4, s10
	s_addc_u32 s11, s5, 0
.LBB119_244:                            ; =>This Inner Loop Header: Depth=1
	s_load_dwordx2 s[14:15], s[10:11], 0x4
	s_load_dword s13, s[10:11], 0xc
	s_load_dword s20, s[8:9], 0x0
	s_add_u32 s10, s10, 12
	s_addc_u32 s11, s11, 0
	s_waitcnt lgkmcnt(0)
	v_mul_hi_u32 v3, s15, v8
	v_add_u32_e32 v3, v8, v3
	v_lshrrev_b32_e32 v3, s13, v3
	s_add_u32 s8, s8, 4
	v_mul_lo_u32 v9, v3, s14
	s_addc_u32 s9, s9, 0
	s_add_i32 s12, s12, -1
	v_sub_u32_e32 v9, v8, v9
	s_cmp_lg_u32 s12, 0
	v_mov_b32_e32 v8, v3
	v_mad_u64_u32 v[2:3], s[14:15], v9, s20, v[2:3]
	s_cbranch_scc1 .LBB119_244
.LBB119_245:
	s_mov_b64 s[8:9], 0
.LBB119_246:
	s_andn2_b64 vcc, exec, s[8:9]
	s_cbranch_vccnz .LBB119_249
; %bb.247:
	v_mul_hi_u32 v2, s17, v13
	v_add_u32_e32 v2, v13, v2
	v_lshrrev_b32_e32 v3, s18, v2
	v_mul_lo_u32 v2, v3, s16
	v_sub_u32_e32 v2, v13, v2
	s_andn2_b64 vcc, exec, s[54:55]
	v_mul_lo_u32 v2, v2, s50
	s_cbranch_vccnz .LBB119_249
; %bb.248:
	v_mul_hi_u32 v8, s52, v3
	v_add_u32_e32 v8, v3, v8
	v_lshrrev_b32_e32 v8, s53, v8
	v_mul_lo_u32 v8, v8, s19
	v_sub_u32_e32 v3, v3, v8
	v_mad_u64_u32 v[2:3], s[8:9], v3, s51, v[2:3]
.LBB119_249:
	v_mov_b32_e32 v3, s49
	v_add_co_u32_e32 v8, vcc, s48, v2
	v_addc_co_u32_e32 v9, vcc, 0, v3, vcc
	v_cmp_gt_i16_e32 vcc, 11, v10
	s_cbranch_vccnz .LBB119_256
; %bb.250:
	v_cmp_lt_i16_e32 vcc, 25, v10
	s_cbranch_vccz .LBB119_257
; %bb.251:
	v_cmp_lt_i16_e32 vcc, 28, v10
	s_cbranch_vccz .LBB119_258
	;; [unrolled: 3-line block ×4, first 2 shown]
; %bb.254:
	v_cmp_eq_u16_e32 vcc, 46, v10
	s_mov_b64 s[12:13], 0
	s_mov_b64 s[8:9], -1
	s_mov_b64 s[10:11], 0
	s_cbranch_vccz .LBB119_261
; %bb.255:
	global_store_dword v[8:9], v15, off
	s_mov_b64 s[10:11], -1
	s_mov_b64 s[8:9], 0
	s_branch .LBB119_261
.LBB119_256:
	s_mov_b64 s[12:13], -1
	s_mov_b64 s[10:11], 0
	s_mov_b64 s[8:9], s[64:65]
	s_branch .LBB119_306
.LBB119_257:
	s_mov_b64 s[12:13], -1
	s_mov_b64 s[10:11], 0
	s_mov_b64 s[8:9], s[64:65]
	s_branch .LBB119_283
.LBB119_258:
	s_mov_b64 s[12:13], -1
	s_mov_b64 s[10:11], 0
	s_mov_b64 s[8:9], s[64:65]
	s_branch .LBB119_269
.LBB119_259:
	s_mov_b64 s[12:13], -1
	s_mov_b64 s[10:11], 0
	s_mov_b64 s[8:9], s[64:65]
	s_branch .LBB119_265
.LBB119_260:
	s_mov_b64 s[12:13], -1
	s_mov_b64 s[10:11], 0
	s_mov_b64 s[8:9], s[64:65]
.LBB119_261:
	s_and_b64 vcc, exec, s[12:13]
	s_cbranch_vccz .LBB119_264
; %bb.262:
	v_cmp_eq_u16_e32 vcc, 44, v10
	s_mov_b64 s[8:9], -1
	s_cbranch_vccz .LBB119_264
; %bb.263:
	v_mov_b32_e32 v2, 0xff
	v_cndmask_b32_e64 v2, v20, v2, s[6:7]
	s_mov_b64 s[10:11], -1
	s_mov_b64 s[8:9], 0
	global_store_byte v[8:9], v2, off
.LBB119_264:
	s_mov_b64 s[12:13], 0
.LBB119_265:
	s_and_b64 vcc, exec, s[12:13]
	s_cbranch_vccz .LBB119_268
; %bb.266:
	v_cmp_eq_u16_e32 vcc, 29, v10
	s_mov_b64 s[8:9], -1
	s_cbranch_vccz .LBB119_268
; %bb.267:
	global_store_dwordx2 v[8:9], v[6:7], off
	s_mov_b64 s[10:11], -1
	s_mov_b64 s[8:9], 0
.LBB119_268:
	s_mov_b64 s[12:13], 0
.LBB119_269:
	s_and_b64 vcc, exec, s[12:13]
	s_cbranch_vccz .LBB119_282
; %bb.270:
	v_cmp_gt_i16_e32 vcc, 27, v10
	s_mov_b64 s[10:11], -1
	s_cbranch_vccnz .LBB119_276
; %bb.271:
	v_cmp_lt_i16_e32 vcc, 27, v10
	s_cbranch_vccz .LBB119_273
; %bb.272:
	s_mov_b64 s[10:11], 0
	global_store_dword v[8:9], v19, off
.LBB119_273:
	s_andn2_b64 vcc, exec, s[10:11]
	s_cbranch_vccnz .LBB119_275
; %bb.274:
	global_store_short v[8:9], v19, off
.LBB119_275:
	s_mov_b64 s[10:11], 0
.LBB119_276:
	s_andn2_b64 vcc, exec, s[10:11]
	s_cbranch_vccnz .LBB119_281
; %bb.277:
	s_andn2_b64 vcc, exec, s[44:45]
	v_mov_b32_e32 v2, 0x80
	s_cbranch_vccnz .LBB119_280
; %bb.278:
	s_or_b64 s[10:11], s[2:3], s[46:47]
	s_andn2_b64 vcc, exec, s[10:11]
	v_mov_b32_e32 v2, 0
	s_cbranch_vccnz .LBB119_280
; %bb.279:
	v_mov_b32_e32 v2, s81
	v_cndmask_b32_e64 v2, v18, v2, s[2:3]
	v_or_b32_e32 v2, s77, v2
.LBB119_280:
	global_store_byte v[8:9], v2, off
.LBB119_281:
	s_mov_b64 s[10:11], -1
.LBB119_282:
	s_mov_b64 s[12:13], 0
.LBB119_283:
	s_and_b64 vcc, exec, s[12:13]
	s_cbranch_vccz .LBB119_305
; %bb.284:
	v_cmp_lt_i16_e32 vcc, 22, v10
	s_mov_b64 s[12:13], -1
	s_cbranch_vccz .LBB119_297
; %bb.285:
	v_cmp_gt_i16_e32 vcc, 24, v10
	s_mov_b64 s[10:11], -1
	s_cbranch_vccnz .LBB119_294
; %bb.286:
	v_cmp_lt_i16_e32 vcc, 24, v10
	s_cbranch_vccz .LBB119_291
; %bb.287:
	s_andn2_b64 vcc, exec, s[40:41]
	v_mov_b32_e32 v2, 0x80
	s_cbranch_vccnz .LBB119_290
; %bb.288:
	s_or_b64 s[10:11], s[0:1], s[42:43]
	s_andn2_b64 vcc, exec, s[10:11]
	v_mov_b32_e32 v2, 0
	s_cbranch_vccnz .LBB119_290
; %bb.289:
	v_cndmask_b32_e64 v2, v17, v16, s[0:1]
	v_or_b32_e32 v2, s77, v2
.LBB119_290:
	s_mov_b64 s[10:11], 0
	global_store_byte v[8:9], v2, off
.LBB119_291:
	s_and_b64 vcc, exec, s[10:11]
	s_cbranch_vccz .LBB119_293
; %bb.292:
	s_and_b64 s[10:11], s[38:39], exec
	s_cselect_b32 s12, s79, s78
	s_and_b64 s[10:11], s[36:37], exec
	s_cselect_b32 s10, s80, s12
	s_or_b32 s10, s10, s77
	v_mov_b32_e32 v2, s10
	global_store_byte v[8:9], v2, off
.LBB119_293:
	s_mov_b64 s[10:11], 0
.LBB119_294:
	s_andn2_b64 vcc, exec, s[10:11]
	s_cbranch_vccnz .LBB119_296
; %bb.295:
	v_mov_b32_e32 v2, s76
	global_store_byte v[8:9], v2, off
.LBB119_296:
	s_mov_b64 s[12:13], 0
	s_mov_b64 s[10:11], -1
.LBB119_297:
	s_andn2_b64 vcc, exec, s[12:13]
	s_cbranch_vccnz .LBB119_305
; %bb.298:
	v_cmp_lt_i16_e32 vcc, 14, v10
	s_mov_b64 s[12:13], -1
	s_cbranch_vccz .LBB119_302
; %bb.299:
	v_cmp_eq_u16_e32 vcc, 15, v10
	s_mov_b64 s[8:9], -1
	s_cbranch_vccz .LBB119_301
; %bb.300:
	global_store_short v[8:9], v15, off
	s_mov_b64 s[10:11], -1
	s_mov_b64 s[8:9], 0
.LBB119_301:
	s_mov_b64 s[12:13], 0
.LBB119_302:
	s_and_b64 vcc, exec, s[12:13]
	s_cbranch_vccz .LBB119_305
; %bb.303:
	v_cmp_eq_u16_e32 vcc, 11, v10
	s_mov_b64 s[8:9], -1
	s_cbranch_vccz .LBB119_305
; %bb.304:
	s_mov_b64 s[10:11], -1
	s_mov_b64 s[8:9], 0
	global_store_byte v[8:9], v14, off
.LBB119_305:
	s_mov_b64 s[12:13], 0
.LBB119_306:
	s_and_b64 vcc, exec, s[12:13]
	s_cbranch_vccz .LBB119_345
; %bb.307:
	v_cmp_gt_i16_e32 vcc, 5, v10
	s_mov_b64 s[10:11], -1
	s_cbranch_vccnz .LBB119_328
; %bb.308:
	v_cmp_gt_i16_e32 vcc, 8, v10
	s_cbranch_vccnz .LBB119_318
; %bb.309:
	v_cmp_gt_i16_e32 vcc, 9, v10
	s_cbranch_vccnz .LBB119_315
; %bb.310:
	v_cmp_lt_i16_e32 vcc, 9, v10
	s_cbranch_vccz .LBB119_312
; %bb.311:
	v_mov_b32_e32 v2, 0
	v_mov_b32_e32 v3, v2
	s_mov_b64 s[10:11], 0
	global_store_dwordx4 v[8:9], v[0:3], off
.LBB119_312:
	s_andn2_b64 vcc, exec, s[10:11]
	s_cbranch_vccnz .LBB119_314
; %bb.313:
	v_mov_b32_e32 v2, s75
	v_mov_b32_e32 v3, 0
	global_store_dwordx2 v[8:9], v[2:3], off
.LBB119_314:
	s_mov_b64 s[10:11], 0
.LBB119_315:
	s_andn2_b64 vcc, exec, s[10:11]
	s_cbranch_vccnz .LBB119_317
; %bb.316:
	global_store_dword v[8:9], v12, off
.LBB119_317:
	s_mov_b64 s[10:11], 0
.LBB119_318:
	s_andn2_b64 vcc, exec, s[10:11]
	s_cbranch_vccnz .LBB119_327
; %bb.319:
	v_cmp_gt_i16_e32 vcc, 6, v10
	s_mov_b64 s[10:11], -1
	s_cbranch_vccnz .LBB119_325
; %bb.320:
	v_cmp_lt_i16_e32 vcc, 6, v10
	s_cbranch_vccz .LBB119_322
; %bb.321:
	s_mov_b64 s[10:11], 0
	global_store_dwordx2 v[8:9], v[0:1], off
.LBB119_322:
	s_andn2_b64 vcc, exec, s[10:11]
	s_cbranch_vccnz .LBB119_324
; %bb.323:
	v_mov_b32_e32 v2, s75
	global_store_dword v[8:9], v2, off
.LBB119_324:
	s_mov_b64 s[10:11], 0
.LBB119_325:
	s_andn2_b64 vcc, exec, s[10:11]
	s_cbranch_vccnz .LBB119_327
; %bb.326:
	global_store_short v[8:9], v12, off
.LBB119_327:
	s_mov_b64 s[10:11], 0
.LBB119_328:
	s_andn2_b64 vcc, exec, s[10:11]
	s_cbranch_vccnz .LBB119_344
; %bb.329:
	v_cmp_gt_i16_e32 vcc, 2, v10
	s_mov_b64 s[10:11], -1
	s_cbranch_vccnz .LBB119_339
; %bb.330:
	v_cmp_gt_i16_e32 vcc, 3, v10
	s_cbranch_vccnz .LBB119_336
; %bb.331:
	v_cmp_lt_i16_e32 vcc, 3, v10
	s_cbranch_vccz .LBB119_333
; %bb.332:
	s_mov_b64 s[10:11], 0
	global_store_dwordx2 v[8:9], v[4:5], off
.LBB119_333:
	s_andn2_b64 vcc, exec, s[10:11]
	s_cbranch_vccnz .LBB119_335
; %bb.334:
	global_store_dword v[8:9], v11, off
.LBB119_335:
	s_mov_b64 s[10:11], 0
.LBB119_336:
	s_andn2_b64 vcc, exec, s[10:11]
	s_cbranch_vccnz .LBB119_338
; %bb.337:
	global_store_short v[8:9], v11, off
.LBB119_338:
	s_mov_b64 s[10:11], 0
.LBB119_339:
	s_andn2_b64 vcc, exec, s[10:11]
	s_cbranch_vccnz .LBB119_344
; %bb.340:
	v_cmp_lt_i16_e32 vcc, 0, v10
	s_mov_b64 s[10:11], -1
	s_cbranch_vccz .LBB119_342
; %bb.341:
	s_mov_b64 s[10:11], 0
	global_store_byte v[8:9], v11, off
.LBB119_342:
	s_andn2_b64 vcc, exec, s[10:11]
	s_cbranch_vccnz .LBB119_344
; %bb.343:
	global_store_byte v[8:9], v4, off
.LBB119_344:
	s_mov_b64 s[10:11], -1
.LBB119_345:
	s_andn2_b64 vcc, exec, s[10:11]
	s_cbranch_vccnz .LBB119_347
; %bb.346:
	v_add_u32_e32 v13, 0x80, v13
	s_mov_b64 s[10:11], -1
	s_branch .LBB119_348
.LBB119_347:
	s_mov_b64 s[10:11], 0
                                        ; implicit-def: $vgpr13
.LBB119_348:
	s_andn2_b64 s[12:13], s[64:65], exec
	s_and_b64 s[8:9], s[8:9], exec
	s_or_b64 s[70:71], s[12:13], s[8:9]
	s_orn2_b64 s[10:11], s[10:11], exec
.LBB119_349:
	s_or_b64 exec, exec, s[68:69]
	s_mov_b64 s[8:9], 0
	s_mov_b64 s[14:15], 0
                                        ; implicit-def: $vgpr8_vgpr9
	s_and_saveexec_b64 s[68:69], s[10:11]
	s_cbranch_execz .LBB119_420
; %bb.350:
	v_cmp_gt_i32_e32 vcc, s82, v13
	s_mov_b64 s[10:11], 0
	s_mov_b64 s[12:13], s[70:71]
                                        ; implicit-def: $vgpr8_vgpr9
	s_and_saveexec_b64 s[72:73], vcc
	s_cbranch_execz .LBB119_419
; %bb.351:
	s_andn2_b64 vcc, exec, s[30:31]
	s_cbranch_vccnz .LBB119_356
; %bb.352:
	s_andn2_b64 vcc, exec, s[58:59]
	s_cbranch_vccnz .LBB119_357
; %bb.353:
	s_add_i32 s83, s83, 1
	s_mov_b32 s82, 0
	s_cmp_eq_u32 s74, 2
	v_mov_b32_e32 v2, 0
	s_cbranch_scc1 .LBB119_358
; %bb.354:
	s_and_b32 s82, s83, 28
	s_mov_b32 s84, 0
	v_mov_b32_e32 v2, 0
	s_mov_b64 s[58:59], s[4:5]
	v_mov_b32_e32 v8, v13
.LBB119_355:                            ; =>This Inner Loop Header: Depth=1
	s_load_dwordx8 s[8:15], s[58:59], 0x4
	s_load_dwordx4 s[20:23], s[58:59], 0x24
	s_load_dwordx4 s[24:27], s[56:57], 0x0
	s_add_u32 s58, s58, 48
	s_addc_u32 s59, s59, 0
	s_waitcnt lgkmcnt(0)
	v_mul_hi_u32 v3, s9, v8
	v_add_u32_e32 v3, v8, v3
	v_lshrrev_b32_e32 v3, s10, v3
	v_mul_lo_u32 v9, v3, s8
	v_mul_hi_u32 v21, s12, v3
	v_sub_u32_e32 v8, v8, v9
	v_add_u32_e32 v9, v3, v21
	v_lshrrev_b32_e32 v9, s13, v9
	v_mul_lo_u32 v21, v9, s11
	v_mul_hi_u32 v22, s15, v9
	v_sub_u32_e32 v3, v3, v21
	v_add_u32_e32 v21, v9, v22
	v_mul_lo_u32 v8, v8, s24
	v_mul_lo_u32 v3, v3, s25
	v_lshrrev_b32_e32 v21, s20, v21
	v_add3_u32 v2, v8, v2, v3
	v_mul_hi_u32 v8, s22, v21
	v_add_u32_e32 v8, v21, v8
	v_mul_lo_u32 v3, v21, s14
	v_lshrrev_b32_e32 v8, s23, v8
	s_add_i32 s84, s84, 4
	v_sub_u32_e32 v3, v9, v3
	v_mul_lo_u32 v9, v8, s21
	s_add_u32 s56, s56, 16
	v_sub_u32_e32 v9, v21, v9
	s_addc_u32 s57, s57, 0
	v_mul_lo_u32 v3, v3, s26
	v_mul_lo_u32 v9, v9, s27
	s_cmp_eq_u32 s82, s84
	v_add3_u32 v2, v3, v2, v9
	s_cbranch_scc0 .LBB119_355
	s_branch .LBB119_359
.LBB119_356:
	s_mov_b64 s[8:9], -1
                                        ; implicit-def: $vgpr2
	s_branch .LBB119_363
.LBB119_357:
	v_mov_b32_e32 v2, 0
	s_branch .LBB119_362
.LBB119_358:
	v_mov_b32_e32 v8, v13
.LBB119_359:
	s_and_b32 s12, s83, 3
	s_cmp_eq_u32 s12, 0
	s_cbranch_scc1 .LBB119_362
; %bb.360:
	s_lshl_b32 s8, s82, 2
	s_add_u32 s8, s8, s4
	s_addc_u32 s9, s5, 0
	s_add_u32 s8, s8, 0xc4
	s_addc_u32 s9, s9, 0
	s_mul_i32 s10, s82, 12
	s_add_u32 s10, s4, s10
	s_addc_u32 s11, s5, 0
.LBB119_361:                            ; =>This Inner Loop Header: Depth=1
	s_load_dwordx2 s[14:15], s[10:11], 0x4
	s_load_dword s13, s[10:11], 0xc
	s_load_dword s20, s[8:9], 0x0
	s_add_u32 s10, s10, 12
	s_addc_u32 s11, s11, 0
	s_waitcnt lgkmcnt(0)
	v_mul_hi_u32 v3, s15, v8
	v_add_u32_e32 v3, v8, v3
	v_lshrrev_b32_e32 v3, s13, v3
	s_add_u32 s8, s8, 4
	v_mul_lo_u32 v9, v3, s14
	s_addc_u32 s9, s9, 0
	s_add_i32 s12, s12, -1
	v_sub_u32_e32 v9, v8, v9
	s_cmp_lg_u32 s12, 0
	v_mov_b32_e32 v8, v3
	v_mad_u64_u32 v[2:3], s[14:15], v9, s20, v[2:3]
	s_cbranch_scc1 .LBB119_361
.LBB119_362:
	s_mov_b64 s[8:9], 0
.LBB119_363:
	s_andn2_b64 vcc, exec, s[8:9]
	s_cbranch_vccnz .LBB119_366
; %bb.364:
	v_mul_hi_u32 v2, s17, v13
	v_add_u32_e32 v2, v13, v2
	v_lshrrev_b32_e32 v3, s18, v2
	v_mul_lo_u32 v2, v3, s16
	v_sub_u32_e32 v2, v13, v2
	s_andn2_b64 vcc, exec, s[54:55]
	v_mul_lo_u32 v2, v2, s50
	s_cbranch_vccnz .LBB119_366
; %bb.365:
	v_mul_hi_u32 v8, s52, v3
	v_add_u32_e32 v8, v3, v8
	v_lshrrev_b32_e32 v8, s53, v8
	v_mul_lo_u32 v8, v8, s19
	v_sub_u32_e32 v3, v3, v8
	v_mad_u64_u32 v[2:3], s[8:9], v3, s51, v[2:3]
.LBB119_366:
	v_mov_b32_e32 v3, s49
	v_add_co_u32_e32 v8, vcc, s48, v2
	v_addc_co_u32_e32 v9, vcc, 0, v3, vcc
	v_cmp_gt_i16_e32 vcc, 11, v10
	s_cbranch_vccnz .LBB119_416
; %bb.367:
	v_cmp_lt_i16_e32 vcc, 25, v10
	s_mov_b64 s[10:11], -1
	s_mov_b64 s[8:9], s[70:71]
	s_cbranch_vccz .LBB119_395
; %bb.368:
	v_cmp_lt_i16_e32 vcc, 28, v10
	s_mov_b64 s[8:9], s[70:71]
	s_cbranch_vccz .LBB119_382
; %bb.369:
	v_cmp_lt_i16_e32 vcc, 43, v10
	;; [unrolled: 4-line block ×3, first 2 shown]
	s_mov_b64 s[8:9], s[70:71]
	s_cbranch_vccz .LBB119_374
; %bb.371:
	v_cmp_eq_u16_e32 vcc, 46, v10
	s_mov_b64 s[8:9], -1
	s_cbranch_vccz .LBB119_373
; %bb.372:
	global_store_dword v[8:9], v15, off
	s_mov_b64 s[8:9], 0
.LBB119_373:
	s_mov_b64 s[10:11], 0
.LBB119_374:
	s_and_b64 vcc, exec, s[10:11]
	s_cbranch_vccz .LBB119_377
; %bb.375:
	v_cmp_eq_u16_e32 vcc, 44, v10
	s_mov_b64 s[8:9], -1
	s_cbranch_vccz .LBB119_377
; %bb.376:
	v_mov_b32_e32 v2, 0xff
	v_cndmask_b32_e64 v2, v20, v2, s[6:7]
	global_store_byte v[8:9], v2, off
	s_mov_b64 s[8:9], 0
.LBB119_377:
	s_mov_b64 s[10:11], 0
.LBB119_378:
	s_and_b64 vcc, exec, s[10:11]
	s_cbranch_vccz .LBB119_381
; %bb.379:
	v_cmp_eq_u16_e32 vcc, 29, v10
	s_mov_b64 s[8:9], -1
	s_cbranch_vccz .LBB119_381
; %bb.380:
	global_store_dwordx2 v[8:9], v[6:7], off
	s_mov_b64 s[8:9], 0
.LBB119_381:
	s_mov_b64 s[10:11], 0
.LBB119_382:
	s_and_b64 vcc, exec, s[10:11]
	s_cbranch_vccz .LBB119_394
; %bb.383:
	v_cmp_gt_i16_e32 vcc, 27, v10
	s_mov_b64 s[6:7], -1
	s_cbranch_vccnz .LBB119_389
; %bb.384:
	v_cmp_lt_i16_e32 vcc, 27, v10
	s_cbranch_vccz .LBB119_386
; %bb.385:
	s_mov_b64 s[6:7], 0
	global_store_dword v[8:9], v19, off
.LBB119_386:
	s_andn2_b64 vcc, exec, s[6:7]
	s_cbranch_vccnz .LBB119_388
; %bb.387:
	global_store_short v[8:9], v19, off
.LBB119_388:
	s_mov_b64 s[6:7], 0
.LBB119_389:
	s_andn2_b64 vcc, exec, s[6:7]
	s_cbranch_vccnz .LBB119_394
; %bb.390:
	s_andn2_b64 vcc, exec, s[44:45]
	v_mov_b32_e32 v2, 0x80
	s_cbranch_vccnz .LBB119_393
; %bb.391:
	s_or_b64 s[6:7], s[2:3], s[46:47]
	s_andn2_b64 vcc, exec, s[6:7]
	v_mov_b32_e32 v2, 0
	s_cbranch_vccnz .LBB119_393
; %bb.392:
	v_mov_b32_e32 v2, s81
	v_cndmask_b32_e64 v2, v18, v2, s[2:3]
	v_or_b32_e32 v2, s77, v2
.LBB119_393:
	global_store_byte v[8:9], v2, off
.LBB119_394:
	s_mov_b64 s[10:11], 0
.LBB119_395:
	s_mov_b64 s[2:3], 0
	s_and_b64 vcc, exec, s[10:11]
	s_cbranch_vccz .LBB119_417
; %bb.396:
	v_cmp_lt_i16_e32 vcc, 22, v10
	s_mov_b64 s[6:7], -1
	s_cbranch_vccz .LBB119_409
; %bb.397:
	v_cmp_gt_i16_e32 vcc, 24, v10
	s_cbranch_vccnz .LBB119_406
; %bb.398:
	v_cmp_lt_i16_e32 vcc, 24, v10
	s_cbranch_vccz .LBB119_403
; %bb.399:
	s_andn2_b64 vcc, exec, s[40:41]
	v_mov_b32_e32 v2, 0x80
	s_cbranch_vccnz .LBB119_402
; %bb.400:
	s_or_b64 s[6:7], s[0:1], s[42:43]
	s_andn2_b64 vcc, exec, s[6:7]
	v_mov_b32_e32 v2, 0
	s_cbranch_vccnz .LBB119_402
; %bb.401:
	v_cndmask_b32_e64 v2, v17, v16, s[0:1]
	v_or_b32_e32 v2, s77, v2
.LBB119_402:
	s_mov_b64 s[6:7], 0
	global_store_byte v[8:9], v2, off
.LBB119_403:
	s_and_b64 vcc, exec, s[6:7]
	s_cbranch_vccz .LBB119_405
; %bb.404:
	s_and_b64 s[0:1], s[38:39], exec
	s_cselect_b32 s6, s79, s78
	s_and_b64 s[0:1], s[36:37], exec
	s_cselect_b32 s0, s80, s6
	s_or_b32 s0, s0, s77
	v_mov_b32_e32 v2, s0
	global_store_byte v[8:9], v2, off
.LBB119_405:
	s_mov_b64 s[6:7], 0
.LBB119_406:
	s_andn2_b64 vcc, exec, s[6:7]
	s_cbranch_vccnz .LBB119_408
; %bb.407:
	v_mov_b32_e32 v2, s76
	global_store_byte v[8:9], v2, off
.LBB119_408:
	s_mov_b64 s[6:7], 0
.LBB119_409:
	s_andn2_b64 vcc, exec, s[6:7]
	s_mov_b64 s[0:1], 0
	s_cbranch_vccnz .LBB119_418
; %bb.410:
	v_cmp_lt_i16_e32 vcc, 14, v10
	s_mov_b64 s[6:7], -1
	s_cbranch_vccz .LBB119_414
; %bb.411:
	v_cmp_eq_u16_e32 vcc, 15, v10
	s_mov_b64 s[8:9], -1
	s_cbranch_vccz .LBB119_413
; %bb.412:
	global_store_short v[8:9], v15, off
	s_mov_b64 s[8:9], 0
.LBB119_413:
	s_mov_b64 s[6:7], 0
.LBB119_414:
	s_and_b64 vcc, exec, s[6:7]
	s_cbranch_vccz .LBB119_418
; %bb.415:
	v_cmp_ne_u16_e32 vcc, 11, v10
	s_andn2_b64 s[6:7], s[8:9], exec
	s_and_b64 s[8:9], vcc, exec
	s_mov_b64 s[0:1], -1
	s_or_b64 s[8:9], s[6:7], s[8:9]
	s_branch .LBB119_418
.LBB119_416:
	s_mov_b64 s[0:1], 0
	s_mov_b64 s[2:3], -1
	s_mov_b64 s[8:9], s[70:71]
	s_branch .LBB119_418
.LBB119_417:
	s_mov_b64 s[0:1], 0
.LBB119_418:
	s_and_b64 s[14:15], s[2:3], exec
	s_and_b64 s[10:11], s[0:1], exec
	s_andn2_b64 s[0:1], s[70:71], exec
	s_and_b64 s[2:3], s[8:9], exec
	s_or_b64 s[12:13], s[0:1], s[2:3]
.LBB119_419:
	s_or_b64 exec, exec, s[72:73]
	s_andn2_b64 s[0:1], s[70:71], exec
	s_and_b64 s[2:3], s[12:13], exec
	s_and_b64 s[14:15], s[14:15], exec
	s_and_b64 s[8:9], s[10:11], exec
	s_or_b64 s[70:71], s[0:1], s[2:3]
.LBB119_420:
	s_or_b64 exec, exec, s[68:69]
	s_andn2_b64 s[0:1], s[64:65], exec
	s_and_b64 s[2:3], s[70:71], exec
	s_and_b64 s[12:13], s[14:15], exec
	;; [unrolled: 1-line block ×3, first 2 shown]
	s_or_b64 s[64:65], s[0:1], s[2:3]
.LBB119_421:
	s_or_b64 exec, exec, s[66:67]
	s_andn2_b64 s[0:1], s[60:61], exec
	s_and_b64 s[2:3], s[64:65], exec
	s_and_b64 s[8:9], s[12:13], exec
	;; [unrolled: 1-line block ×3, first 2 shown]
	s_or_b64 s[60:61], s[0:1], s[2:3]
	s_or_b64 exec, exec, s[62:63]
	s_mov_b64 s[0:1], 0
	s_and_saveexec_b64 s[2:3], s[60:61]
	s_cbranch_execz .LBB119_122
.LBB119_422:
	s_mov_b64 s[0:1], exec
	s_andn2_b64 s[66:67], s[66:67], exec
	s_trap 2
	s_or_b64 exec, exec, s[2:3]
	s_and_saveexec_b64 s[2:3], s[66:67]
	s_xor_b64 s[2:3], exec, s[2:3]
	s_cbranch_execnz .LBB119_123
.LBB119_423:
	s_or_b64 exec, exec, s[2:3]
	s_and_saveexec_b64 s[2:3], s[8:9]
	s_xor_b64 s[2:3], exec, s[2:3]
	s_cbranch_execz .LBB119_461
.LBB119_424:
	v_cmp_gt_i16_e32 vcc, 5, v10
	s_mov_b64 s[6:7], -1
	s_cbranch_vccnz .LBB119_445
; %bb.425:
	v_cmp_gt_i16_e32 vcc, 8, v10
	s_cbranch_vccnz .LBB119_435
; %bb.426:
	v_cmp_gt_i16_e32 vcc, 9, v10
	s_cbranch_vccnz .LBB119_432
; %bb.427:
	v_cmp_lt_i16_e32 vcc, 9, v10
	s_cbranch_vccz .LBB119_429
; %bb.428:
	v_mov_b32_e32 v2, 0
	v_mov_b32_e32 v3, v2
	s_mov_b64 s[6:7], 0
	global_store_dwordx4 v[8:9], v[0:3], off
.LBB119_429:
	s_andn2_b64 vcc, exec, s[6:7]
	s_cbranch_vccnz .LBB119_431
; %bb.430:
	v_mov_b32_e32 v2, s75
	v_mov_b32_e32 v3, 0
	global_store_dwordx2 v[8:9], v[2:3], off
.LBB119_431:
	s_mov_b64 s[6:7], 0
.LBB119_432:
	s_andn2_b64 vcc, exec, s[6:7]
	s_cbranch_vccnz .LBB119_434
; %bb.433:
	global_store_dword v[8:9], v12, off
.LBB119_434:
	s_mov_b64 s[6:7], 0
.LBB119_435:
	s_andn2_b64 vcc, exec, s[6:7]
	s_cbranch_vccnz .LBB119_444
; %bb.436:
	v_cmp_gt_i16_e32 vcc, 6, v10
	s_mov_b64 s[6:7], -1
	s_cbranch_vccnz .LBB119_442
; %bb.437:
	v_cmp_lt_i16_e32 vcc, 6, v10
	s_cbranch_vccz .LBB119_439
; %bb.438:
	s_mov_b64 s[6:7], 0
	global_store_dwordx2 v[8:9], v[0:1], off
.LBB119_439:
	s_andn2_b64 vcc, exec, s[6:7]
	s_cbranch_vccnz .LBB119_441
; %bb.440:
	v_mov_b32_e32 v0, s75
	global_store_dword v[8:9], v0, off
.LBB119_441:
	s_mov_b64 s[6:7], 0
.LBB119_442:
	s_andn2_b64 vcc, exec, s[6:7]
	s_cbranch_vccnz .LBB119_444
; %bb.443:
	global_store_short v[8:9], v12, off
.LBB119_444:
	s_mov_b64 s[6:7], 0
.LBB119_445:
	s_andn2_b64 vcc, exec, s[6:7]
	s_cbranch_vccnz .LBB119_461
; %bb.446:
	v_cmp_gt_i16_e32 vcc, 2, v10
	s_mov_b64 s[6:7], -1
	s_cbranch_vccnz .LBB119_456
; %bb.447:
	v_cmp_gt_i16_e32 vcc, 3, v10
	s_cbranch_vccnz .LBB119_453
; %bb.448:
	v_cmp_lt_i16_e32 vcc, 3, v10
	s_cbranch_vccz .LBB119_450
; %bb.449:
	s_mov_b64 s[6:7], 0
	global_store_dwordx2 v[8:9], v[4:5], off
.LBB119_450:
	s_andn2_b64 vcc, exec, s[6:7]
	s_cbranch_vccnz .LBB119_452
; %bb.451:
	global_store_dword v[8:9], v11, off
.LBB119_452:
	s_mov_b64 s[6:7], 0
.LBB119_453:
	s_andn2_b64 vcc, exec, s[6:7]
	s_cbranch_vccnz .LBB119_455
; %bb.454:
	global_store_short v[8:9], v11, off
.LBB119_455:
	s_mov_b64 s[6:7], 0
.LBB119_456:
	s_andn2_b64 vcc, exec, s[6:7]
	s_cbranch_vccnz .LBB119_461
; %bb.457:
	v_cmp_lt_i16_e32 vcc, 0, v10
	s_mov_b64 s[6:7], -1
	s_cbranch_vccz .LBB119_459
; %bb.458:
	s_mov_b64 s[6:7], 0
	global_store_byte v[8:9], v11, off
.LBB119_459:
	s_andn2_b64 vcc, exec, s[6:7]
	s_cbranch_vccnz .LBB119_461
; %bb.460:
	global_store_byte v[8:9], v4, off
.LBB119_461:
	s_or_b64 exec, exec, s[2:3]
	s_and_b64 s[6:7], s[0:1], exec
                                        ; implicit-def: $vgpr9
                                        ; implicit-def: $vgpr13
.LBB119_462:
	s_or_saveexec_b64 s[24:25], s[34:35]
	s_mov_b64 s[0:1], 0
                                        ; implicit-def: $vgpr8
                                        ; implicit-def: $vgpr0_vgpr1
                                        ; implicit-def: $sgpr16
	s_xor_b64 exec, exec, s[24:25]
	s_cbranch_execz .LBB119_911
; %bb.463:
	v_cndmask_b32_e64 v0, 0, 1, s[30:31]
	v_cmp_ne_u32_e64 s[0:1], 1, v0
	s_andn2_b64 vcc, exec, s[30:31]
	s_cbranch_vccnz .LBB119_469
; %bb.464:
	s_mov_b32 s28, 0
	s_cmp_eq_u32 s33, 0
	v_mov_b32_e32 v6, 0
	s_cbranch_scc1 .LBB119_473
; %bb.465:
	s_min_u32 s29, s74, 15
	s_add_i32 s29, s29, 1
	s_cmp_eq_u32 s74, 2
	v_mov_b32_e32 v6, 0
	s_cbranch_scc1 .LBB119_470
; %bb.466:
	s_add_u32 s2, s4, 0xc4
	s_addc_u32 s3, s5, 0
	s_and_b32 s28, s29, 28
	s_mov_b32 s30, 0
	v_mov_b32_e32 v6, 0
	s_mov_b64 s[26:27], s[4:5]
	v_mov_b32_e32 v0, v13
.LBB119_467:                            ; =>This Inner Loop Header: Depth=1
	s_load_dwordx8 s[8:15], s[26:27], 0x4
	s_load_dwordx4 s[16:19], s[26:27], 0x24
	s_load_dwordx4 s[20:23], s[2:3], 0x0
	s_add_u32 s26, s26, 48
	s_addc_u32 s27, s27, 0
	s_waitcnt lgkmcnt(0)
	v_mul_hi_u32 v1, s9, v0
	v_add_u32_e32 v1, v0, v1
	v_lshrrev_b32_e32 v1, s10, v1
	v_mul_lo_u32 v2, v1, s8
	v_mul_hi_u32 v3, s12, v1
	v_sub_u32_e32 v0, v0, v2
	v_add_u32_e32 v2, v1, v3
	v_lshrrev_b32_e32 v2, s13, v2
	v_mul_lo_u32 v3, v2, s11
	v_mul_hi_u32 v4, s15, v2
	v_sub_u32_e32 v1, v1, v3
	v_add_u32_e32 v3, v2, v4
	v_mul_lo_u32 v0, v0, s20
	v_mul_lo_u32 v1, v1, s21
	v_lshrrev_b32_e32 v3, s16, v3
	v_add3_u32 v1, v0, v6, v1
	v_mul_lo_u32 v0, v3, s14
	v_mul_hi_u32 v4, s18, v3
	v_sub_u32_e32 v0, v2, v0
	v_add_u32_e32 v2, v3, v4
	v_mul_lo_u32 v4, v0, s22
	v_lshrrev_b32_e32 v0, s19, v2
	s_add_i32 s30, s30, 4
	v_mul_lo_u32 v2, v0, s17
	s_add_u32 s2, s2, 16
	v_sub_u32_e32 v2, v3, v2
	s_addc_u32 s3, s3, 0
	v_mul_lo_u32 v2, v2, s23
	s_cmp_lg_u32 s28, s30
	v_add3_u32 v6, v4, v1, v2
	s_cbranch_scc1 .LBB119_467
; %bb.468:
	s_and_b32 s10, s29, 3
	s_cmp_eq_u32 s10, 0
	s_cbranch_scc0 .LBB119_471
	s_branch .LBB119_473
.LBB119_469:
                                        ; implicit-def: $vgpr6
	s_branch .LBB119_474
.LBB119_470:
	v_mov_b32_e32 v0, v13
	s_and_b32 s10, s29, 3
	s_cmp_eq_u32 s10, 0
	s_cbranch_scc1 .LBB119_473
.LBB119_471:
	s_lshl_b32 s2, s28, 2
	s_add_u32 s2, s2, s4
	s_addc_u32 s3, 0, s5
	s_add_u32 s2, s2, 0xc4
	s_addc_u32 s3, s3, 0
	s_mul_i32 s8, s28, 12
	s_add_u32 s8, s4, s8
	s_addc_u32 s9, 0, s5
.LBB119_472:                            ; =>This Inner Loop Header: Depth=1
	s_load_dwordx2 s[12:13], s[8:9], 0x4
	s_load_dword s11, s[8:9], 0xc
	s_load_dword s14, s[2:3], 0x0
	s_add_u32 s8, s8, 12
	s_addc_u32 s9, s9, 0
	s_waitcnt lgkmcnt(0)
	v_mul_hi_u32 v1, s13, v0
	v_add_u32_e32 v1, v0, v1
	v_lshrrev_b32_e32 v1, s11, v1
	s_add_u32 s2, s2, 4
	v_mul_lo_u32 v2, v1, s12
	s_addc_u32 s3, s3, 0
	s_add_i32 s10, s10, -1
	v_sub_u32_e32 v2, v0, v2
	s_cmp_lg_u32 s10, 0
	v_mov_b32_e32 v0, v1
	v_mad_u64_u32 v[6:7], s[12:13], v2, s14, v[6:7]
	s_cbranch_scc1 .LBB119_472
.LBB119_473:
	s_cbranch_execnz .LBB119_476
.LBB119_474:
	s_load_dwordx4 s[8:11], s[4:5], 0x4
	s_load_dword s2, s[4:5], 0xc4
	s_cmp_lt_u32 s33, 2
	s_waitcnt lgkmcnt(0)
	v_mul_hi_u32 v0, s9, v13
	v_add_u32_e32 v0, v13, v0
	v_lshrrev_b32_e32 v0, s10, v0
	v_mul_lo_u32 v1, v0, s8
	v_sub_u32_e32 v1, v13, v1
	v_mul_lo_u32 v6, v1, s2
	s_cbranch_scc1 .LBB119_476
; %bb.475:
	s_load_dwordx4 s[8:11], s[4:5], 0x10
	s_load_dword s2, s[4:5], 0xc8
	s_waitcnt lgkmcnt(0)
	v_mul_hi_u32 v1, s9, v0
	v_add_u32_e32 v1, v0, v1
	v_lshrrev_b32_e32 v1, s10, v1
	v_mul_lo_u32 v1, v1, s8
	v_sub_u32_e32 v0, v0, v1
	v_mad_u64_u32 v[6:7], s[2:3], v0, s2, v[6:7]
.LBB119_476:
	s_and_b64 vcc, exec, s[0:1]
	v_add_u32_e32 v0, 0x80, v13
	s_cbranch_vccnz .LBB119_482
; %bb.477:
	s_mov_b32 s28, 0
	s_cmp_eq_u32 s33, 0
	v_mov_b32_e32 v4, 0
	s_cbranch_scc1 .LBB119_486
; %bb.478:
	s_min_u32 s29, s74, 15
	s_add_i32 s29, s29, 1
	s_cmp_eq_u32 s74, 2
	v_mov_b32_e32 v4, 0
	s_cbranch_scc1 .LBB119_483
; %bb.479:
	s_add_u32 s2, s4, 0xc4
	s_addc_u32 s3, s5, 0
	s_and_b32 s28, s29, 28
	s_mov_b32 s30, 0
	v_mov_b32_e32 v4, 0
	s_mov_b64 s[26:27], s[4:5]
	v_mov_b32_e32 v1, v0
.LBB119_480:                            ; =>This Inner Loop Header: Depth=1
	s_load_dwordx8 s[8:15], s[26:27], 0x4
	s_load_dwordx4 s[16:19], s[26:27], 0x24
	s_load_dwordx4 s[20:23], s[2:3], 0x0
	s_add_u32 s26, s26, 48
	s_addc_u32 s27, s27, 0
	s_waitcnt lgkmcnt(0)
	v_mul_hi_u32 v2, s9, v1
	v_add_u32_e32 v2, v1, v2
	v_lshrrev_b32_e32 v2, s10, v2
	v_mul_lo_u32 v3, v2, s8
	v_mul_hi_u32 v5, s12, v2
	v_sub_u32_e32 v1, v1, v3
	v_add_u32_e32 v3, v2, v5
	v_lshrrev_b32_e32 v3, s13, v3
	v_mul_lo_u32 v5, v3, s11
	v_mul_hi_u32 v7, s15, v3
	v_sub_u32_e32 v2, v2, v5
	v_add_u32_e32 v5, v3, v7
	v_mul_lo_u32 v1, v1, s20
	v_mul_lo_u32 v2, v2, s21
	v_lshrrev_b32_e32 v5, s16, v5
	v_add3_u32 v2, v1, v4, v2
	v_mul_lo_u32 v1, v5, s14
	v_mul_hi_u32 v4, s18, v5
	v_sub_u32_e32 v1, v3, v1
	v_add_u32_e32 v3, v5, v4
	v_mul_lo_u32 v4, v1, s22
	v_lshrrev_b32_e32 v1, s19, v3
	s_add_i32 s30, s30, 4
	v_mul_lo_u32 v3, v1, s17
	s_add_u32 s2, s2, 16
	v_sub_u32_e32 v3, v5, v3
	s_addc_u32 s3, s3, 0
	v_mul_lo_u32 v3, v3, s23
	s_cmp_lg_u32 s28, s30
	v_add3_u32 v4, v4, v2, v3
	s_cbranch_scc1 .LBB119_480
; %bb.481:
	s_and_b32 s10, s29, 3
	s_cmp_eq_u32 s10, 0
	s_cbranch_scc0 .LBB119_484
	s_branch .LBB119_486
.LBB119_482:
                                        ; implicit-def: $vgpr4
	s_branch .LBB119_487
.LBB119_483:
	v_mov_b32_e32 v1, v0
	s_and_b32 s10, s29, 3
	s_cmp_eq_u32 s10, 0
	s_cbranch_scc1 .LBB119_486
.LBB119_484:
	s_lshl_b32 s2, s28, 2
	s_add_u32 s2, s2, s4
	s_addc_u32 s3, 0, s5
	s_add_u32 s2, s2, 0xc4
	s_addc_u32 s3, s3, 0
	s_mul_i32 s8, s28, 12
	s_add_u32 s8, s4, s8
	s_addc_u32 s9, 0, s5
.LBB119_485:                            ; =>This Inner Loop Header: Depth=1
	s_load_dwordx2 s[12:13], s[8:9], 0x4
	s_load_dword s11, s[8:9], 0xc
	s_load_dword s14, s[2:3], 0x0
	s_add_u32 s8, s8, 12
	s_addc_u32 s9, s9, 0
	s_waitcnt lgkmcnt(0)
	v_mul_hi_u32 v2, s13, v1
	v_add_u32_e32 v2, v1, v2
	v_lshrrev_b32_e32 v2, s11, v2
	s_add_u32 s2, s2, 4
	v_mul_lo_u32 v3, v2, s12
	s_addc_u32 s3, s3, 0
	s_add_i32 s10, s10, -1
	v_sub_u32_e32 v3, v1, v3
	s_cmp_lg_u32 s10, 0
	v_mov_b32_e32 v1, v2
	v_mad_u64_u32 v[4:5], s[12:13], v3, s14, v[4:5]
	s_cbranch_scc1 .LBB119_485
.LBB119_486:
	s_cbranch_execnz .LBB119_489
.LBB119_487:
	s_load_dwordx4 s[8:11], s[4:5], 0x4
	s_load_dword s2, s[4:5], 0xc4
	s_cmp_lt_u32 s33, 2
	s_waitcnt lgkmcnt(0)
	v_mul_hi_u32 v1, s9, v0
	v_add_u32_e32 v1, v0, v1
	v_lshrrev_b32_e32 v1, s10, v1
	v_mul_lo_u32 v2, v1, s8
	v_sub_u32_e32 v0, v0, v2
	v_mul_lo_u32 v4, v0, s2
	s_cbranch_scc1 .LBB119_489
; %bb.488:
	s_load_dwordx4 s[8:11], s[4:5], 0x10
	s_load_dword s2, s[4:5], 0xc8
	s_waitcnt lgkmcnt(0)
	v_mul_hi_u32 v0, s9, v1
	v_add_u32_e32 v0, v1, v0
	v_lshrrev_b32_e32 v0, s10, v0
	v_mul_lo_u32 v0, v0, s8
	v_sub_u32_e32 v0, v1, v0
	v_mad_u64_u32 v[4:5], s[2:3], v0, s2, v[4:5]
.LBB119_489:
	s_and_b64 vcc, exec, s[0:1]
	v_add_u32_e32 v0, 0x100, v13
	s_cbranch_vccnz .LBB119_495
; %bb.490:
	s_mov_b32 s28, 0
	s_cmp_eq_u32 s33, 0
	v_mov_b32_e32 v2, 0
	s_cbranch_scc1 .LBB119_499
; %bb.491:
	s_min_u32 s29, s74, 15
	s_add_i32 s29, s29, 1
	s_cmp_eq_u32 s74, 2
	v_mov_b32_e32 v2, 0
	s_cbranch_scc1 .LBB119_496
; %bb.492:
	s_add_u32 s2, s4, 0xc4
	s_addc_u32 s3, s5, 0
	s_and_b32 s28, s29, 28
	s_mov_b32 s30, 0
	v_mov_b32_e32 v2, 0
	s_mov_b64 s[26:27], s[4:5]
	v_mov_b32_e32 v1, v0
.LBB119_493:                            ; =>This Inner Loop Header: Depth=1
	s_load_dwordx8 s[8:15], s[26:27], 0x4
	s_load_dwordx4 s[16:19], s[26:27], 0x24
	s_load_dwordx4 s[20:23], s[2:3], 0x0
	s_add_u32 s26, s26, 48
	s_addc_u32 s27, s27, 0
	s_waitcnt lgkmcnt(0)
	v_mul_hi_u32 v3, s9, v1
	v_add_u32_e32 v3, v1, v3
	v_lshrrev_b32_e32 v3, s10, v3
	v_mul_lo_u32 v5, v3, s8
	v_mul_hi_u32 v7, s12, v3
	v_sub_u32_e32 v1, v1, v5
	v_add_u32_e32 v5, v3, v7
	v_lshrrev_b32_e32 v5, s13, v5
	v_mul_lo_u32 v7, v5, s11
	v_mul_hi_u32 v8, s15, v5
	v_sub_u32_e32 v3, v3, v7
	v_add_u32_e32 v7, v5, v8
	v_mul_lo_u32 v1, v1, s20
	v_mul_lo_u32 v3, v3, s21
	v_lshrrev_b32_e32 v7, s16, v7
	v_add3_u32 v2, v1, v2, v3
	v_mul_lo_u32 v1, v7, s14
	v_mul_hi_u32 v3, s18, v7
	v_sub_u32_e32 v1, v5, v1
	v_add_u32_e32 v3, v7, v3
	v_mul_lo_u32 v5, v1, s22
	v_lshrrev_b32_e32 v1, s19, v3
	s_add_i32 s30, s30, 4
	v_mul_lo_u32 v3, v1, s17
	s_add_u32 s2, s2, 16
	v_sub_u32_e32 v3, v7, v3
	s_addc_u32 s3, s3, 0
	v_mul_lo_u32 v3, v3, s23
	s_cmp_lg_u32 s28, s30
	v_add3_u32 v2, v5, v2, v3
	s_cbranch_scc1 .LBB119_493
; %bb.494:
	s_and_b32 s10, s29, 3
	s_cmp_eq_u32 s10, 0
	s_cbranch_scc0 .LBB119_497
	s_branch .LBB119_499
.LBB119_495:
                                        ; implicit-def: $vgpr2
	s_branch .LBB119_500
.LBB119_496:
	v_mov_b32_e32 v1, v0
	s_and_b32 s10, s29, 3
	s_cmp_eq_u32 s10, 0
	s_cbranch_scc1 .LBB119_499
.LBB119_497:
	s_lshl_b32 s2, s28, 2
	s_add_u32 s2, s2, s4
	s_addc_u32 s3, 0, s5
	s_add_u32 s2, s2, 0xc4
	s_addc_u32 s3, s3, 0
	s_mul_i32 s8, s28, 12
	s_add_u32 s8, s4, s8
	s_addc_u32 s9, 0, s5
.LBB119_498:                            ; =>This Inner Loop Header: Depth=1
	s_load_dwordx2 s[12:13], s[8:9], 0x4
	s_load_dword s11, s[8:9], 0xc
	s_load_dword s14, s[2:3], 0x0
	s_add_u32 s8, s8, 12
	s_addc_u32 s9, s9, 0
	s_waitcnt lgkmcnt(0)
	v_mul_hi_u32 v3, s13, v1
	v_add_u32_e32 v3, v1, v3
	v_lshrrev_b32_e32 v3, s11, v3
	s_add_u32 s2, s2, 4
	v_mul_lo_u32 v5, v3, s12
	s_addc_u32 s3, s3, 0
	s_add_i32 s10, s10, -1
	v_sub_u32_e32 v5, v1, v5
	s_cmp_lg_u32 s10, 0
	v_mov_b32_e32 v1, v3
	v_mad_u64_u32 v[2:3], s[12:13], v5, s14, v[2:3]
	s_cbranch_scc1 .LBB119_498
.LBB119_499:
	s_cbranch_execnz .LBB119_502
.LBB119_500:
	s_load_dwordx4 s[8:11], s[4:5], 0x4
	s_load_dword s2, s[4:5], 0xc4
	s_cmp_lt_u32 s33, 2
	s_waitcnt lgkmcnt(0)
	v_mul_hi_u32 v1, s9, v0
	v_add_u32_e32 v1, v0, v1
	v_lshrrev_b32_e32 v1, s10, v1
	v_mul_lo_u32 v2, v1, s8
	v_sub_u32_e32 v0, v0, v2
	v_mul_lo_u32 v2, v0, s2
	s_cbranch_scc1 .LBB119_502
; %bb.501:
	s_load_dwordx4 s[8:11], s[4:5], 0x10
	s_load_dword s2, s[4:5], 0xc8
	s_waitcnt lgkmcnt(0)
	v_mul_hi_u32 v0, s9, v1
	v_add_u32_e32 v0, v1, v0
	v_lshrrev_b32_e32 v0, s10, v0
	v_mul_lo_u32 v0, v0, s8
	v_sub_u32_e32 v0, v1, v0
	v_mad_u64_u32 v[2:3], s[2:3], v0, s2, v[2:3]
.LBB119_502:
	s_and_b64 vcc, exec, s[0:1]
	s_cbranch_vccnz .LBB119_508
; %bb.503:
	s_mov_b32 s26, 0
	s_cmp_eq_u32 s33, 0
	v_mov_b32_e32 v0, 0
	s_cbranch_scc1 .LBB119_512
; %bb.504:
	s_min_u32 s27, s74, 15
	s_add_i32 s27, s27, 1
	s_cmp_eq_u32 s74, 2
	v_mov_b32_e32 v0, 0
	s_cbranch_scc1 .LBB119_509
; %bb.505:
	s_add_u32 s20, s4, 0xc4
	s_addc_u32 s21, s5, 0
	s_and_b32 s26, s27, 28
	s_mov_b32 s28, 0
	v_mov_b32_e32 v0, 0
	s_mov_b64 s[22:23], s[4:5]
	v_mov_b32_e32 v3, v9
.LBB119_506:                            ; =>This Inner Loop Header: Depth=1
	s_load_dwordx8 s[8:15], s[22:23], 0x4
	s_load_dwordx4 s[0:3], s[22:23], 0x24
	s_load_dwordx4 s[16:19], s[20:21], 0x0
	s_add_u32 s22, s22, 48
	s_addc_u32 s23, s23, 0
	s_waitcnt lgkmcnt(0)
	v_mul_hi_u32 v1, s9, v3
	v_add_u32_e32 v1, v3, v1
	v_lshrrev_b32_e32 v1, s10, v1
	v_mul_lo_u32 v5, v1, s8
	v_mul_hi_u32 v7, s12, v1
	v_sub_u32_e32 v3, v3, v5
	v_add_u32_e32 v5, v1, v7
	v_lshrrev_b32_e32 v5, s13, v5
	v_mul_lo_u32 v7, v5, s11
	v_mul_hi_u32 v8, s15, v5
	v_sub_u32_e32 v1, v1, v7
	v_add_u32_e32 v7, v5, v8
	v_mul_lo_u32 v3, v3, s16
	v_mul_lo_u32 v1, v1, s17
	v_lshrrev_b32_e32 v7, s0, v7
	v_add3_u32 v0, v3, v0, v1
	v_mul_hi_u32 v3, s2, v7
	v_add_u32_e32 v3, v7, v3
	v_mul_lo_u32 v1, v7, s14
	v_lshrrev_b32_e32 v3, s3, v3
	s_add_i32 s28, s28, 4
	v_sub_u32_e32 v1, v5, v1
	v_mul_lo_u32 v5, v3, s1
	s_add_u32 s20, s20, 16
	v_sub_u32_e32 v5, v7, v5
	s_addc_u32 s21, s21, 0
	v_mul_lo_u32 v1, v1, s18
	v_mul_lo_u32 v5, v5, s19
	s_cmp_lg_u32 s26, s28
	v_add3_u32 v0, v1, v0, v5
	s_cbranch_scc1 .LBB119_506
; %bb.507:
	s_and_b32 s8, s27, 3
	s_cmp_eq_u32 s8, 0
	s_cbranch_scc0 .LBB119_510
	s_branch .LBB119_512
.LBB119_508:
                                        ; implicit-def: $vgpr0
	s_branch .LBB119_513
.LBB119_509:
	v_mov_b32_e32 v3, v9
	s_and_b32 s8, s27, 3
	s_cmp_eq_u32 s8, 0
	s_cbranch_scc1 .LBB119_512
.LBB119_510:
	s_lshl_b32 s0, s26, 2
	s_add_u32 s0, s0, s4
	s_addc_u32 s1, 0, s5
	s_add_u32 s0, s0, 0xc4
	s_addc_u32 s1, s1, 0
	s_mul_i32 s2, s26, 12
	s_add_u32 s2, s4, s2
	s_addc_u32 s3, 0, s5
.LBB119_511:                            ; =>This Inner Loop Header: Depth=1
	s_load_dwordx2 s[10:11], s[2:3], 0x4
	s_load_dword s9, s[2:3], 0xc
	s_load_dword s12, s[0:1], 0x0
	s_add_u32 s2, s2, 12
	s_addc_u32 s3, s3, 0
	s_waitcnt lgkmcnt(0)
	v_mul_hi_u32 v1, s11, v3
	v_add_u32_e32 v1, v3, v1
	v_lshrrev_b32_e32 v1, s9, v1
	s_add_u32 s0, s0, 4
	v_mul_lo_u32 v5, v1, s10
	s_addc_u32 s1, s1, 0
	s_add_i32 s8, s8, -1
	v_sub_u32_e32 v5, v3, v5
	s_cmp_lg_u32 s8, 0
	v_mov_b32_e32 v3, v1
	v_mad_u64_u32 v[0:1], s[10:11], v5, s12, v[0:1]
	s_cbranch_scc1 .LBB119_511
.LBB119_512:
	s_cbranch_execnz .LBB119_515
.LBB119_513:
	s_load_dwordx4 s[0:3], s[4:5], 0x4
	s_waitcnt lgkmcnt(0)
	s_load_dword s3, s[4:5], 0xc4
	s_cmp_lt_u32 s33, 2
	v_mul_hi_u32 v0, s1, v9
	v_add_u32_e32 v0, v9, v0
	v_lshrrev_b32_e32 v1, s2, v0
	v_mul_lo_u32 v0, v1, s0
	v_sub_u32_e32 v0, v9, v0
	s_waitcnt lgkmcnt(0)
	v_mul_lo_u32 v0, v0, s3
	s_cbranch_scc1 .LBB119_515
; %bb.514:
	s_load_dwordx4 s[0:3], s[4:5], 0x10
	s_waitcnt lgkmcnt(0)
	s_load_dword s3, s[4:5], 0xc8
	v_mul_hi_u32 v3, s1, v1
	v_add_u32_e32 v3, v1, v3
	v_lshrrev_b32_e32 v3, s2, v3
	v_mul_lo_u32 v3, v3, s0
	v_sub_u32_e32 v1, v1, v3
	s_waitcnt lgkmcnt(0)
	v_mad_u64_u32 v[0:1], s[0:1], v1, s3, v[0:1]
.LBB119_515:
	s_load_dwordx2 s[8:9], s[4:5], 0x108
	s_load_dword s16, s[4:5], 0x110
	s_waitcnt lgkmcnt(0)
	v_mov_b32_e32 v1, s9
	v_add_co_u32_e32 v6, vcc, s8, v6
	v_lshrrev_b16_e64 v8, 8, s16
	v_addc_co_u32_e32 v7, vcc, 0, v1, vcc
	v_cmp_gt_i16_e64 s[0:1], 11, v8
	s_and_b64 vcc, exec, s[0:1]
	s_cbranch_vccnz .LBB119_543
; %bb.516:
	v_cmp_lt_i16_e32 vcc, 25, v8
	s_mov_b64 s[12:13], -1
	s_mov_b64 s[4:5], 0
	s_mov_b64 s[10:11], 0
	;; [unrolled: 1-line block ×3, first 2 shown]
	s_cbranch_vccz .LBB119_553
; %bb.517:
	v_cmp_lt_i16_e32 vcc, 28, v8
	s_cbranch_vccz .LBB119_532
; %bb.518:
	v_cmp_lt_i16_e32 vcc, 43, v8
	;; [unrolled: 3-line block ×3, first 2 shown]
	s_cbranch_vccz .LBB119_522
; %bb.520:
	v_cmp_eq_u16_e32 vcc, 46, v8
	s_mov_b64 s[2:3], -1
	s_mov_b64 s[12:13], 0
	s_cbranch_vccz .LBB119_522
; %bb.521:
	s_lshl_b32 s2, s16, 8
	s_lshl_b32 s3, s16, 25
	s_lshr_b32 s10, s3, 4
	s_and_b32 s2, s2, 0x7f00
	s_or_b32 s10, s10, 0x70000000
	s_or_b32 s2, s2, 0.5
	s_cmp_lt_u32 s3, 0x8000000
	v_mov_b32_e32 v3, 0x7800000
	v_add_f32_e64 v1, s2, -0.5
	v_mul_f32_e32 v3, s10, v3
	s_cselect_b64 vcc, -1, 0
	s_lshl_b32 s2, s16, 24
	v_cndmask_b32_e32 v1, v3, v1, vcc
	s_and_b32 s2, s2, 0x80000000
	v_or_b32_e32 v3, s2, v1
	v_bfe_u32 v1, v1, 16, 1
	v_add_u32_e32 v1, v3, v1
	v_add_u32_e32 v1, 0x7fff, v1
	v_lshrrev_b32_e32 v1, 16, v1
	v_mov_b32_e32 v5, 0x7fc0
	v_cmp_o_f32_e32 vcc, v3, v3
	v_cndmask_b32_e32 v1, v5, v1, vcc
	global_store_dword v[6:7], v1, off
	s_mov_b64 s[2:3], 0
	s_mov_b64 s[10:11], -1
.LBB119_522:
	s_and_b64 vcc, exec, s[12:13]
	s_cbranch_vccz .LBB119_527
; %bb.523:
	v_cmp_eq_u16_e32 vcc, 44, v8
	s_mov_b64 s[2:3], -1
	s_cbranch_vccz .LBB119_527
; %bb.524:
	s_lshl_b32 s2, s16, 8
	s_lshl_b32 s3, s16, 25
	s_lshr_b32 s10, s3, 4
	s_and_b32 s2, s2, 0x7f00
	s_or_b32 s10, s10, 0x70000000
	s_or_b32 s2, s2, 0.5
	s_cmp_lt_u32 s3, 0x8000000
	v_mov_b32_e32 v3, 0x7800000
	v_add_f32_e64 v1, s2, -0.5
	v_mul_f32_e32 v3, s10, v3
	s_cselect_b64 vcc, -1, 0
	v_cndmask_b32_e32 v1, v3, v1, vcc
	v_readfirstlane_b32 s2, v1
	s_bfe_u32 s3, s2, 0x80017
	s_cmpk_eq_i32 s3, 0xff
	v_mov_b32_e32 v3, 0xff
	s_cbranch_scc1 .LBB119_526
; %bb.525:
	s_bitcmp1_b32 s2, 22
	s_cselect_b64 s[10:11], -1, 0
	s_and_b32 s2, s2, 0x3fffff
	s_or_b32 s2, s3, s2
	s_cmp_lg_u32 s2, 0
	s_cselect_b64 s[2:3], -1, 0
	s_and_b64 s[2:3], s[10:11], s[2:3]
	v_lshrrev_b32_e32 v1, 23, v1
	v_cndmask_b32_e64 v3, 0, 1, s[2:3]
	v_add_u32_e32 v3, v1, v3
.LBB119_526:
	s_mov_b64 s[2:3], 0
	s_mov_b64 s[10:11], -1
	global_store_byte v[6:7], v3, off
.LBB119_527:
	s_mov_b64 s[12:13], 0
.LBB119_528:
	s_and_b64 vcc, exec, s[12:13]
	s_cbranch_vccz .LBB119_531
; %bb.529:
	v_cmp_eq_u16_e32 vcc, 29, v8
	s_mov_b64 s[2:3], -1
	s_cbranch_vccz .LBB119_531
; %bb.530:
	s_lshl_b32 s2, s16, 8
	s_lshl_b32 s3, s16, 25
	s_lshr_b32 s10, s3, 4
	s_and_b32 s2, s2, 0x7f00
	s_or_b32 s10, s10, 0x70000000
	s_or_b32 s2, s2, 0.5
	s_cmp_lt_u32 s3, 0x8000000
	v_mov_b32_e32 v3, 0x7800000
	v_add_f32_e64 v1, s2, -0.5
	v_mul_f32_e32 v3, s10, v3
	s_cselect_b64 vcc, -1, 0
	s_lshl_b32 s2, s16, 24
	v_cndmask_b32_e32 v1, v3, v1, vcc
	s_and_b32 s2, s2, 0x80000000
	v_or_b32_e32 v1, s2, v1
	v_trunc_f32_e32 v1, v1
	v_mul_f32_e32 v3, 0x2f800000, v1
	v_floor_f32_e32 v3, v3
	v_fmac_f32_e32 v1, 0xcf800000, v3
	v_cvt_u32_f32_e32 v10, v1
	v_cvt_u32_f32_e32 v11, v3
	s_mov_b64 s[2:3], 0
	s_mov_b64 s[10:11], -1
	global_store_dwordx2 v[6:7], v[10:11], off
.LBB119_531:
	s_mov_b64 s[12:13], 0
.LBB119_532:
	s_and_b64 vcc, exec, s[12:13]
	s_cbranch_vccz .LBB119_552
; %bb.533:
	v_cmp_gt_i16_e32 vcc, 27, v8
	s_mov_b64 s[10:11], -1
	s_cbranch_vccnz .LBB119_539
; %bb.534:
	v_cmp_lt_i16_e32 vcc, 27, v8
	s_cbranch_vccz .LBB119_536
; %bb.535:
	s_lshl_b32 s10, s16, 8
	s_lshl_b32 s11, s16, 25
	s_lshr_b32 s12, s11, 4
	s_and_b32 s10, s10, 0x7f00
	s_or_b32 s12, s12, 0x70000000
	s_or_b32 s10, s10, 0.5
	s_cmp_lt_u32 s11, 0x8000000
	v_mov_b32_e32 v3, 0x7800000
	v_add_f32_e64 v1, s10, -0.5
	v_mul_f32_e32 v3, s12, v3
	s_cselect_b64 vcc, -1, 0
	s_lshl_b32 s10, s16, 24
	v_cndmask_b32_e32 v1, v3, v1, vcc
	s_and_b32 s10, s10, 0x80000000
	v_or_b32_e32 v1, s10, v1
	v_cvt_u32_f32_e32 v1, v1
	s_mov_b64 s[10:11], 0
	global_store_dword v[6:7], v1, off
.LBB119_536:
	s_andn2_b64 vcc, exec, s[10:11]
	s_cbranch_vccnz .LBB119_538
; %bb.537:
	s_lshl_b32 s10, s16, 8
	s_lshl_b32 s11, s16, 25
	s_lshr_b32 s12, s11, 4
	s_and_b32 s10, s10, 0x7f00
	s_or_b32 s12, s12, 0x70000000
	s_or_b32 s10, s10, 0.5
	s_cmp_lt_u32 s11, 0x8000000
	v_mov_b32_e32 v3, 0x7800000
	v_add_f32_e64 v1, s10, -0.5
	v_mul_f32_e32 v3, s12, v3
	s_cselect_b64 vcc, -1, 0
	s_lshl_b32 s10, s16, 24
	v_cndmask_b32_e32 v1, v3, v1, vcc
	s_and_b32 s10, s10, 0x80000000
	v_or_b32_e32 v1, s10, v1
	v_cvt_u32_f32_e32 v1, v1
	global_store_short v[6:7], v1, off
.LBB119_538:
	s_mov_b64 s[10:11], 0
.LBB119_539:
	s_andn2_b64 vcc, exec, s[10:11]
	s_cbranch_vccnz .LBB119_551
; %bb.540:
	s_lshl_b32 s10, s16, 8
	s_lshl_b32 s11, s16, 25
	s_lshr_b32 s12, s11, 4
	s_and_b32 s10, s10, 0x7f00
	s_or_b32 s12, s12, 0x70000000
	s_or_b32 s10, s10, 0.5
	s_cmp_lt_u32 s11, 0x8000000
	v_mov_b32_e32 v3, 0x7800000
	v_add_f32_e64 v1, s10, -0.5
	v_mul_f32_e32 v3, s12, v3
	s_cselect_b64 vcc, -1, 0
	v_cndmask_b32_e32 v1, v3, v1, vcc
	s_lshl_b32 s10, s16, 24
	s_and_b32 s10, s10, 0x80000000
	v_readfirstlane_b32 s11, v1
	s_or_b32 s14, s10, s11
	s_and_b32 s10, s14, 0x7fffffff
	s_cmp_gt_u32 s10, 0x437fffff
	v_mov_b32_e32 v3, 0x80
	s_cbranch_scc1 .LBB119_550
; %bb.541:
	s_cmp_gt_u32 s10, 0x3bffffff
	s_cbranch_scc0 .LBB119_545
; %bb.542:
	v_bfe_u32 v1, v1, 20, 1
	v_add_u32_e32 v1, s14, v1
	v_add_u32_e32 v1, 0x487ffff, v1
	v_lshrrev_b32_e32 v1, 20, v1
	s_mov_b64 s[12:13], 0
	s_mov_b64 s[10:11], -1
	s_branch .LBB119_546
.LBB119_543:
	s_mov_b64 s[10:11], 0
	s_mov_b64 s[2:3], s[6:7]
	s_cbranch_execnz .LBB119_593
.LBB119_544:
	s_andn2_b64 vcc, exec, s[10:11]
	s_cbranch_vccz .LBB119_631
	s_branch .LBB119_909
.LBB119_545:
	s_mov_b64 s[12:13], -1
	s_mov_b64 s[10:11], 0
                                        ; implicit-def: $vgpr1
.LBB119_546:
	s_andn2_b64 vcc, exec, s[12:13]
                                        ; implicit-def: $sgpr12
	s_cbranch_vccnz .LBB119_548
; %bb.547:
	v_mov_b32_e32 v1, 0x46000000
	v_add_f32_e64 v1, |s14|, v1
	v_and_b32_e32 v1, 0xff, v1
	s_mov_b32 s12, 0
	v_cmp_ne_u32_e64 s[10:11], 0, v1
.LBB119_548:
	s_andn2_b64 vcc, exec, s[10:11]
	v_mov_b32_e32 v3, s12
	s_cbranch_vccnz .LBB119_550
; %bb.549:
	s_lshr_b32 s10, s14, 24
	s_and_b32 s10, s10, 0x80
	v_or_b32_e32 v3, s10, v1
.LBB119_550:
	global_store_byte v[6:7], v3, off
.LBB119_551:
	s_mov_b64 s[10:11], -1
.LBB119_552:
	s_mov_b64 s[12:13], 0
.LBB119_553:
	s_and_b64 vcc, exec, s[12:13]
	s_cbranch_vccz .LBB119_589
; %bb.554:
	v_cmp_lt_i16_e32 vcc, 22, v8
	s_mov_b64 s[4:5], -1
	s_cbranch_vccz .LBB119_582
; %bb.555:
	v_cmp_gt_i16_e32 vcc, 24, v8
	s_cbranch_vccnz .LBB119_579
; %bb.556:
	v_cmp_lt_i16_e32 vcc, 24, v8
	s_cbranch_vccz .LBB119_566
; %bb.557:
	s_lshl_b32 s4, s16, 8
	s_lshl_b32 s5, s16, 25
	s_lshr_b32 s10, s5, 4
	s_and_b32 s4, s4, 0x7f00
	s_or_b32 s10, s10, 0x70000000
	s_or_b32 s4, s4, 0.5
	s_cmp_lt_u32 s5, 0x8000000
	v_mov_b32_e32 v3, 0x7800000
	v_add_f32_e64 v1, s4, -0.5
	v_mul_f32_e32 v3, s10, v3
	s_cselect_b64 vcc, -1, 0
	v_cndmask_b32_e32 v1, v3, v1, vcc
	s_lshl_b32 s4, s16, 24
	s_and_b32 s4, s4, 0x80000000
	v_readfirstlane_b32 s5, v1
	s_or_b32 s12, s4, s5
	s_and_b32 s4, s12, 0x7fffffff
	s_cmp_gt_u32 s4, 0x477fffff
	v_mov_b32_e32 v3, 0x80
	s_cbranch_scc1 .LBB119_565
; %bb.558:
	s_cmp_gt_u32 s4, 0x37ffffff
	s_cbranch_scc0 .LBB119_560
; %bb.559:
	v_bfe_u32 v1, v1, 21, 1
	v_add_u32_e32 v1, s12, v1
	v_add_u32_e32 v1, 0x88fffff, v1
	v_lshrrev_b32_e32 v1, 21, v1
	s_mov_b64 s[10:11], 0
	s_mov_b64 s[4:5], -1
	s_branch .LBB119_561
.LBB119_560:
	s_mov_b64 s[10:11], -1
	s_mov_b64 s[4:5], 0
                                        ; implicit-def: $vgpr1
.LBB119_561:
	s_andn2_b64 vcc, exec, s[10:11]
                                        ; implicit-def: $sgpr10
	s_cbranch_vccnz .LBB119_563
; %bb.562:
	v_mov_b32_e32 v1, 0x42800000
	v_add_f32_e64 v1, |s12|, v1
	v_and_b32_e32 v1, 0xff, v1
	s_mov_b32 s10, 0
	v_cmp_ne_u32_e64 s[4:5], 0, v1
.LBB119_563:
	s_andn2_b64 vcc, exec, s[4:5]
	v_mov_b32_e32 v3, s10
	s_cbranch_vccnz .LBB119_565
; %bb.564:
	s_lshr_b32 s4, s12, 24
	s_and_b32 s4, s4, 0x80
	v_or_b32_e32 v3, s4, v1
.LBB119_565:
	s_mov_b64 s[4:5], 0
	global_store_byte v[6:7], v3, off
.LBB119_566:
	s_and_b64 vcc, exec, s[4:5]
	s_cbranch_vccz .LBB119_578
; %bb.567:
	s_lshl_b32 s4, s16, 8
	s_lshl_b32 s5, s16, 25
	s_lshr_b32 s10, s5, 4
	s_and_b32 s4, s4, 0x7f00
	s_or_b32 s10, s10, 0x70000000
	s_or_b32 s4, s4, 0.5
	s_cmp_lt_u32 s5, 0x8000000
	v_mov_b32_e32 v3, 0x7800000
	v_add_f32_e64 v1, s4, -0.5
	v_mul_f32_e32 v3, s10, v3
	s_cselect_b64 vcc, -1, 0
	v_cndmask_b32_e32 v1, v3, v1, vcc
	s_lshl_b32 s5, s16, 24
	v_readfirstlane_b32 s4, v1
	s_and_b32 s5, s5, 0x80000000
	s_or_b32 s10, s5, s4
	s_and_b32 s11, s10, 0x7fffffff
	s_cmp_lt_u32 s11, 0x43f00000
	s_cbranch_scc0 .LBB119_570
; %bb.568:
	s_cmp_gt_u32 s11, 0x3c7fffff
	s_cbranch_scc0 .LBB119_571
; %bb.569:
	s_bfe_u32 s4, s4, 0x10014
	s_add_i32 s4, s10, s4
	s_add_i32 s4, s4, 0x407ffff
	s_lshr_b32 s5, s4, 20
	s_and_b32 s4, s4, 0xff00000
	s_cmp_lg_u32 s4, 0x7f00000
	s_cselect_b32 s12, s5, 0x7e
	s_mov_b64 s[4:5], 0
	s_branch .LBB119_572
.LBB119_570:
	s_mov_b64 s[4:5], -1
                                        ; implicit-def: $vgpr1
	s_branch .LBB119_575
.LBB119_571:
	s_mov_b64 s[4:5], -1
                                        ; implicit-def: $sgpr12
.LBB119_572:
	s_andn2_b64 vcc, exec, s[4:5]
	v_mov_b32_e32 v1, s12
	s_cbranch_vccnz .LBB119_574
; %bb.573:
	v_mov_b32_e32 v1, 0x46800000
	v_add_f32_e64 v1, |s10|, v1
.LBB119_574:
	s_mov_b64 s[4:5], 0
.LBB119_575:
	s_andn2_b64 vcc, exec, s[4:5]
	s_cbranch_vccnz .LBB119_577
; %bb.576:
	s_cmp_gt_u32 s11, 0x7f800000
	s_movk_i32 s4, 0x7f
	s_cselect_b32 s4, s4, 0x7e
	v_mov_b32_e32 v1, s4
.LBB119_577:
	s_lshr_b32 s4, s10, 24
	s_and_b32 s4, s4, 0x80
	v_or_b32_e32 v1, s4, v1
	global_store_byte v[6:7], v1, off
.LBB119_578:
	s_mov_b64 s[4:5], 0
.LBB119_579:
	s_andn2_b64 vcc, exec, s[4:5]
	s_cbranch_vccnz .LBB119_581
; %bb.580:
	v_mov_b32_e32 v1, s16
	global_store_byte v[6:7], v1, off
.LBB119_581:
	s_mov_b64 s[4:5], 0
	s_mov_b64 s[10:11], -1
.LBB119_582:
	s_andn2_b64 vcc, exec, s[4:5]
	s_mov_b64 s[4:5], 0
	s_cbranch_vccnz .LBB119_589
; %bb.583:
	v_cmp_lt_i16_e32 vcc, 14, v8
	s_mov_b64 s[12:13], -1
	s_cbranch_vccz .LBB119_587
; %bb.584:
	v_cmp_eq_u16_e32 vcc, 15, v8
	s_mov_b64 s[2:3], -1
	s_cbranch_vccz .LBB119_586
; %bb.585:
	s_lshl_b32 s2, s16, 8
	s_lshl_b32 s3, s16, 25
	s_lshr_b32 s4, s3, 4
	s_and_b32 s2, s2, 0x7f00
	s_or_b32 s4, s4, 0x70000000
	s_or_b32 s2, s2, 0.5
	s_cmp_lt_u32 s3, 0x8000000
	v_mov_b32_e32 v3, 0x7800000
	v_add_f32_e64 v1, s2, -0.5
	v_mul_f32_e32 v3, s4, v3
	s_cselect_b64 vcc, -1, 0
	s_lshl_b32 s2, s16, 24
	v_cndmask_b32_e32 v1, v3, v1, vcc
	s_and_b32 s2, s2, 0x80000000
	v_or_b32_e32 v3, s2, v1
	v_bfe_u32 v1, v1, 16, 1
	v_add_u32_e32 v1, v3, v1
	v_add_u32_e32 v1, 0x7fff, v1
	v_lshrrev_b32_e32 v1, 16, v1
	v_mov_b32_e32 v5, 0x7fc0
	v_cmp_o_f32_e32 vcc, v3, v3
	v_cndmask_b32_e32 v1, v5, v1, vcc
	global_store_short v[6:7], v1, off
	s_mov_b64 s[2:3], 0
	s_mov_b64 s[10:11], -1
.LBB119_586:
	s_mov_b64 s[12:13], 0
.LBB119_587:
	s_mov_b64 s[4:5], 0
	s_and_b64 vcc, exec, s[12:13]
	s_cbranch_vccz .LBB119_589
; %bb.588:
	v_cmp_ne_u16_e64 s[2:3], 11, v8
	s_mov_b64 s[4:5], -1
.LBB119_589:
	s_and_b64 vcc, exec, s[2:3]
	s_mov_b64 s[2:3], s[6:7]
	s_cbranch_vccnz .LBB119_661
; %bb.590:
	s_andn2_b64 vcc, exec, s[4:5]
	s_cbranch_vccnz .LBB119_592
.LBB119_591:
	s_lshl_b32 s4, s16, 8
	s_lshl_b32 s5, s16, 25
	s_lshr_b32 s10, s5, 4
	s_and_b32 s4, s4, 0x7f00
	s_or_b32 s10, s10, 0x70000000
	s_or_b32 s4, s4, 0.5
	s_cmp_lt_u32 s5, 0x8000000
	v_mov_b32_e32 v3, 0x7800000
	v_add_f32_e64 v1, s4, -0.5
	v_mul_f32_e32 v3, s10, v3
	s_cselect_b64 vcc, -1, 0
	v_cndmask_b32_e32 v1, v3, v1, vcc
	v_cmp_neq_f32_e32 vcc, 0, v1
	v_cndmask_b32_e64 v1, 0, 1, vcc
	global_store_byte v[6:7], v1, off
	s_mov_b64 s[10:11], -1
.LBB119_592:
	s_branch .LBB119_544
.LBB119_593:
	v_cmp_gt_i16_e32 vcc, 5, v8
	s_mov_b64 s[4:5], -1
	s_cbranch_vccnz .LBB119_614
; %bb.594:
	v_cmp_gt_i16_e32 vcc, 8, v8
	s_cbranch_vccnz .LBB119_604
; %bb.595:
	v_cmp_gt_i16_e32 vcc, 9, v8
	s_cbranch_vccnz .LBB119_601
; %bb.596:
	v_cmp_lt_i16_e32 vcc, 9, v8
	s_cbranch_vccz .LBB119_598
; %bb.597:
	s_lshl_b32 s4, s16, 8
	s_lshl_b32 s5, s16, 25
	s_lshr_b32 s10, s5, 4
	s_and_b32 s4, s4, 0x7f00
	s_or_b32 s10, s10, 0x70000000
	s_or_b32 s4, s4, 0.5
	s_cmp_lt_u32 s5, 0x8000000
	v_mov_b32_e32 v3, 0x7800000
	v_add_f32_e64 v1, s4, -0.5
	v_mul_f32_e32 v3, s10, v3
	s_cselect_b64 vcc, -1, 0
	s_lshl_b32 s4, s16, 24
	v_cndmask_b32_e32 v1, v3, v1, vcc
	s_and_b32 s4, s4, 0x80000000
	v_or_b32_e32 v1, s4, v1
	v_mov_b32_e32 v12, 0
	v_cvt_f64_f32_e32 v[10:11], v1
	v_mov_b32_e32 v13, v12
	global_store_dwordx4 v[6:7], v[10:13], off
	s_mov_b64 s[4:5], 0
.LBB119_598:
	s_andn2_b64 vcc, exec, s[4:5]
	s_cbranch_vccnz .LBB119_600
; %bb.599:
	s_lshl_b32 s4, s16, 8
	s_lshl_b32 s5, s16, 25
	s_lshr_b32 s10, s5, 4
	s_and_b32 s4, s4, 0x7f00
	s_or_b32 s10, s10, 0x70000000
	s_or_b32 s4, s4, 0.5
	s_cmp_lt_u32 s5, 0x8000000
	v_mov_b32_e32 v3, 0x7800000
	v_add_f32_e64 v1, s4, -0.5
	v_mul_f32_e32 v3, s10, v3
	s_cselect_b64 vcc, -1, 0
	s_lshl_b32 s4, s16, 24
	v_cndmask_b32_e32 v1, v3, v1, vcc
	s_and_b32 s4, s4, 0x80000000
	v_or_b32_e32 v10, s4, v1
	v_mov_b32_e32 v11, 0
	global_store_dwordx2 v[6:7], v[10:11], off
.LBB119_600:
	s_mov_b64 s[4:5], 0
.LBB119_601:
	s_andn2_b64 vcc, exec, s[4:5]
	s_cbranch_vccnz .LBB119_603
; %bb.602:
	s_lshl_b32 s4, s16, 8
	s_lshl_b32 s5, s16, 25
	s_lshr_b32 s10, s5, 4
	s_and_b32 s4, s4, 0x7f00
	s_or_b32 s10, s10, 0x70000000
	s_or_b32 s4, s4, 0.5
	s_cmp_lt_u32 s5, 0x8000000
	v_mov_b32_e32 v3, 0x7800000
	v_add_f32_e64 v1, s4, -0.5
	v_mul_f32_e32 v3, s10, v3
	s_cselect_b64 vcc, -1, 0
	s_lshl_b32 s4, s16, 24
	v_cndmask_b32_e32 v1, v3, v1, vcc
	s_and_b32 s4, s4, 0x80000000
	v_or_b32_e32 v1, s4, v1
	v_cvt_f16_f32_e32 v1, v1
	global_store_dword v[6:7], v1, off
.LBB119_603:
	s_mov_b64 s[4:5], 0
.LBB119_604:
	s_andn2_b64 vcc, exec, s[4:5]
	s_cbranch_vccnz .LBB119_613
; %bb.605:
	v_cmp_gt_i16_e32 vcc, 6, v8
	s_mov_b64 s[4:5], -1
	s_cbranch_vccnz .LBB119_611
; %bb.606:
	v_cmp_lt_i16_e32 vcc, 6, v8
	s_cbranch_vccz .LBB119_608
; %bb.607:
	s_lshl_b32 s4, s16, 8
	s_lshl_b32 s5, s16, 25
	s_lshr_b32 s10, s5, 4
	s_and_b32 s4, s4, 0x7f00
	s_or_b32 s10, s10, 0x70000000
	s_or_b32 s4, s4, 0.5
	s_cmp_lt_u32 s5, 0x8000000
	v_mov_b32_e32 v3, 0x7800000
	v_add_f32_e64 v1, s4, -0.5
	v_mul_f32_e32 v3, s10, v3
	s_cselect_b64 vcc, -1, 0
	s_lshl_b32 s4, s16, 24
	v_cndmask_b32_e32 v1, v3, v1, vcc
	s_and_b32 s4, s4, 0x80000000
	v_or_b32_e32 v1, s4, v1
	v_cvt_f64_f32_e32 v[10:11], v1
	global_store_dwordx2 v[6:7], v[10:11], off
	s_mov_b64 s[4:5], 0
.LBB119_608:
	s_andn2_b64 vcc, exec, s[4:5]
	s_cbranch_vccnz .LBB119_610
; %bb.609:
	s_lshl_b32 s4, s16, 8
	s_lshl_b32 s5, s16, 25
	s_lshr_b32 s10, s5, 4
	s_and_b32 s4, s4, 0x7f00
	s_or_b32 s10, s10, 0x70000000
	s_or_b32 s4, s4, 0.5
	s_cmp_lt_u32 s5, 0x8000000
	v_mov_b32_e32 v3, 0x7800000
	v_add_f32_e64 v1, s4, -0.5
	v_mul_f32_e32 v3, s10, v3
	s_cselect_b64 vcc, -1, 0
	s_lshl_b32 s4, s16, 24
	v_cndmask_b32_e32 v1, v3, v1, vcc
	s_and_b32 s4, s4, 0x80000000
	v_or_b32_e32 v1, s4, v1
	global_store_dword v[6:7], v1, off
.LBB119_610:
	s_mov_b64 s[4:5], 0
.LBB119_611:
	s_andn2_b64 vcc, exec, s[4:5]
	s_cbranch_vccnz .LBB119_613
; %bb.612:
	s_lshl_b32 s4, s16, 8
	s_lshl_b32 s5, s16, 25
	s_lshr_b32 s10, s5, 4
	s_and_b32 s4, s4, 0x7f00
	s_or_b32 s10, s10, 0x70000000
	s_or_b32 s4, s4, 0.5
	s_cmp_lt_u32 s5, 0x8000000
	v_mov_b32_e32 v3, 0x7800000
	v_add_f32_e64 v1, s4, -0.5
	v_mul_f32_e32 v3, s10, v3
	s_cselect_b64 vcc, -1, 0
	s_lshl_b32 s4, s16, 24
	v_cndmask_b32_e32 v1, v3, v1, vcc
	s_and_b32 s4, s4, 0x80000000
	v_or_b32_e32 v1, s4, v1
	v_cvt_f16_f32_e32 v1, v1
	global_store_short v[6:7], v1, off
.LBB119_613:
	s_mov_b64 s[4:5], 0
.LBB119_614:
	s_andn2_b64 vcc, exec, s[4:5]
	s_cbranch_vccnz .LBB119_630
; %bb.615:
	v_cmp_gt_i16_e32 vcc, 2, v8
	s_mov_b64 s[4:5], -1
	s_cbranch_vccnz .LBB119_625
; %bb.616:
	v_cmp_gt_i16_e32 vcc, 3, v8
	s_cbranch_vccnz .LBB119_622
; %bb.617:
	v_cmp_lt_i16_e32 vcc, 3, v8
	s_cbranch_vccz .LBB119_619
; %bb.618:
	s_lshl_b32 s4, s16, 8
	s_lshl_b32 s5, s16, 25
	s_lshr_b32 s10, s5, 4
	s_and_b32 s4, s4, 0x7f00
	s_or_b32 s10, s10, 0x70000000
	s_or_b32 s4, s4, 0.5
	s_cmp_lt_u32 s5, 0x8000000
	v_mov_b32_e32 v3, 0x7800000
	v_add_f32_e64 v1, s4, -0.5
	v_mul_f32_e32 v3, s10, v3
	s_cselect_b64 vcc, -1, 0
	s_lshl_b32 s4, s16, 24
	v_cndmask_b32_e32 v1, v3, v1, vcc
	s_and_b32 s4, s4, 0x80000000
	v_or_b32_e32 v1, s4, v1
	v_trunc_f32_e32 v1, v1
	s_mov_b32 s4, 0x2f800000
	v_mul_f32_e64 v3, |v1|, s4
	v_floor_f32_e32 v3, v3
	s_mov_b32 s4, 0xcf800000
	v_fma_f32 v5, v3, s4, |v1|
	v_cvt_u32_f32_e32 v5, v5
	v_cvt_u32_f32_e32 v3, v3
	v_ashrrev_i32_e32 v1, 31, v1
	s_mov_b64 s[4:5], 0
	v_xor_b32_e32 v5, v5, v1
	v_xor_b32_e32 v3, v3, v1
	v_sub_co_u32_e32 v10, vcc, v5, v1
	v_subb_co_u32_e32 v11, vcc, v3, v1, vcc
	global_store_dwordx2 v[6:7], v[10:11], off
.LBB119_619:
	s_andn2_b64 vcc, exec, s[4:5]
	s_cbranch_vccnz .LBB119_621
; %bb.620:
	s_lshl_b32 s4, s16, 8
	s_lshl_b32 s5, s16, 25
	s_lshr_b32 s10, s5, 4
	s_and_b32 s4, s4, 0x7f00
	s_or_b32 s10, s10, 0x70000000
	s_or_b32 s4, s4, 0.5
	s_cmp_lt_u32 s5, 0x8000000
	v_mov_b32_e32 v3, 0x7800000
	v_add_f32_e64 v1, s4, -0.5
	v_mul_f32_e32 v3, s10, v3
	s_cselect_b64 vcc, -1, 0
	s_lshl_b32 s4, s16, 24
	v_cndmask_b32_e32 v1, v3, v1, vcc
	s_and_b32 s4, s4, 0x80000000
	v_or_b32_e32 v1, s4, v1
	v_cvt_i32_f32_e32 v1, v1
	global_store_dword v[6:7], v1, off
.LBB119_621:
	s_mov_b64 s[4:5], 0
.LBB119_622:
	s_andn2_b64 vcc, exec, s[4:5]
	s_cbranch_vccnz .LBB119_624
; %bb.623:
	s_lshl_b32 s4, s16, 8
	s_lshl_b32 s5, s16, 25
	s_lshr_b32 s10, s5, 4
	s_and_b32 s4, s4, 0x7f00
	s_or_b32 s10, s10, 0x70000000
	s_or_b32 s4, s4, 0.5
	s_cmp_lt_u32 s5, 0x8000000
	v_mov_b32_e32 v3, 0x7800000
	v_add_f32_e64 v1, s4, -0.5
	v_mul_f32_e32 v3, s10, v3
	s_cselect_b64 vcc, -1, 0
	s_lshl_b32 s4, s16, 24
	v_cndmask_b32_e32 v1, v3, v1, vcc
	s_and_b32 s4, s4, 0x80000000
	v_or_b32_e32 v1, s4, v1
	v_cvt_i32_f32_e32 v1, v1
	global_store_short v[6:7], v1, off
.LBB119_624:
	s_mov_b64 s[4:5], 0
.LBB119_625:
	s_andn2_b64 vcc, exec, s[4:5]
	s_cbranch_vccnz .LBB119_630
; %bb.626:
	v_cmp_lt_i16_e32 vcc, 0, v8
	s_mov_b64 s[4:5], -1
	s_cbranch_vccz .LBB119_628
; %bb.627:
	s_lshl_b32 s4, s16, 8
	s_lshl_b32 s5, s16, 25
	s_lshr_b32 s10, s5, 4
	s_and_b32 s4, s4, 0x7f00
	s_or_b32 s10, s10, 0x70000000
	s_or_b32 s4, s4, 0.5
	s_cmp_lt_u32 s5, 0x8000000
	v_mov_b32_e32 v3, 0x7800000
	v_add_f32_e64 v1, s4, -0.5
	v_mul_f32_e32 v3, s10, v3
	s_cselect_b64 vcc, -1, 0
	s_lshl_b32 s4, s16, 24
	v_cndmask_b32_e32 v1, v3, v1, vcc
	s_and_b32 s4, s4, 0x80000000
	v_or_b32_e32 v1, s4, v1
	v_cvt_i32_f32_e32 v1, v1
	s_mov_b64 s[4:5], 0
	global_store_byte v[6:7], v1, off
.LBB119_628:
	s_andn2_b64 vcc, exec, s[4:5]
	s_cbranch_vccnz .LBB119_630
; %bb.629:
	s_lshl_b32 s4, s16, 8
	s_lshl_b32 s5, s16, 25
	s_lshr_b32 s10, s5, 4
	s_and_b32 s4, s4, 0x7f00
	s_or_b32 s10, s10, 0x70000000
	s_or_b32 s4, s4, 0.5
	s_cmp_lt_u32 s5, 0x8000000
	v_mov_b32_e32 v3, 0x7800000
	v_add_f32_e64 v1, s4, -0.5
	v_mul_f32_e32 v3, s10, v3
	s_cselect_b64 vcc, -1, 0
	s_lshl_b32 s4, s16, 24
	v_cndmask_b32_e32 v1, v3, v1, vcc
	s_and_b32 s4, s4, 0x80000000
	v_or_b32_e32 v1, s4, v1
	v_trunc_f32_e32 v1, v1
	s_mov_b32 s4, 0x2f800000
	v_mul_f32_e64 v3, |v1|, s4
	v_floor_f32_e32 v3, v3
	s_mov_b32 s4, 0xcf800000
	v_fma_f32 v3, v3, s4, |v1|
	v_cvt_u32_f32_e32 v3, v3
	v_ashrrev_i32_e32 v1, 31, v1
	v_xor_b32_e32 v3, v3, v1
	v_sub_u32_e32 v1, v3, v1
	global_store_byte v[6:7], v1, off
.LBB119_630:
.LBB119_631:
	v_mov_b32_e32 v1, s9
	v_add_co_u32_e32 v4, vcc, s8, v4
	v_addc_co_u32_e32 v5, vcc, 0, v1, vcc
	s_and_b64 vcc, exec, s[0:1]
	s_cbranch_vccnz .LBB119_659
; %bb.632:
	v_cmp_lt_i16_e32 vcc, 25, v8
	s_mov_b64 s[14:15], -1
	s_mov_b64 s[10:11], 0
	s_mov_b64 s[12:13], 0
	;; [unrolled: 1-line block ×3, first 2 shown]
	s_cbranch_vccz .LBB119_670
; %bb.633:
	v_cmp_lt_i16_e32 vcc, 28, v8
	s_cbranch_vccz .LBB119_648
; %bb.634:
	v_cmp_lt_i16_e32 vcc, 43, v8
	;; [unrolled: 3-line block ×3, first 2 shown]
	s_cbranch_vccz .LBB119_638
; %bb.636:
	v_cmp_eq_u16_e32 vcc, 46, v8
	s_mov_b64 s[4:5], -1
	s_mov_b64 s[14:15], 0
	s_cbranch_vccz .LBB119_638
; %bb.637:
	s_lshl_b32 s4, s16, 8
	s_lshl_b32 s5, s16, 25
	s_lshr_b32 s12, s5, 4
	s_and_b32 s4, s4, 0x7f00
	s_or_b32 s12, s12, 0x70000000
	s_or_b32 s4, s4, 0.5
	s_cmp_lt_u32 s5, 0x8000000
	v_mov_b32_e32 v3, 0x7800000
	v_add_f32_e64 v1, s4, -0.5
	v_mul_f32_e32 v3, s12, v3
	s_cselect_b64 vcc, -1, 0
	s_lshl_b32 s4, s16, 24
	v_cndmask_b32_e32 v1, v3, v1, vcc
	s_and_b32 s4, s4, 0x80000000
	v_or_b32_e32 v3, s4, v1
	v_bfe_u32 v1, v1, 16, 1
	v_add_u32_e32 v1, v3, v1
	v_add_u32_e32 v1, 0x7fff, v1
	v_lshrrev_b32_e32 v1, 16, v1
	v_mov_b32_e32 v6, 0x7fc0
	v_cmp_o_f32_e32 vcc, v3, v3
	v_cndmask_b32_e32 v1, v6, v1, vcc
	global_store_dword v[4:5], v1, off
	s_mov_b64 s[4:5], 0
	s_mov_b64 s[12:13], -1
.LBB119_638:
	s_and_b64 vcc, exec, s[14:15]
	s_cbranch_vccz .LBB119_643
; %bb.639:
	v_cmp_eq_u16_e32 vcc, 44, v8
	s_mov_b64 s[4:5], -1
	s_cbranch_vccz .LBB119_643
; %bb.640:
	s_lshl_b32 s4, s16, 8
	s_lshl_b32 s5, s16, 25
	s_lshr_b32 s12, s5, 4
	s_and_b32 s4, s4, 0x7f00
	s_or_b32 s12, s12, 0x70000000
	s_or_b32 s4, s4, 0.5
	s_cmp_lt_u32 s5, 0x8000000
	v_mov_b32_e32 v3, 0x7800000
	v_add_f32_e64 v1, s4, -0.5
	v_mul_f32_e32 v3, s12, v3
	s_cselect_b64 vcc, -1, 0
	v_cndmask_b32_e32 v1, v3, v1, vcc
	v_readfirstlane_b32 s4, v1
	s_bfe_u32 s5, s4, 0x80017
	s_cmpk_eq_i32 s5, 0xff
	v_mov_b32_e32 v3, 0xff
	s_cbranch_scc1 .LBB119_642
; %bb.641:
	s_bitcmp1_b32 s4, 22
	s_cselect_b64 s[12:13], -1, 0
	s_and_b32 s4, s4, 0x3fffff
	s_or_b32 s4, s5, s4
	s_cmp_lg_u32 s4, 0
	s_cselect_b64 s[4:5], -1, 0
	s_and_b64 s[4:5], s[12:13], s[4:5]
	v_lshrrev_b32_e32 v1, 23, v1
	v_cndmask_b32_e64 v3, 0, 1, s[4:5]
	v_add_u32_e32 v3, v1, v3
.LBB119_642:
	s_mov_b64 s[4:5], 0
	s_mov_b64 s[12:13], -1
	global_store_byte v[4:5], v3, off
.LBB119_643:
	s_mov_b64 s[14:15], 0
.LBB119_644:
	s_and_b64 vcc, exec, s[14:15]
	s_cbranch_vccz .LBB119_647
; %bb.645:
	v_cmp_eq_u16_e32 vcc, 29, v8
	s_mov_b64 s[4:5], -1
	s_cbranch_vccz .LBB119_647
; %bb.646:
	s_lshl_b32 s4, s16, 8
	s_lshl_b32 s5, s16, 25
	s_lshr_b32 s12, s5, 4
	s_and_b32 s4, s4, 0x7f00
	s_or_b32 s12, s12, 0x70000000
	s_or_b32 s4, s4, 0.5
	s_cmp_lt_u32 s5, 0x8000000
	v_mov_b32_e32 v3, 0x7800000
	v_add_f32_e64 v1, s4, -0.5
	v_mul_f32_e32 v3, s12, v3
	s_cselect_b64 vcc, -1, 0
	s_lshl_b32 s4, s16, 24
	v_cndmask_b32_e32 v1, v3, v1, vcc
	s_and_b32 s4, s4, 0x80000000
	v_or_b32_e32 v1, s4, v1
	v_trunc_f32_e32 v1, v1
	v_mul_f32_e32 v3, 0x2f800000, v1
	v_floor_f32_e32 v3, v3
	v_fmac_f32_e32 v1, 0xcf800000, v3
	v_cvt_u32_f32_e32 v6, v1
	v_cvt_u32_f32_e32 v7, v3
	s_mov_b64 s[4:5], 0
	s_mov_b64 s[12:13], -1
	global_store_dwordx2 v[4:5], v[6:7], off
.LBB119_647:
	s_mov_b64 s[14:15], 0
.LBB119_648:
	s_and_b64 vcc, exec, s[14:15]
	s_cbranch_vccz .LBB119_669
; %bb.649:
	v_cmp_gt_i16_e32 vcc, 27, v8
	s_mov_b64 s[12:13], -1
	s_cbranch_vccnz .LBB119_655
; %bb.650:
	v_cmp_lt_i16_e32 vcc, 27, v8
	s_cbranch_vccz .LBB119_652
; %bb.651:
	s_lshl_b32 s12, s16, 8
	s_lshl_b32 s13, s16, 25
	s_lshr_b32 s14, s13, 4
	s_and_b32 s12, s12, 0x7f00
	s_or_b32 s14, s14, 0x70000000
	s_or_b32 s12, s12, 0.5
	s_cmp_lt_u32 s13, 0x8000000
	v_mov_b32_e32 v3, 0x7800000
	v_add_f32_e64 v1, s12, -0.5
	v_mul_f32_e32 v3, s14, v3
	s_cselect_b64 vcc, -1, 0
	s_lshl_b32 s12, s16, 24
	v_cndmask_b32_e32 v1, v3, v1, vcc
	s_and_b32 s12, s12, 0x80000000
	v_or_b32_e32 v1, s12, v1
	v_cvt_u32_f32_e32 v1, v1
	s_mov_b64 s[12:13], 0
	global_store_dword v[4:5], v1, off
.LBB119_652:
	s_andn2_b64 vcc, exec, s[12:13]
	s_cbranch_vccnz .LBB119_654
; %bb.653:
	s_lshl_b32 s12, s16, 8
	s_lshl_b32 s13, s16, 25
	s_lshr_b32 s14, s13, 4
	s_and_b32 s12, s12, 0x7f00
	s_or_b32 s14, s14, 0x70000000
	s_or_b32 s12, s12, 0.5
	s_cmp_lt_u32 s13, 0x8000000
	v_mov_b32_e32 v3, 0x7800000
	v_add_f32_e64 v1, s12, -0.5
	v_mul_f32_e32 v3, s14, v3
	s_cselect_b64 vcc, -1, 0
	s_lshl_b32 s12, s16, 24
	v_cndmask_b32_e32 v1, v3, v1, vcc
	s_and_b32 s12, s12, 0x80000000
	v_or_b32_e32 v1, s12, v1
	v_cvt_u32_f32_e32 v1, v1
	global_store_short v[4:5], v1, off
.LBB119_654:
	s_mov_b64 s[12:13], 0
.LBB119_655:
	s_andn2_b64 vcc, exec, s[12:13]
	s_cbranch_vccnz .LBB119_668
; %bb.656:
	s_lshl_b32 s12, s16, 8
	s_lshl_b32 s13, s16, 25
	s_lshr_b32 s14, s13, 4
	s_and_b32 s12, s12, 0x7f00
	s_or_b32 s14, s14, 0x70000000
	s_or_b32 s12, s12, 0.5
	s_cmp_lt_u32 s13, 0x8000000
	v_mov_b32_e32 v3, 0x7800000
	v_add_f32_e64 v1, s12, -0.5
	v_mul_f32_e32 v3, s14, v3
	s_cselect_b64 vcc, -1, 0
	v_cndmask_b32_e32 v1, v3, v1, vcc
	s_lshl_b32 s12, s16, 24
	s_and_b32 s12, s12, 0x80000000
	v_readfirstlane_b32 s13, v1
	s_or_b32 s17, s12, s13
	s_and_b32 s12, s17, 0x7fffffff
	s_cmp_gt_u32 s12, 0x437fffff
	v_mov_b32_e32 v3, 0x80
	s_cbranch_scc1 .LBB119_667
; %bb.657:
	s_cmp_gt_u32 s12, 0x3bffffff
	s_cbranch_scc0 .LBB119_662
; %bb.658:
	v_bfe_u32 v1, v1, 20, 1
	v_add_u32_e32 v1, s17, v1
	v_add_u32_e32 v1, 0x487ffff, v1
	v_lshrrev_b32_e32 v1, 20, v1
	s_mov_b64 s[14:15], 0
	s_mov_b64 s[12:13], -1
	s_branch .LBB119_663
.LBB119_659:
	s_mov_b64 s[12:13], 0
	s_cbranch_execnz .LBB119_710
.LBB119_660:
	s_andn2_b64 vcc, exec, s[12:13]
	s_cbranch_vccz .LBB119_748
	s_branch .LBB119_909
.LBB119_661:
	s_or_b64 s[2:3], s[6:7], exec
	s_trap 2
	s_cbranch_execz .LBB119_591
	s_branch .LBB119_592
.LBB119_662:
	s_mov_b64 s[14:15], -1
	s_mov_b64 s[12:13], 0
                                        ; implicit-def: $vgpr1
.LBB119_663:
	s_andn2_b64 vcc, exec, s[14:15]
                                        ; implicit-def: $sgpr14
	s_cbranch_vccnz .LBB119_665
; %bb.664:
	v_mov_b32_e32 v1, 0x46000000
	v_add_f32_e64 v1, |s17|, v1
	v_and_b32_e32 v1, 0xff, v1
	s_mov_b32 s14, 0
	v_cmp_ne_u32_e64 s[12:13], 0, v1
.LBB119_665:
	s_andn2_b64 vcc, exec, s[12:13]
	v_mov_b32_e32 v3, s14
	s_cbranch_vccnz .LBB119_667
; %bb.666:
	s_lshr_b32 s12, s17, 24
	s_and_b32 s12, s12, 0x80
	v_or_b32_e32 v3, s12, v1
.LBB119_667:
	global_store_byte v[4:5], v3, off
.LBB119_668:
	s_mov_b64 s[12:13], -1
.LBB119_669:
	s_mov_b64 s[14:15], 0
.LBB119_670:
	s_and_b64 vcc, exec, s[14:15]
	s_cbranch_vccz .LBB119_706
; %bb.671:
	v_cmp_lt_i16_e32 vcc, 22, v8
	s_mov_b64 s[10:11], -1
	s_cbranch_vccz .LBB119_699
; %bb.672:
	v_cmp_gt_i16_e32 vcc, 24, v8
	s_cbranch_vccnz .LBB119_696
; %bb.673:
	v_cmp_lt_i16_e32 vcc, 24, v8
	s_cbranch_vccz .LBB119_683
; %bb.674:
	s_lshl_b32 s10, s16, 8
	s_lshl_b32 s11, s16, 25
	s_lshr_b32 s12, s11, 4
	s_and_b32 s10, s10, 0x7f00
	s_or_b32 s12, s12, 0x70000000
	s_or_b32 s10, s10, 0.5
	s_cmp_lt_u32 s11, 0x8000000
	v_mov_b32_e32 v3, 0x7800000
	v_add_f32_e64 v1, s10, -0.5
	v_mul_f32_e32 v3, s12, v3
	s_cselect_b64 vcc, -1, 0
	v_cndmask_b32_e32 v1, v3, v1, vcc
	s_lshl_b32 s10, s16, 24
	s_and_b32 s10, s10, 0x80000000
	v_readfirstlane_b32 s11, v1
	s_or_b32 s14, s10, s11
	s_and_b32 s10, s14, 0x7fffffff
	s_cmp_gt_u32 s10, 0x477fffff
	v_mov_b32_e32 v3, 0x80
	s_cbranch_scc1 .LBB119_682
; %bb.675:
	s_cmp_gt_u32 s10, 0x37ffffff
	s_cbranch_scc0 .LBB119_677
; %bb.676:
	v_bfe_u32 v1, v1, 21, 1
	v_add_u32_e32 v1, s14, v1
	v_add_u32_e32 v1, 0x88fffff, v1
	v_lshrrev_b32_e32 v1, 21, v1
	s_mov_b64 s[12:13], 0
	s_mov_b64 s[10:11], -1
	s_branch .LBB119_678
.LBB119_677:
	s_mov_b64 s[12:13], -1
	s_mov_b64 s[10:11], 0
                                        ; implicit-def: $vgpr1
.LBB119_678:
	s_andn2_b64 vcc, exec, s[12:13]
                                        ; implicit-def: $sgpr12
	s_cbranch_vccnz .LBB119_680
; %bb.679:
	v_mov_b32_e32 v1, 0x42800000
	v_add_f32_e64 v1, |s14|, v1
	v_and_b32_e32 v1, 0xff, v1
	s_mov_b32 s12, 0
	v_cmp_ne_u32_e64 s[10:11], 0, v1
.LBB119_680:
	s_andn2_b64 vcc, exec, s[10:11]
	v_mov_b32_e32 v3, s12
	s_cbranch_vccnz .LBB119_682
; %bb.681:
	s_lshr_b32 s10, s14, 24
	s_and_b32 s10, s10, 0x80
	v_or_b32_e32 v3, s10, v1
.LBB119_682:
	s_mov_b64 s[10:11], 0
	global_store_byte v[4:5], v3, off
.LBB119_683:
	s_and_b64 vcc, exec, s[10:11]
	s_cbranch_vccz .LBB119_695
; %bb.684:
	s_lshl_b32 s10, s16, 8
	s_lshl_b32 s11, s16, 25
	s_lshr_b32 s12, s11, 4
	s_and_b32 s10, s10, 0x7f00
	s_or_b32 s12, s12, 0x70000000
	s_or_b32 s10, s10, 0.5
	s_cmp_lt_u32 s11, 0x8000000
	v_mov_b32_e32 v3, 0x7800000
	v_add_f32_e64 v1, s10, -0.5
	v_mul_f32_e32 v3, s12, v3
	s_cselect_b64 vcc, -1, 0
	v_cndmask_b32_e32 v1, v3, v1, vcc
	s_lshl_b32 s11, s16, 24
	v_readfirstlane_b32 s10, v1
	s_and_b32 s11, s11, 0x80000000
	s_or_b32 s12, s11, s10
	s_and_b32 s13, s12, 0x7fffffff
	s_cmp_lt_u32 s13, 0x43f00000
	s_cbranch_scc0 .LBB119_687
; %bb.685:
	s_cmp_gt_u32 s13, 0x3c7fffff
	s_cbranch_scc0 .LBB119_688
; %bb.686:
	s_bfe_u32 s10, s10, 0x10014
	s_add_i32 s10, s12, s10
	s_add_i32 s10, s10, 0x407ffff
	s_lshr_b32 s11, s10, 20
	s_and_b32 s10, s10, 0xff00000
	s_cmp_lg_u32 s10, 0x7f00000
	s_cselect_b32 s14, s11, 0x7e
	s_mov_b64 s[10:11], 0
	s_branch .LBB119_689
.LBB119_687:
	s_mov_b64 s[10:11], -1
                                        ; implicit-def: $vgpr1
	s_branch .LBB119_692
.LBB119_688:
	s_mov_b64 s[10:11], -1
                                        ; implicit-def: $sgpr14
.LBB119_689:
	s_andn2_b64 vcc, exec, s[10:11]
	v_mov_b32_e32 v1, s14
	s_cbranch_vccnz .LBB119_691
; %bb.690:
	v_mov_b32_e32 v1, 0x46800000
	v_add_f32_e64 v1, |s12|, v1
.LBB119_691:
	s_mov_b64 s[10:11], 0
.LBB119_692:
	s_andn2_b64 vcc, exec, s[10:11]
	s_cbranch_vccnz .LBB119_694
; %bb.693:
	s_cmp_gt_u32 s13, 0x7f800000
	s_movk_i32 s10, 0x7f
	s_cselect_b32 s10, s10, 0x7e
	v_mov_b32_e32 v1, s10
.LBB119_694:
	s_lshr_b32 s10, s12, 24
	s_and_b32 s10, s10, 0x80
	v_or_b32_e32 v1, s10, v1
	global_store_byte v[4:5], v1, off
.LBB119_695:
	s_mov_b64 s[10:11], 0
.LBB119_696:
	s_andn2_b64 vcc, exec, s[10:11]
	s_cbranch_vccnz .LBB119_698
; %bb.697:
	v_mov_b32_e32 v1, s16
	global_store_byte v[4:5], v1, off
.LBB119_698:
	s_mov_b64 s[10:11], 0
	s_mov_b64 s[12:13], -1
.LBB119_699:
	s_andn2_b64 vcc, exec, s[10:11]
	s_mov_b64 s[10:11], 0
	s_cbranch_vccnz .LBB119_706
; %bb.700:
	v_cmp_lt_i16_e32 vcc, 14, v8
	s_mov_b64 s[14:15], -1
	s_cbranch_vccz .LBB119_704
; %bb.701:
	v_cmp_eq_u16_e32 vcc, 15, v8
	s_mov_b64 s[4:5], -1
	s_cbranch_vccz .LBB119_703
; %bb.702:
	s_lshl_b32 s4, s16, 8
	s_lshl_b32 s5, s16, 25
	s_lshr_b32 s10, s5, 4
	s_and_b32 s4, s4, 0x7f00
	s_or_b32 s10, s10, 0x70000000
	s_or_b32 s4, s4, 0.5
	s_cmp_lt_u32 s5, 0x8000000
	v_mov_b32_e32 v3, 0x7800000
	v_add_f32_e64 v1, s4, -0.5
	v_mul_f32_e32 v3, s10, v3
	s_cselect_b64 vcc, -1, 0
	s_lshl_b32 s4, s16, 24
	v_cndmask_b32_e32 v1, v3, v1, vcc
	s_and_b32 s4, s4, 0x80000000
	v_or_b32_e32 v3, s4, v1
	v_bfe_u32 v1, v1, 16, 1
	v_add_u32_e32 v1, v3, v1
	v_add_u32_e32 v1, 0x7fff, v1
	v_lshrrev_b32_e32 v1, 16, v1
	v_mov_b32_e32 v6, 0x7fc0
	v_cmp_o_f32_e32 vcc, v3, v3
	v_cndmask_b32_e32 v1, v6, v1, vcc
	global_store_short v[4:5], v1, off
	s_mov_b64 s[4:5], 0
	s_mov_b64 s[12:13], -1
.LBB119_703:
	s_mov_b64 s[14:15], 0
.LBB119_704:
	s_mov_b64 s[10:11], 0
	s_and_b64 vcc, exec, s[14:15]
	s_cbranch_vccz .LBB119_706
; %bb.705:
	v_cmp_ne_u16_e64 s[4:5], 11, v8
	s_mov_b64 s[10:11], -1
.LBB119_706:
	s_and_b64 vcc, exec, s[4:5]
	s_cbranch_vccnz .LBB119_808
; %bb.707:
	s_andn2_b64 vcc, exec, s[10:11]
	s_cbranch_vccnz .LBB119_709
.LBB119_708:
	s_lshl_b32 s4, s16, 8
	s_lshl_b32 s5, s16, 25
	s_lshr_b32 s10, s5, 4
	s_and_b32 s4, s4, 0x7f00
	s_or_b32 s10, s10, 0x70000000
	s_or_b32 s4, s4, 0.5
	s_cmp_lt_u32 s5, 0x8000000
	v_mov_b32_e32 v3, 0x7800000
	v_add_f32_e64 v1, s4, -0.5
	v_mul_f32_e32 v3, s10, v3
	s_cselect_b64 vcc, -1, 0
	v_cndmask_b32_e32 v1, v3, v1, vcc
	v_cmp_neq_f32_e32 vcc, 0, v1
	v_cndmask_b32_e64 v1, 0, 1, vcc
	s_mov_b64 s[12:13], -1
	global_store_byte v[4:5], v1, off
.LBB119_709:
	s_branch .LBB119_660
.LBB119_710:
	v_cmp_gt_i16_e32 vcc, 5, v8
	s_mov_b64 s[4:5], -1
	s_cbranch_vccnz .LBB119_731
; %bb.711:
	v_cmp_gt_i16_e32 vcc, 8, v8
	s_cbranch_vccnz .LBB119_721
; %bb.712:
	v_cmp_gt_i16_e32 vcc, 9, v8
	s_cbranch_vccnz .LBB119_718
; %bb.713:
	v_cmp_lt_i16_e32 vcc, 9, v8
	s_cbranch_vccz .LBB119_715
; %bb.714:
	s_lshl_b32 s4, s16, 8
	s_lshl_b32 s5, s16, 25
	s_lshr_b32 s10, s5, 4
	s_and_b32 s4, s4, 0x7f00
	s_or_b32 s10, s10, 0x70000000
	s_or_b32 s4, s4, 0.5
	s_cmp_lt_u32 s5, 0x8000000
	v_mov_b32_e32 v3, 0x7800000
	v_add_f32_e64 v1, s4, -0.5
	v_mul_f32_e32 v3, s10, v3
	s_cselect_b64 vcc, -1, 0
	s_lshl_b32 s4, s16, 24
	v_cndmask_b32_e32 v1, v3, v1, vcc
	s_and_b32 s4, s4, 0x80000000
	v_or_b32_e32 v1, s4, v1
	v_mov_b32_e32 v12, 0
	v_cvt_f64_f32_e32 v[10:11], v1
	v_mov_b32_e32 v13, v12
	global_store_dwordx4 v[4:5], v[10:13], off
	s_mov_b64 s[4:5], 0
.LBB119_715:
	s_andn2_b64 vcc, exec, s[4:5]
	s_cbranch_vccnz .LBB119_717
; %bb.716:
	s_lshl_b32 s4, s16, 8
	s_lshl_b32 s5, s16, 25
	s_lshr_b32 s10, s5, 4
	s_and_b32 s4, s4, 0x7f00
	s_or_b32 s10, s10, 0x70000000
	s_or_b32 s4, s4, 0.5
	s_cmp_lt_u32 s5, 0x8000000
	v_mov_b32_e32 v3, 0x7800000
	v_add_f32_e64 v1, s4, -0.5
	v_mul_f32_e32 v3, s10, v3
	s_cselect_b64 vcc, -1, 0
	s_lshl_b32 s4, s16, 24
	v_cndmask_b32_e32 v1, v3, v1, vcc
	s_and_b32 s4, s4, 0x80000000
	v_or_b32_e32 v6, s4, v1
	v_mov_b32_e32 v7, 0
	global_store_dwordx2 v[4:5], v[6:7], off
.LBB119_717:
	s_mov_b64 s[4:5], 0
.LBB119_718:
	s_andn2_b64 vcc, exec, s[4:5]
	s_cbranch_vccnz .LBB119_720
; %bb.719:
	s_lshl_b32 s4, s16, 8
	s_lshl_b32 s5, s16, 25
	s_lshr_b32 s10, s5, 4
	s_and_b32 s4, s4, 0x7f00
	s_or_b32 s10, s10, 0x70000000
	s_or_b32 s4, s4, 0.5
	s_cmp_lt_u32 s5, 0x8000000
	v_mov_b32_e32 v3, 0x7800000
	v_add_f32_e64 v1, s4, -0.5
	v_mul_f32_e32 v3, s10, v3
	s_cselect_b64 vcc, -1, 0
	s_lshl_b32 s4, s16, 24
	v_cndmask_b32_e32 v1, v3, v1, vcc
	s_and_b32 s4, s4, 0x80000000
	v_or_b32_e32 v1, s4, v1
	v_cvt_f16_f32_e32 v1, v1
	global_store_dword v[4:5], v1, off
.LBB119_720:
	s_mov_b64 s[4:5], 0
.LBB119_721:
	s_andn2_b64 vcc, exec, s[4:5]
	s_cbranch_vccnz .LBB119_730
; %bb.722:
	v_cmp_gt_i16_e32 vcc, 6, v8
	s_mov_b64 s[4:5], -1
	s_cbranch_vccnz .LBB119_728
; %bb.723:
	v_cmp_lt_i16_e32 vcc, 6, v8
	s_cbranch_vccz .LBB119_725
; %bb.724:
	s_lshl_b32 s4, s16, 8
	s_lshl_b32 s5, s16, 25
	s_lshr_b32 s10, s5, 4
	s_and_b32 s4, s4, 0x7f00
	s_or_b32 s10, s10, 0x70000000
	s_or_b32 s4, s4, 0.5
	s_cmp_lt_u32 s5, 0x8000000
	v_mov_b32_e32 v3, 0x7800000
	v_add_f32_e64 v1, s4, -0.5
	v_mul_f32_e32 v3, s10, v3
	s_cselect_b64 vcc, -1, 0
	s_lshl_b32 s4, s16, 24
	v_cndmask_b32_e32 v1, v3, v1, vcc
	s_and_b32 s4, s4, 0x80000000
	v_or_b32_e32 v1, s4, v1
	v_cvt_f64_f32_e32 v[6:7], v1
	global_store_dwordx2 v[4:5], v[6:7], off
	s_mov_b64 s[4:5], 0
.LBB119_725:
	s_andn2_b64 vcc, exec, s[4:5]
	s_cbranch_vccnz .LBB119_727
; %bb.726:
	s_lshl_b32 s4, s16, 8
	s_lshl_b32 s5, s16, 25
	s_lshr_b32 s10, s5, 4
	s_and_b32 s4, s4, 0x7f00
	s_or_b32 s10, s10, 0x70000000
	s_or_b32 s4, s4, 0.5
	s_cmp_lt_u32 s5, 0x8000000
	v_mov_b32_e32 v3, 0x7800000
	v_add_f32_e64 v1, s4, -0.5
	v_mul_f32_e32 v3, s10, v3
	s_cselect_b64 vcc, -1, 0
	s_lshl_b32 s4, s16, 24
	v_cndmask_b32_e32 v1, v3, v1, vcc
	s_and_b32 s4, s4, 0x80000000
	v_or_b32_e32 v1, s4, v1
	global_store_dword v[4:5], v1, off
.LBB119_727:
	s_mov_b64 s[4:5], 0
.LBB119_728:
	s_andn2_b64 vcc, exec, s[4:5]
	s_cbranch_vccnz .LBB119_730
; %bb.729:
	s_lshl_b32 s4, s16, 8
	s_lshl_b32 s5, s16, 25
	s_lshr_b32 s10, s5, 4
	s_and_b32 s4, s4, 0x7f00
	s_or_b32 s10, s10, 0x70000000
	s_or_b32 s4, s4, 0.5
	s_cmp_lt_u32 s5, 0x8000000
	v_mov_b32_e32 v3, 0x7800000
	v_add_f32_e64 v1, s4, -0.5
	v_mul_f32_e32 v3, s10, v3
	s_cselect_b64 vcc, -1, 0
	s_lshl_b32 s4, s16, 24
	v_cndmask_b32_e32 v1, v3, v1, vcc
	s_and_b32 s4, s4, 0x80000000
	v_or_b32_e32 v1, s4, v1
	v_cvt_f16_f32_e32 v1, v1
	global_store_short v[4:5], v1, off
.LBB119_730:
	s_mov_b64 s[4:5], 0
.LBB119_731:
	s_andn2_b64 vcc, exec, s[4:5]
	s_cbranch_vccnz .LBB119_747
; %bb.732:
	v_cmp_gt_i16_e32 vcc, 2, v8
	s_mov_b64 s[4:5], -1
	s_cbranch_vccnz .LBB119_742
; %bb.733:
	v_cmp_gt_i16_e32 vcc, 3, v8
	s_cbranch_vccnz .LBB119_739
; %bb.734:
	v_cmp_lt_i16_e32 vcc, 3, v8
	s_cbranch_vccz .LBB119_736
; %bb.735:
	s_lshl_b32 s4, s16, 8
	s_lshl_b32 s5, s16, 25
	s_lshr_b32 s10, s5, 4
	s_and_b32 s4, s4, 0x7f00
	s_or_b32 s10, s10, 0x70000000
	s_or_b32 s4, s4, 0.5
	s_cmp_lt_u32 s5, 0x8000000
	v_mov_b32_e32 v3, 0x7800000
	v_add_f32_e64 v1, s4, -0.5
	v_mul_f32_e32 v3, s10, v3
	s_cselect_b64 vcc, -1, 0
	s_lshl_b32 s4, s16, 24
	v_cndmask_b32_e32 v1, v3, v1, vcc
	s_and_b32 s4, s4, 0x80000000
	v_or_b32_e32 v1, s4, v1
	v_trunc_f32_e32 v1, v1
	s_mov_b32 s4, 0x2f800000
	v_mul_f32_e64 v3, |v1|, s4
	v_floor_f32_e32 v3, v3
	s_mov_b32 s4, 0xcf800000
	v_fma_f32 v6, v3, s4, |v1|
	v_cvt_u32_f32_e32 v6, v6
	v_cvt_u32_f32_e32 v3, v3
	v_ashrrev_i32_e32 v1, 31, v1
	s_mov_b64 s[4:5], 0
	v_xor_b32_e32 v6, v6, v1
	v_xor_b32_e32 v3, v3, v1
	v_sub_co_u32_e32 v6, vcc, v6, v1
	v_subb_co_u32_e32 v7, vcc, v3, v1, vcc
	global_store_dwordx2 v[4:5], v[6:7], off
.LBB119_736:
	s_andn2_b64 vcc, exec, s[4:5]
	s_cbranch_vccnz .LBB119_738
; %bb.737:
	s_lshl_b32 s4, s16, 8
	s_lshl_b32 s5, s16, 25
	s_lshr_b32 s10, s5, 4
	s_and_b32 s4, s4, 0x7f00
	s_or_b32 s10, s10, 0x70000000
	s_or_b32 s4, s4, 0.5
	s_cmp_lt_u32 s5, 0x8000000
	v_mov_b32_e32 v3, 0x7800000
	v_add_f32_e64 v1, s4, -0.5
	v_mul_f32_e32 v3, s10, v3
	s_cselect_b64 vcc, -1, 0
	s_lshl_b32 s4, s16, 24
	v_cndmask_b32_e32 v1, v3, v1, vcc
	s_and_b32 s4, s4, 0x80000000
	v_or_b32_e32 v1, s4, v1
	v_cvt_i32_f32_e32 v1, v1
	global_store_dword v[4:5], v1, off
.LBB119_738:
	s_mov_b64 s[4:5], 0
.LBB119_739:
	s_andn2_b64 vcc, exec, s[4:5]
	s_cbranch_vccnz .LBB119_741
; %bb.740:
	s_lshl_b32 s4, s16, 8
	s_lshl_b32 s5, s16, 25
	s_lshr_b32 s10, s5, 4
	s_and_b32 s4, s4, 0x7f00
	s_or_b32 s10, s10, 0x70000000
	s_or_b32 s4, s4, 0.5
	s_cmp_lt_u32 s5, 0x8000000
	v_mov_b32_e32 v3, 0x7800000
	v_add_f32_e64 v1, s4, -0.5
	v_mul_f32_e32 v3, s10, v3
	s_cselect_b64 vcc, -1, 0
	s_lshl_b32 s4, s16, 24
	v_cndmask_b32_e32 v1, v3, v1, vcc
	s_and_b32 s4, s4, 0x80000000
	v_or_b32_e32 v1, s4, v1
	v_cvt_i32_f32_e32 v1, v1
	global_store_short v[4:5], v1, off
.LBB119_741:
	s_mov_b64 s[4:5], 0
.LBB119_742:
	s_andn2_b64 vcc, exec, s[4:5]
	s_cbranch_vccnz .LBB119_747
; %bb.743:
	v_cmp_lt_i16_e32 vcc, 0, v8
	s_mov_b64 s[4:5], -1
	s_cbranch_vccz .LBB119_745
; %bb.744:
	s_lshl_b32 s4, s16, 8
	s_lshl_b32 s5, s16, 25
	s_lshr_b32 s10, s5, 4
	s_and_b32 s4, s4, 0x7f00
	s_or_b32 s10, s10, 0x70000000
	s_or_b32 s4, s4, 0.5
	s_cmp_lt_u32 s5, 0x8000000
	v_mov_b32_e32 v3, 0x7800000
	v_add_f32_e64 v1, s4, -0.5
	v_mul_f32_e32 v3, s10, v3
	s_cselect_b64 vcc, -1, 0
	s_lshl_b32 s4, s16, 24
	v_cndmask_b32_e32 v1, v3, v1, vcc
	s_and_b32 s4, s4, 0x80000000
	v_or_b32_e32 v1, s4, v1
	v_cvt_i32_f32_e32 v1, v1
	s_mov_b64 s[4:5], 0
	global_store_byte v[4:5], v1, off
.LBB119_745:
	s_andn2_b64 vcc, exec, s[4:5]
	s_cbranch_vccnz .LBB119_747
; %bb.746:
	s_lshl_b32 s4, s16, 8
	s_lshl_b32 s5, s16, 25
	s_lshr_b32 s10, s5, 4
	s_and_b32 s4, s4, 0x7f00
	s_or_b32 s10, s10, 0x70000000
	s_or_b32 s4, s4, 0.5
	s_cmp_lt_u32 s5, 0x8000000
	v_mov_b32_e32 v3, 0x7800000
	v_add_f32_e64 v1, s4, -0.5
	v_mul_f32_e32 v3, s10, v3
	s_cselect_b64 vcc, -1, 0
	s_lshl_b32 s4, s16, 24
	v_cndmask_b32_e32 v1, v3, v1, vcc
	s_and_b32 s4, s4, 0x80000000
	v_or_b32_e32 v1, s4, v1
	v_trunc_f32_e32 v1, v1
	s_mov_b32 s4, 0x2f800000
	v_mul_f32_e64 v3, |v1|, s4
	v_floor_f32_e32 v3, v3
	s_mov_b32 s4, 0xcf800000
	v_fma_f32 v3, v3, s4, |v1|
	v_cvt_u32_f32_e32 v3, v3
	v_ashrrev_i32_e32 v1, 31, v1
	v_xor_b32_e32 v3, v3, v1
	v_sub_u32_e32 v1, v3, v1
	global_store_byte v[4:5], v1, off
.LBB119_747:
.LBB119_748:
	v_mov_b32_e32 v1, s9
	v_add_co_u32_e32 v2, vcc, s8, v2
	v_addc_co_u32_e32 v3, vcc, 0, v1, vcc
	s_and_b64 vcc, exec, s[0:1]
	s_cbranch_vccnz .LBB119_776
; %bb.749:
	v_cmp_lt_i16_e32 vcc, 25, v8
	s_mov_b64 s[14:15], -1
	s_mov_b64 s[10:11], 0
	s_mov_b64 s[12:13], 0
	;; [unrolled: 1-line block ×3, first 2 shown]
	s_cbranch_vccz .LBB119_817
; %bb.750:
	v_cmp_lt_i16_e32 vcc, 28, v8
	s_cbranch_vccz .LBB119_765
; %bb.751:
	v_cmp_lt_i16_e32 vcc, 43, v8
	;; [unrolled: 3-line block ×3, first 2 shown]
	s_cbranch_vccz .LBB119_755
; %bb.753:
	v_cmp_eq_u16_e32 vcc, 46, v8
	s_mov_b64 s[4:5], -1
	s_mov_b64 s[14:15], 0
	s_cbranch_vccz .LBB119_755
; %bb.754:
	s_lshl_b32 s4, s16, 8
	s_lshl_b32 s5, s16, 25
	s_lshr_b32 s12, s5, 4
	s_and_b32 s4, s4, 0x7f00
	s_or_b32 s12, s12, 0x70000000
	s_or_b32 s4, s4, 0.5
	s_cmp_lt_u32 s5, 0x8000000
	v_mov_b32_e32 v4, 0x7800000
	v_add_f32_e64 v1, s4, -0.5
	v_mul_f32_e32 v4, s12, v4
	s_cselect_b64 vcc, -1, 0
	s_lshl_b32 s4, s16, 24
	v_cndmask_b32_e32 v1, v4, v1, vcc
	s_and_b32 s4, s4, 0x80000000
	v_or_b32_e32 v4, s4, v1
	v_bfe_u32 v1, v1, 16, 1
	v_add_u32_e32 v1, v4, v1
	v_add_u32_e32 v1, 0x7fff, v1
	v_lshrrev_b32_e32 v1, 16, v1
	v_mov_b32_e32 v5, 0x7fc0
	v_cmp_o_f32_e32 vcc, v4, v4
	v_cndmask_b32_e32 v1, v5, v1, vcc
	global_store_dword v[2:3], v1, off
	s_mov_b64 s[4:5], 0
	s_mov_b64 s[12:13], -1
.LBB119_755:
	s_and_b64 vcc, exec, s[14:15]
	s_cbranch_vccz .LBB119_760
; %bb.756:
	v_cmp_eq_u16_e32 vcc, 44, v8
	s_mov_b64 s[4:5], -1
	s_cbranch_vccz .LBB119_760
; %bb.757:
	s_lshl_b32 s4, s16, 8
	s_lshl_b32 s5, s16, 25
	s_lshr_b32 s12, s5, 4
	s_and_b32 s4, s4, 0x7f00
	s_or_b32 s12, s12, 0x70000000
	s_or_b32 s4, s4, 0.5
	s_cmp_lt_u32 s5, 0x8000000
	v_mov_b32_e32 v4, 0x7800000
	v_add_f32_e64 v1, s4, -0.5
	v_mul_f32_e32 v4, s12, v4
	s_cselect_b64 vcc, -1, 0
	v_cndmask_b32_e32 v1, v4, v1, vcc
	v_readfirstlane_b32 s4, v1
	s_bfe_u32 s5, s4, 0x80017
	s_cmpk_eq_i32 s5, 0xff
	v_mov_b32_e32 v4, 0xff
	s_cbranch_scc1 .LBB119_759
; %bb.758:
	s_bitcmp1_b32 s4, 22
	s_cselect_b64 s[12:13], -1, 0
	s_and_b32 s4, s4, 0x3fffff
	s_or_b32 s4, s5, s4
	s_cmp_lg_u32 s4, 0
	s_cselect_b64 s[4:5], -1, 0
	s_and_b64 s[4:5], s[12:13], s[4:5]
	v_lshrrev_b32_e32 v1, 23, v1
	v_cndmask_b32_e64 v4, 0, 1, s[4:5]
	v_add_u32_e32 v4, v1, v4
.LBB119_759:
	s_mov_b64 s[4:5], 0
	s_mov_b64 s[12:13], -1
	global_store_byte v[2:3], v4, off
.LBB119_760:
	s_mov_b64 s[14:15], 0
.LBB119_761:
	s_and_b64 vcc, exec, s[14:15]
	s_cbranch_vccz .LBB119_764
; %bb.762:
	v_cmp_eq_u16_e32 vcc, 29, v8
	s_mov_b64 s[4:5], -1
	s_cbranch_vccz .LBB119_764
; %bb.763:
	s_lshl_b32 s4, s16, 8
	s_lshl_b32 s5, s16, 25
	s_lshr_b32 s12, s5, 4
	s_and_b32 s4, s4, 0x7f00
	s_or_b32 s12, s12, 0x70000000
	s_or_b32 s4, s4, 0.5
	s_cmp_lt_u32 s5, 0x8000000
	v_mov_b32_e32 v4, 0x7800000
	v_add_f32_e64 v1, s4, -0.5
	v_mul_f32_e32 v4, s12, v4
	s_cselect_b64 vcc, -1, 0
	s_lshl_b32 s4, s16, 24
	v_cndmask_b32_e32 v1, v4, v1, vcc
	s_and_b32 s4, s4, 0x80000000
	v_or_b32_e32 v1, s4, v1
	v_trunc_f32_e32 v1, v1
	v_mul_f32_e32 v4, 0x2f800000, v1
	v_floor_f32_e32 v5, v4
	v_fmac_f32_e32 v1, 0xcf800000, v5
	v_cvt_u32_f32_e32 v4, v1
	v_cvt_u32_f32_e32 v5, v5
	s_mov_b64 s[4:5], 0
	s_mov_b64 s[12:13], -1
	global_store_dwordx2 v[2:3], v[4:5], off
.LBB119_764:
	s_mov_b64 s[14:15], 0
.LBB119_765:
	s_and_b64 vcc, exec, s[14:15]
	s_cbranch_vccz .LBB119_816
; %bb.766:
	v_cmp_gt_i16_e32 vcc, 27, v8
	s_mov_b64 s[12:13], -1
	s_cbranch_vccnz .LBB119_772
; %bb.767:
	v_cmp_lt_i16_e32 vcc, 27, v8
	s_cbranch_vccz .LBB119_769
; %bb.768:
	s_lshl_b32 s12, s16, 8
	s_lshl_b32 s13, s16, 25
	s_lshr_b32 s14, s13, 4
	s_and_b32 s12, s12, 0x7f00
	s_or_b32 s14, s14, 0x70000000
	s_or_b32 s12, s12, 0.5
	s_cmp_lt_u32 s13, 0x8000000
	v_mov_b32_e32 v4, 0x7800000
	v_add_f32_e64 v1, s12, -0.5
	v_mul_f32_e32 v4, s14, v4
	s_cselect_b64 vcc, -1, 0
	s_lshl_b32 s12, s16, 24
	v_cndmask_b32_e32 v1, v4, v1, vcc
	s_and_b32 s12, s12, 0x80000000
	v_or_b32_e32 v1, s12, v1
	v_cvt_u32_f32_e32 v1, v1
	s_mov_b64 s[12:13], 0
	global_store_dword v[2:3], v1, off
.LBB119_769:
	s_andn2_b64 vcc, exec, s[12:13]
	s_cbranch_vccnz .LBB119_771
; %bb.770:
	s_lshl_b32 s12, s16, 8
	s_lshl_b32 s13, s16, 25
	s_lshr_b32 s14, s13, 4
	s_and_b32 s12, s12, 0x7f00
	s_or_b32 s14, s14, 0x70000000
	s_or_b32 s12, s12, 0.5
	s_cmp_lt_u32 s13, 0x8000000
	v_mov_b32_e32 v4, 0x7800000
	v_add_f32_e64 v1, s12, -0.5
	v_mul_f32_e32 v4, s14, v4
	s_cselect_b64 vcc, -1, 0
	s_lshl_b32 s12, s16, 24
	v_cndmask_b32_e32 v1, v4, v1, vcc
	s_and_b32 s12, s12, 0x80000000
	v_or_b32_e32 v1, s12, v1
	v_cvt_u32_f32_e32 v1, v1
	global_store_short v[2:3], v1, off
.LBB119_771:
	s_mov_b64 s[12:13], 0
.LBB119_772:
	s_andn2_b64 vcc, exec, s[12:13]
	s_cbranch_vccnz .LBB119_815
; %bb.773:
	s_lshl_b32 s12, s16, 8
	s_lshl_b32 s13, s16, 25
	s_lshr_b32 s14, s13, 4
	s_and_b32 s12, s12, 0x7f00
	s_or_b32 s14, s14, 0x70000000
	s_or_b32 s12, s12, 0.5
	s_cmp_lt_u32 s13, 0x8000000
	v_mov_b32_e32 v4, 0x7800000
	v_add_f32_e64 v1, s12, -0.5
	v_mul_f32_e32 v4, s14, v4
	s_cselect_b64 vcc, -1, 0
	v_cndmask_b32_e32 v1, v4, v1, vcc
	s_lshl_b32 s12, s16, 24
	s_and_b32 s12, s12, 0x80000000
	v_readfirstlane_b32 s13, v1
	s_or_b32 s17, s12, s13
	s_and_b32 s12, s17, 0x7fffffff
	s_cmp_gt_u32 s12, 0x437fffff
	v_mov_b32_e32 v4, 0x80
	s_cbranch_scc1 .LBB119_814
; %bb.774:
	s_cmp_gt_u32 s12, 0x3bffffff
	s_cbranch_scc0 .LBB119_809
; %bb.775:
	v_bfe_u32 v1, v1, 20, 1
	v_add_u32_e32 v1, s17, v1
	v_add_u32_e32 v1, 0x487ffff, v1
	v_lshrrev_b32_e32 v1, 20, v1
	s_mov_b64 s[14:15], 0
	s_mov_b64 s[12:13], -1
	s_branch .LBB119_810
.LBB119_776:
	s_mov_b64 s[12:13], 0
	s_cbranch_execnz .LBB119_871
.LBB119_777:
	s_andn2_b64 vcc, exec, s[12:13]
	s_cbranch_vccnz .LBB119_909
.LBB119_778:
	v_mov_b32_e32 v1, s9
	v_add_co_u32_e32 v0, vcc, s8, v0
	v_addc_co_u32_e32 v1, vcc, 0, v1, vcc
	s_and_b64 vcc, exec, s[0:1]
	s_cbranch_vccnz .LBB119_807
; %bb.779:
	v_cmp_lt_i16_e32 vcc, 25, v8
	s_mov_b64 s[8:9], -1
	s_mov_b64 s[4:5], 0
	s_mov_b64 s[0:1], 0
	s_cbranch_vccz .LBB119_831
; %bb.780:
	v_cmp_lt_i16_e32 vcc, 28, v8
	s_cbranch_vccz .LBB119_796
; %bb.781:
	v_cmp_lt_i16_e32 vcc, 43, v8
	;; [unrolled: 3-line block ×3, first 2 shown]
	s_cbranch_vccz .LBB119_786
; %bb.783:
	v_cmp_eq_u16_e32 vcc, 46, v8
	s_mov_b64 s[0:1], -1
	s_cbranch_vccz .LBB119_785
; %bb.784:
	s_lshl_b32 s0, s16, 8
	s_lshl_b32 s1, s16, 25
	s_lshr_b32 s8, s1, 4
	s_and_b32 s0, s0, 0x7f00
	s_or_b32 s8, s8, 0x70000000
	s_or_b32 s0, s0, 0.5
	s_cmp_lt_u32 s1, 0x8000000
	v_mov_b32_e32 v3, 0x7800000
	v_add_f32_e64 v2, s0, -0.5
	v_mul_f32_e32 v3, s8, v3
	s_cselect_b64 vcc, -1, 0
	s_lshl_b32 s0, s16, 24
	v_cndmask_b32_e32 v2, v3, v2, vcc
	s_and_b32 s0, s0, 0x80000000
	v_or_b32_e32 v3, s0, v2
	v_bfe_u32 v2, v2, 16, 1
	v_add_u32_e32 v2, v3, v2
	v_add_u32_e32 v2, 0x7fff, v2
	v_lshrrev_b32_e32 v2, 16, v2
	v_mov_b32_e32 v4, 0x7fc0
	v_cmp_o_f32_e32 vcc, v3, v3
	v_cndmask_b32_e32 v2, v4, v2, vcc
	global_store_dword v[0:1], v2, off
	s_mov_b64 s[0:1], 0
.LBB119_785:
	s_mov_b64 s[8:9], 0
.LBB119_786:
	s_and_b64 vcc, exec, s[8:9]
	s_cbranch_vccz .LBB119_791
; %bb.787:
	v_cmp_eq_u16_e32 vcc, 44, v8
	s_mov_b64 s[0:1], -1
	s_cbranch_vccz .LBB119_791
; %bb.788:
	s_lshl_b32 s0, s16, 8
	s_lshl_b32 s1, s16, 25
	s_lshr_b32 s8, s1, 4
	s_and_b32 s0, s0, 0x7f00
	s_or_b32 s8, s8, 0x70000000
	s_or_b32 s0, s0, 0.5
	s_cmp_lt_u32 s1, 0x8000000
	v_mov_b32_e32 v3, 0x7800000
	v_add_f32_e64 v2, s0, -0.5
	v_mul_f32_e32 v3, s8, v3
	s_cselect_b64 vcc, -1, 0
	v_cndmask_b32_e32 v2, v3, v2, vcc
	v_readfirstlane_b32 s0, v2
	s_bfe_u32 s1, s0, 0x80017
	s_cmpk_eq_i32 s1, 0xff
	v_mov_b32_e32 v3, 0xff
	s_cbranch_scc1 .LBB119_790
; %bb.789:
	s_bitcmp1_b32 s0, 22
	s_cselect_b64 s[8:9], -1, 0
	s_and_b32 s0, s0, 0x3fffff
	s_or_b32 s0, s1, s0
	s_cmp_lg_u32 s0, 0
	s_cselect_b64 s[0:1], -1, 0
	s_and_b64 s[0:1], s[8:9], s[0:1]
	v_lshrrev_b32_e32 v2, 23, v2
	v_cndmask_b32_e64 v3, 0, 1, s[0:1]
	v_add_u32_e32 v3, v2, v3
.LBB119_790:
	s_mov_b64 s[0:1], 0
	global_store_byte v[0:1], v3, off
.LBB119_791:
	s_mov_b64 s[8:9], 0
.LBB119_792:
	s_and_b64 vcc, exec, s[8:9]
	s_cbranch_vccz .LBB119_795
; %bb.793:
	v_cmp_eq_u16_e32 vcc, 29, v8
	s_mov_b64 s[0:1], -1
	s_cbranch_vccz .LBB119_795
; %bb.794:
	s_lshl_b32 s0, s16, 8
	s_lshl_b32 s1, s16, 25
	s_lshr_b32 s8, s1, 4
	s_and_b32 s0, s0, 0x7f00
	s_or_b32 s8, s8, 0x70000000
	s_or_b32 s0, s0, 0.5
	s_cmp_lt_u32 s1, 0x8000000
	v_mov_b32_e32 v3, 0x7800000
	v_add_f32_e64 v2, s0, -0.5
	v_mul_f32_e32 v3, s8, v3
	s_cselect_b64 vcc, -1, 0
	s_lshl_b32 s0, s16, 24
	v_cndmask_b32_e32 v2, v3, v2, vcc
	s_and_b32 s0, s0, 0x80000000
	v_or_b32_e32 v2, s0, v2
	v_trunc_f32_e32 v2, v2
	v_mul_f32_e32 v3, 0x2f800000, v2
	v_floor_f32_e32 v3, v3
	v_fmac_f32_e32 v2, 0xcf800000, v3
	v_cvt_u32_f32_e32 v2, v2
	v_cvt_u32_f32_e32 v3, v3
	s_mov_b64 s[0:1], 0
	global_store_dwordx2 v[0:1], v[2:3], off
.LBB119_795:
	s_mov_b64 s[8:9], 0
.LBB119_796:
	s_and_b64 vcc, exec, s[8:9]
	s_cbranch_vccz .LBB119_830
; %bb.797:
	v_cmp_gt_i16_e32 vcc, 27, v8
	s_mov_b64 s[8:9], -1
	s_cbranch_vccnz .LBB119_803
; %bb.798:
	v_cmp_lt_i16_e32 vcc, 27, v8
	s_cbranch_vccz .LBB119_800
; %bb.799:
	s_lshl_b32 s8, s16, 8
	s_lshl_b32 s9, s16, 25
	s_lshr_b32 s10, s9, 4
	s_and_b32 s8, s8, 0x7f00
	s_or_b32 s10, s10, 0x70000000
	s_or_b32 s8, s8, 0.5
	s_cmp_lt_u32 s9, 0x8000000
	v_mov_b32_e32 v3, 0x7800000
	v_add_f32_e64 v2, s8, -0.5
	v_mul_f32_e32 v3, s10, v3
	s_cselect_b64 vcc, -1, 0
	s_lshl_b32 s8, s16, 24
	v_cndmask_b32_e32 v2, v3, v2, vcc
	s_and_b32 s8, s8, 0x80000000
	v_or_b32_e32 v2, s8, v2
	v_cvt_u32_f32_e32 v2, v2
	s_mov_b64 s[8:9], 0
	global_store_dword v[0:1], v2, off
.LBB119_800:
	s_andn2_b64 vcc, exec, s[8:9]
	s_cbranch_vccnz .LBB119_802
; %bb.801:
	s_lshl_b32 s8, s16, 8
	s_lshl_b32 s9, s16, 25
	s_lshr_b32 s10, s9, 4
	s_and_b32 s8, s8, 0x7f00
	s_or_b32 s10, s10, 0x70000000
	s_or_b32 s8, s8, 0.5
	s_cmp_lt_u32 s9, 0x8000000
	v_mov_b32_e32 v3, 0x7800000
	v_add_f32_e64 v2, s8, -0.5
	v_mul_f32_e32 v3, s10, v3
	s_cselect_b64 vcc, -1, 0
	s_lshl_b32 s8, s16, 24
	v_cndmask_b32_e32 v2, v3, v2, vcc
	s_and_b32 s8, s8, 0x80000000
	v_or_b32_e32 v2, s8, v2
	v_cvt_u32_f32_e32 v2, v2
	global_store_short v[0:1], v2, off
.LBB119_802:
	s_mov_b64 s[8:9], 0
.LBB119_803:
	s_andn2_b64 vcc, exec, s[8:9]
	s_cbranch_vccnz .LBB119_830
; %bb.804:
	s_lshl_b32 s8, s16, 8
	s_lshl_b32 s9, s16, 25
	s_lshr_b32 s10, s9, 4
	s_and_b32 s8, s8, 0x7f00
	s_or_b32 s10, s10, 0x70000000
	s_or_b32 s8, s8, 0.5
	s_cmp_lt_u32 s9, 0x8000000
	v_mov_b32_e32 v3, 0x7800000
	v_add_f32_e64 v2, s8, -0.5
	v_mul_f32_e32 v3, s10, v3
	s_cselect_b64 vcc, -1, 0
	v_cndmask_b32_e32 v2, v3, v2, vcc
	s_lshl_b32 s8, s16, 24
	s_and_b32 s8, s8, 0x80000000
	v_readfirstlane_b32 s9, v2
	s_or_b32 s12, s8, s9
	s_and_b32 s8, s12, 0x7fffffff
	s_cmp_gt_u32 s8, 0x437fffff
	v_mov_b32_e32 v3, 0x80
	s_cbranch_scc1 .LBB119_829
; %bb.805:
	s_cmp_gt_u32 s8, 0x3bffffff
	s_cbranch_scc0 .LBB119_824
; %bb.806:
	v_bfe_u32 v2, v2, 20, 1
	v_add_u32_e32 v2, s12, v2
	v_add_u32_e32 v2, 0x487ffff, v2
	v_lshrrev_b32_e32 v2, 20, v2
	s_mov_b64 s[10:11], 0
	s_mov_b64 s[8:9], -1
	s_branch .LBB119_825
.LBB119_807:
	s_mov_b64 s[4:5], 0
	s_mov_b64 s[0:1], -1
	s_branch .LBB119_910
.LBB119_808:
	s_trap 2
	s_or_b64 s[2:3], s[2:3], exec
	s_cbranch_execz .LBB119_708
	s_branch .LBB119_709
.LBB119_809:
	s_mov_b64 s[14:15], -1
	s_mov_b64 s[12:13], 0
                                        ; implicit-def: $vgpr1
.LBB119_810:
	s_andn2_b64 vcc, exec, s[14:15]
                                        ; implicit-def: $sgpr14
	s_cbranch_vccnz .LBB119_812
; %bb.811:
	v_mov_b32_e32 v1, 0x46000000
	v_add_f32_e64 v1, |s17|, v1
	v_and_b32_e32 v1, 0xff, v1
	s_mov_b32 s14, 0
	v_cmp_ne_u32_e64 s[12:13], 0, v1
.LBB119_812:
	s_andn2_b64 vcc, exec, s[12:13]
	v_mov_b32_e32 v4, s14
	s_cbranch_vccnz .LBB119_814
; %bb.813:
	s_lshr_b32 s12, s17, 24
	s_and_b32 s12, s12, 0x80
	v_or_b32_e32 v4, s12, v1
.LBB119_814:
	global_store_byte v[2:3], v4, off
.LBB119_815:
	s_mov_b64 s[12:13], -1
.LBB119_816:
	s_mov_b64 s[14:15], 0
.LBB119_817:
	s_and_b64 vcc, exec, s[14:15]
	s_cbranch_vccz .LBB119_867
; %bb.818:
	v_cmp_lt_i16_e32 vcc, 22, v8
	s_mov_b64 s[10:11], -1
	s_cbranch_vccz .LBB119_860
; %bb.819:
	v_cmp_gt_i16_e32 vcc, 24, v8
	s_cbranch_vccnz .LBB119_857
; %bb.820:
	v_cmp_lt_i16_e32 vcc, 24, v8
	s_cbranch_vccz .LBB119_844
; %bb.821:
	s_lshl_b32 s10, s16, 8
	s_lshl_b32 s11, s16, 25
	s_lshr_b32 s12, s11, 4
	s_and_b32 s10, s10, 0x7f00
	s_or_b32 s12, s12, 0x70000000
	s_or_b32 s10, s10, 0.5
	s_cmp_lt_u32 s11, 0x8000000
	v_mov_b32_e32 v4, 0x7800000
	v_add_f32_e64 v1, s10, -0.5
	v_mul_f32_e32 v4, s12, v4
	s_cselect_b64 vcc, -1, 0
	v_cndmask_b32_e32 v1, v4, v1, vcc
	s_lshl_b32 s10, s16, 24
	s_and_b32 s10, s10, 0x80000000
	v_readfirstlane_b32 s11, v1
	s_or_b32 s14, s10, s11
	s_and_b32 s10, s14, 0x7fffffff
	s_cmp_gt_u32 s10, 0x477fffff
	v_mov_b32_e32 v4, 0x80
	s_cbranch_scc1 .LBB119_843
; %bb.822:
	s_cmp_gt_u32 s10, 0x37ffffff
	s_cbranch_scc0 .LBB119_838
; %bb.823:
	v_bfe_u32 v1, v1, 21, 1
	v_add_u32_e32 v1, s14, v1
	v_add_u32_e32 v1, 0x88fffff, v1
	v_lshrrev_b32_e32 v1, 21, v1
	s_mov_b64 s[12:13], 0
	s_mov_b64 s[10:11], -1
	s_branch .LBB119_839
.LBB119_824:
	s_mov_b64 s[10:11], -1
	s_mov_b64 s[8:9], 0
                                        ; implicit-def: $vgpr2
.LBB119_825:
	s_andn2_b64 vcc, exec, s[10:11]
                                        ; implicit-def: $sgpr10
	s_cbranch_vccnz .LBB119_827
; %bb.826:
	v_mov_b32_e32 v2, 0x46000000
	v_add_f32_e64 v2, |s12|, v2
	v_and_b32_e32 v2, 0xff, v2
	s_mov_b32 s10, 0
	v_cmp_ne_u32_e64 s[8:9], 0, v2
.LBB119_827:
	s_andn2_b64 vcc, exec, s[8:9]
	v_mov_b32_e32 v3, s10
	s_cbranch_vccnz .LBB119_829
; %bb.828:
	s_lshr_b32 s8, s12, 24
	s_and_b32 s8, s8, 0x80
	v_or_b32_e32 v3, s8, v2
.LBB119_829:
	global_store_byte v[0:1], v3, off
.LBB119_830:
	s_mov_b64 s[8:9], 0
.LBB119_831:
	s_and_b64 vcc, exec, s[8:9]
	s_cbranch_vccz .LBB119_984
; %bb.832:
	v_cmp_lt_i16_e32 vcc, 22, v8
	s_mov_b64 s[4:5], -1
	s_cbranch_vccz .LBB119_977
; %bb.833:
	v_cmp_gt_i16_e32 vcc, 24, v8
	s_cbranch_vccnz .LBB119_974
; %bb.834:
	v_cmp_lt_i16_e32 vcc, 24, v8
	s_cbranch_vccz .LBB119_961
; %bb.835:
	s_lshl_b32 s4, s16, 8
	s_lshl_b32 s5, s16, 25
	s_lshr_b32 s8, s5, 4
	s_and_b32 s4, s4, 0x7f00
	s_or_b32 s8, s8, 0x70000000
	s_or_b32 s4, s4, 0.5
	s_cmp_lt_u32 s5, 0x8000000
	v_mov_b32_e32 v3, 0x7800000
	v_add_f32_e64 v2, s4, -0.5
	v_mul_f32_e32 v3, s8, v3
	s_cselect_b64 vcc, -1, 0
	v_cndmask_b32_e32 v2, v3, v2, vcc
	s_lshl_b32 s4, s16, 24
	s_and_b32 s4, s4, 0x80000000
	v_readfirstlane_b32 s5, v2
	s_or_b32 s10, s4, s5
	s_and_b32 s4, s10, 0x7fffffff
	s_cmp_gt_u32 s4, 0x477fffff
	v_mov_b32_e32 v3, 0x80
	s_cbranch_scc1 .LBB119_960
; %bb.836:
	s_cmp_gt_u32 s4, 0x37ffffff
	s_cbranch_scc0 .LBB119_955
; %bb.837:
	v_bfe_u32 v2, v2, 21, 1
	v_add_u32_e32 v2, s10, v2
	v_add_u32_e32 v2, 0x88fffff, v2
	v_lshrrev_b32_e32 v2, 21, v2
	s_mov_b64 s[8:9], 0
	s_mov_b64 s[4:5], -1
	s_branch .LBB119_956
.LBB119_838:
	s_mov_b64 s[12:13], -1
	s_mov_b64 s[10:11], 0
                                        ; implicit-def: $vgpr1
.LBB119_839:
	s_andn2_b64 vcc, exec, s[12:13]
                                        ; implicit-def: $sgpr12
	s_cbranch_vccnz .LBB119_841
; %bb.840:
	v_mov_b32_e32 v1, 0x42800000
	v_add_f32_e64 v1, |s14|, v1
	v_and_b32_e32 v1, 0xff, v1
	s_mov_b32 s12, 0
	v_cmp_ne_u32_e64 s[10:11], 0, v1
.LBB119_841:
	s_andn2_b64 vcc, exec, s[10:11]
	v_mov_b32_e32 v4, s12
	s_cbranch_vccnz .LBB119_843
; %bb.842:
	s_lshr_b32 s10, s14, 24
	s_and_b32 s10, s10, 0x80
	v_or_b32_e32 v4, s10, v1
.LBB119_843:
	s_mov_b64 s[10:11], 0
	global_store_byte v[2:3], v4, off
.LBB119_844:
	s_and_b64 vcc, exec, s[10:11]
	s_cbranch_vccz .LBB119_856
; %bb.845:
	s_lshl_b32 s10, s16, 8
	s_lshl_b32 s11, s16, 25
	s_lshr_b32 s12, s11, 4
	s_and_b32 s10, s10, 0x7f00
	s_or_b32 s12, s12, 0x70000000
	s_or_b32 s10, s10, 0.5
	s_cmp_lt_u32 s11, 0x8000000
	v_mov_b32_e32 v4, 0x7800000
	v_add_f32_e64 v1, s10, -0.5
	v_mul_f32_e32 v4, s12, v4
	s_cselect_b64 vcc, -1, 0
	v_cndmask_b32_e32 v1, v4, v1, vcc
	s_lshl_b32 s11, s16, 24
	v_readfirstlane_b32 s10, v1
	s_and_b32 s11, s11, 0x80000000
	s_or_b32 s12, s11, s10
	s_and_b32 s13, s12, 0x7fffffff
	s_cmp_lt_u32 s13, 0x43f00000
	s_cbranch_scc0 .LBB119_848
; %bb.846:
	s_cmp_gt_u32 s13, 0x3c7fffff
	s_cbranch_scc0 .LBB119_849
; %bb.847:
	s_bfe_u32 s10, s10, 0x10014
	s_add_i32 s10, s12, s10
	s_add_i32 s10, s10, 0x407ffff
	s_lshr_b32 s11, s10, 20
	s_and_b32 s10, s10, 0xff00000
	s_cmp_lg_u32 s10, 0x7f00000
	s_cselect_b32 s14, s11, 0x7e
	s_mov_b64 s[10:11], 0
	s_branch .LBB119_850
.LBB119_848:
	s_mov_b64 s[10:11], -1
                                        ; implicit-def: $vgpr1
	s_branch .LBB119_853
.LBB119_849:
	s_mov_b64 s[10:11], -1
                                        ; implicit-def: $sgpr14
.LBB119_850:
	s_andn2_b64 vcc, exec, s[10:11]
	v_mov_b32_e32 v1, s14
	s_cbranch_vccnz .LBB119_852
; %bb.851:
	v_mov_b32_e32 v1, 0x46800000
	v_add_f32_e64 v1, |s12|, v1
.LBB119_852:
	s_mov_b64 s[10:11], 0
.LBB119_853:
	s_andn2_b64 vcc, exec, s[10:11]
	s_cbranch_vccnz .LBB119_855
; %bb.854:
	s_cmp_gt_u32 s13, 0x7f800000
	s_movk_i32 s10, 0x7f
	s_cselect_b32 s10, s10, 0x7e
	v_mov_b32_e32 v1, s10
.LBB119_855:
	s_lshr_b32 s10, s12, 24
	s_and_b32 s10, s10, 0x80
	v_or_b32_e32 v1, s10, v1
	global_store_byte v[2:3], v1, off
.LBB119_856:
	s_mov_b64 s[10:11], 0
.LBB119_857:
	s_andn2_b64 vcc, exec, s[10:11]
	s_cbranch_vccnz .LBB119_859
; %bb.858:
	v_mov_b32_e32 v1, s16
	global_store_byte v[2:3], v1, off
.LBB119_859:
	s_mov_b64 s[10:11], 0
	s_mov_b64 s[12:13], -1
.LBB119_860:
	s_andn2_b64 vcc, exec, s[10:11]
	s_mov_b64 s[10:11], 0
	s_cbranch_vccnz .LBB119_867
; %bb.861:
	v_cmp_lt_i16_e32 vcc, 14, v8
	s_mov_b64 s[14:15], -1
	s_cbranch_vccz .LBB119_865
; %bb.862:
	v_cmp_eq_u16_e32 vcc, 15, v8
	s_mov_b64 s[4:5], -1
	s_cbranch_vccz .LBB119_864
; %bb.863:
	s_lshl_b32 s4, s16, 8
	s_lshl_b32 s5, s16, 25
	s_lshr_b32 s10, s5, 4
	s_and_b32 s4, s4, 0x7f00
	s_or_b32 s10, s10, 0x70000000
	s_or_b32 s4, s4, 0.5
	s_cmp_lt_u32 s5, 0x8000000
	v_mov_b32_e32 v4, 0x7800000
	v_add_f32_e64 v1, s4, -0.5
	v_mul_f32_e32 v4, s10, v4
	s_cselect_b64 vcc, -1, 0
	s_lshl_b32 s4, s16, 24
	v_cndmask_b32_e32 v1, v4, v1, vcc
	s_and_b32 s4, s4, 0x80000000
	v_or_b32_e32 v4, s4, v1
	v_bfe_u32 v1, v1, 16, 1
	v_add_u32_e32 v1, v4, v1
	v_add_u32_e32 v1, 0x7fff, v1
	v_lshrrev_b32_e32 v1, 16, v1
	v_mov_b32_e32 v5, 0x7fc0
	v_cmp_o_f32_e32 vcc, v4, v4
	v_cndmask_b32_e32 v1, v5, v1, vcc
	global_store_short v[2:3], v1, off
	s_mov_b64 s[4:5], 0
	s_mov_b64 s[12:13], -1
.LBB119_864:
	s_mov_b64 s[14:15], 0
.LBB119_865:
	s_mov_b64 s[10:11], 0
	s_and_b64 vcc, exec, s[14:15]
	s_cbranch_vccz .LBB119_867
; %bb.866:
	v_cmp_ne_u16_e64 s[4:5], 11, v8
	s_mov_b64 s[10:11], -1
.LBB119_867:
	s_and_b64 vcc, exec, s[4:5]
	s_cbranch_vccnz .LBB119_954
; %bb.868:
	s_andn2_b64 vcc, exec, s[10:11]
	s_cbranch_vccnz .LBB119_870
.LBB119_869:
	s_lshl_b32 s4, s16, 8
	s_lshl_b32 s5, s16, 25
	s_lshr_b32 s10, s5, 4
	s_and_b32 s4, s4, 0x7f00
	s_or_b32 s10, s10, 0x70000000
	s_or_b32 s4, s4, 0.5
	s_cmp_lt_u32 s5, 0x8000000
	v_mov_b32_e32 v4, 0x7800000
	v_add_f32_e64 v1, s4, -0.5
	v_mul_f32_e32 v4, s10, v4
	s_cselect_b64 vcc, -1, 0
	v_cndmask_b32_e32 v1, v4, v1, vcc
	v_cmp_neq_f32_e32 vcc, 0, v1
	v_cndmask_b32_e64 v1, 0, 1, vcc
	s_mov_b64 s[12:13], -1
	global_store_byte v[2:3], v1, off
.LBB119_870:
	s_branch .LBB119_777
.LBB119_871:
	v_cmp_gt_i16_e32 vcc, 5, v8
	s_mov_b64 s[4:5], -1
	s_cbranch_vccnz .LBB119_892
; %bb.872:
	v_cmp_gt_i16_e32 vcc, 8, v8
	s_cbranch_vccnz .LBB119_882
; %bb.873:
	v_cmp_gt_i16_e32 vcc, 9, v8
	s_cbranch_vccnz .LBB119_879
; %bb.874:
	v_cmp_lt_i16_e32 vcc, 9, v8
	s_cbranch_vccz .LBB119_876
; %bb.875:
	s_lshl_b32 s4, s16, 8
	s_lshl_b32 s5, s16, 25
	s_lshr_b32 s10, s5, 4
	s_and_b32 s4, s4, 0x7f00
	s_or_b32 s10, s10, 0x70000000
	s_or_b32 s4, s4, 0.5
	s_cmp_lt_u32 s5, 0x8000000
	v_mov_b32_e32 v4, 0x7800000
	v_add_f32_e64 v1, s4, -0.5
	v_mul_f32_e32 v4, s10, v4
	s_cselect_b64 vcc, -1, 0
	s_lshl_b32 s4, s16, 24
	v_cndmask_b32_e32 v1, v4, v1, vcc
	s_and_b32 s4, s4, 0x80000000
	v_or_b32_e32 v1, s4, v1
	v_mov_b32_e32 v6, 0
	v_cvt_f64_f32_e32 v[4:5], v1
	v_mov_b32_e32 v7, v6
	global_store_dwordx4 v[2:3], v[4:7], off
	s_mov_b64 s[4:5], 0
.LBB119_876:
	s_andn2_b64 vcc, exec, s[4:5]
	s_cbranch_vccnz .LBB119_878
; %bb.877:
	s_lshl_b32 s4, s16, 8
	s_lshl_b32 s5, s16, 25
	s_lshr_b32 s10, s5, 4
	s_and_b32 s4, s4, 0x7f00
	s_or_b32 s10, s10, 0x70000000
	s_or_b32 s4, s4, 0.5
	s_cmp_lt_u32 s5, 0x8000000
	v_mov_b32_e32 v4, 0x7800000
	v_add_f32_e64 v1, s4, -0.5
	v_mul_f32_e32 v4, s10, v4
	s_cselect_b64 vcc, -1, 0
	s_lshl_b32 s4, s16, 24
	v_cndmask_b32_e32 v1, v4, v1, vcc
	s_and_b32 s4, s4, 0x80000000
	v_or_b32_e32 v4, s4, v1
	v_mov_b32_e32 v5, 0
	global_store_dwordx2 v[2:3], v[4:5], off
.LBB119_878:
	s_mov_b64 s[4:5], 0
.LBB119_879:
	s_andn2_b64 vcc, exec, s[4:5]
	s_cbranch_vccnz .LBB119_881
; %bb.880:
	s_lshl_b32 s4, s16, 8
	s_lshl_b32 s5, s16, 25
	s_lshr_b32 s10, s5, 4
	s_and_b32 s4, s4, 0x7f00
	s_or_b32 s10, s10, 0x70000000
	s_or_b32 s4, s4, 0.5
	s_cmp_lt_u32 s5, 0x8000000
	v_mov_b32_e32 v4, 0x7800000
	v_add_f32_e64 v1, s4, -0.5
	v_mul_f32_e32 v4, s10, v4
	s_cselect_b64 vcc, -1, 0
	s_lshl_b32 s4, s16, 24
	v_cndmask_b32_e32 v1, v4, v1, vcc
	s_and_b32 s4, s4, 0x80000000
	v_or_b32_e32 v1, s4, v1
	v_cvt_f16_f32_e32 v1, v1
	global_store_dword v[2:3], v1, off
.LBB119_881:
	s_mov_b64 s[4:5], 0
.LBB119_882:
	s_andn2_b64 vcc, exec, s[4:5]
	s_cbranch_vccnz .LBB119_891
; %bb.883:
	v_cmp_gt_i16_e32 vcc, 6, v8
	s_mov_b64 s[4:5], -1
	s_cbranch_vccnz .LBB119_889
; %bb.884:
	v_cmp_lt_i16_e32 vcc, 6, v8
	s_cbranch_vccz .LBB119_886
; %bb.885:
	s_lshl_b32 s4, s16, 8
	s_lshl_b32 s5, s16, 25
	s_lshr_b32 s10, s5, 4
	s_and_b32 s4, s4, 0x7f00
	s_or_b32 s10, s10, 0x70000000
	s_or_b32 s4, s4, 0.5
	s_cmp_lt_u32 s5, 0x8000000
	v_mov_b32_e32 v4, 0x7800000
	v_add_f32_e64 v1, s4, -0.5
	v_mul_f32_e32 v4, s10, v4
	s_cselect_b64 vcc, -1, 0
	s_lshl_b32 s4, s16, 24
	v_cndmask_b32_e32 v1, v4, v1, vcc
	s_and_b32 s4, s4, 0x80000000
	v_or_b32_e32 v1, s4, v1
	v_cvt_f64_f32_e32 v[4:5], v1
	global_store_dwordx2 v[2:3], v[4:5], off
	s_mov_b64 s[4:5], 0
.LBB119_886:
	s_andn2_b64 vcc, exec, s[4:5]
	s_cbranch_vccnz .LBB119_888
; %bb.887:
	s_lshl_b32 s4, s16, 8
	s_lshl_b32 s5, s16, 25
	s_lshr_b32 s10, s5, 4
	s_and_b32 s4, s4, 0x7f00
	s_or_b32 s10, s10, 0x70000000
	s_or_b32 s4, s4, 0.5
	s_cmp_lt_u32 s5, 0x8000000
	v_mov_b32_e32 v4, 0x7800000
	v_add_f32_e64 v1, s4, -0.5
	v_mul_f32_e32 v4, s10, v4
	s_cselect_b64 vcc, -1, 0
	s_lshl_b32 s4, s16, 24
	v_cndmask_b32_e32 v1, v4, v1, vcc
	s_and_b32 s4, s4, 0x80000000
	v_or_b32_e32 v1, s4, v1
	global_store_dword v[2:3], v1, off
.LBB119_888:
	s_mov_b64 s[4:5], 0
.LBB119_889:
	s_andn2_b64 vcc, exec, s[4:5]
	s_cbranch_vccnz .LBB119_891
; %bb.890:
	s_lshl_b32 s4, s16, 8
	s_lshl_b32 s5, s16, 25
	s_lshr_b32 s10, s5, 4
	s_and_b32 s4, s4, 0x7f00
	s_or_b32 s10, s10, 0x70000000
	s_or_b32 s4, s4, 0.5
	s_cmp_lt_u32 s5, 0x8000000
	v_mov_b32_e32 v4, 0x7800000
	v_add_f32_e64 v1, s4, -0.5
	v_mul_f32_e32 v4, s10, v4
	s_cselect_b64 vcc, -1, 0
	s_lshl_b32 s4, s16, 24
	v_cndmask_b32_e32 v1, v4, v1, vcc
	s_and_b32 s4, s4, 0x80000000
	v_or_b32_e32 v1, s4, v1
	v_cvt_f16_f32_e32 v1, v1
	global_store_short v[2:3], v1, off
.LBB119_891:
	s_mov_b64 s[4:5], 0
.LBB119_892:
	s_andn2_b64 vcc, exec, s[4:5]
	s_cbranch_vccnz .LBB119_908
; %bb.893:
	v_cmp_gt_i16_e32 vcc, 2, v8
	s_mov_b64 s[4:5], -1
	s_cbranch_vccnz .LBB119_903
; %bb.894:
	v_cmp_gt_i16_e32 vcc, 3, v8
	s_cbranch_vccnz .LBB119_900
; %bb.895:
	v_cmp_lt_i16_e32 vcc, 3, v8
	s_cbranch_vccz .LBB119_897
; %bb.896:
	s_lshl_b32 s4, s16, 8
	s_lshl_b32 s5, s16, 25
	s_lshr_b32 s10, s5, 4
	s_and_b32 s4, s4, 0x7f00
	s_or_b32 s10, s10, 0x70000000
	s_or_b32 s4, s4, 0.5
	s_cmp_lt_u32 s5, 0x8000000
	v_mov_b32_e32 v4, 0x7800000
	v_add_f32_e64 v1, s4, -0.5
	v_mul_f32_e32 v4, s10, v4
	s_cselect_b64 vcc, -1, 0
	s_lshl_b32 s4, s16, 24
	v_cndmask_b32_e32 v1, v4, v1, vcc
	s_and_b32 s4, s4, 0x80000000
	v_or_b32_e32 v1, s4, v1
	v_trunc_f32_e32 v1, v1
	s_mov_b32 s4, 0x2f800000
	v_mul_f32_e64 v4, |v1|, s4
	v_floor_f32_e32 v4, v4
	s_mov_b32 s4, 0xcf800000
	v_fma_f32 v5, v4, s4, |v1|
	v_cvt_u32_f32_e32 v5, v5
	v_cvt_u32_f32_e32 v4, v4
	v_ashrrev_i32_e32 v1, 31, v1
	s_mov_b64 s[4:5], 0
	v_xor_b32_e32 v5, v5, v1
	v_xor_b32_e32 v6, v4, v1
	v_sub_co_u32_e32 v4, vcc, v5, v1
	v_subb_co_u32_e32 v5, vcc, v6, v1, vcc
	global_store_dwordx2 v[2:3], v[4:5], off
.LBB119_897:
	s_andn2_b64 vcc, exec, s[4:5]
	s_cbranch_vccnz .LBB119_899
; %bb.898:
	s_lshl_b32 s4, s16, 8
	s_lshl_b32 s5, s16, 25
	s_lshr_b32 s10, s5, 4
	s_and_b32 s4, s4, 0x7f00
	s_or_b32 s10, s10, 0x70000000
	s_or_b32 s4, s4, 0.5
	s_cmp_lt_u32 s5, 0x8000000
	v_mov_b32_e32 v4, 0x7800000
	v_add_f32_e64 v1, s4, -0.5
	v_mul_f32_e32 v4, s10, v4
	s_cselect_b64 vcc, -1, 0
	s_lshl_b32 s4, s16, 24
	v_cndmask_b32_e32 v1, v4, v1, vcc
	s_and_b32 s4, s4, 0x80000000
	v_or_b32_e32 v1, s4, v1
	v_cvt_i32_f32_e32 v1, v1
	global_store_dword v[2:3], v1, off
.LBB119_899:
	s_mov_b64 s[4:5], 0
.LBB119_900:
	s_andn2_b64 vcc, exec, s[4:5]
	s_cbranch_vccnz .LBB119_902
; %bb.901:
	s_lshl_b32 s4, s16, 8
	s_lshl_b32 s5, s16, 25
	s_lshr_b32 s10, s5, 4
	s_and_b32 s4, s4, 0x7f00
	s_or_b32 s10, s10, 0x70000000
	s_or_b32 s4, s4, 0.5
	s_cmp_lt_u32 s5, 0x8000000
	v_mov_b32_e32 v4, 0x7800000
	v_add_f32_e64 v1, s4, -0.5
	v_mul_f32_e32 v4, s10, v4
	s_cselect_b64 vcc, -1, 0
	s_lshl_b32 s4, s16, 24
	v_cndmask_b32_e32 v1, v4, v1, vcc
	s_and_b32 s4, s4, 0x80000000
	v_or_b32_e32 v1, s4, v1
	v_cvt_i32_f32_e32 v1, v1
	global_store_short v[2:3], v1, off
.LBB119_902:
	s_mov_b64 s[4:5], 0
.LBB119_903:
	s_andn2_b64 vcc, exec, s[4:5]
	s_cbranch_vccnz .LBB119_908
; %bb.904:
	v_cmp_lt_i16_e32 vcc, 0, v8
	s_mov_b64 s[4:5], -1
	s_cbranch_vccz .LBB119_906
; %bb.905:
	s_lshl_b32 s4, s16, 8
	s_lshl_b32 s5, s16, 25
	s_lshr_b32 s10, s5, 4
	s_and_b32 s4, s4, 0x7f00
	s_or_b32 s10, s10, 0x70000000
	s_or_b32 s4, s4, 0.5
	s_cmp_lt_u32 s5, 0x8000000
	v_mov_b32_e32 v4, 0x7800000
	v_add_f32_e64 v1, s4, -0.5
	v_mul_f32_e32 v4, s10, v4
	s_cselect_b64 vcc, -1, 0
	s_lshl_b32 s4, s16, 24
	v_cndmask_b32_e32 v1, v4, v1, vcc
	s_and_b32 s4, s4, 0x80000000
	v_or_b32_e32 v1, s4, v1
	v_cvt_i32_f32_e32 v1, v1
	s_mov_b64 s[4:5], 0
	global_store_byte v[2:3], v1, off
.LBB119_906:
	s_andn2_b64 vcc, exec, s[4:5]
	s_cbranch_vccnz .LBB119_908
; %bb.907:
	s_lshl_b32 s4, s16, 8
	s_lshl_b32 s5, s16, 25
	s_lshr_b32 s10, s5, 4
	s_and_b32 s4, s4, 0x7f00
	s_or_b32 s10, s10, 0x70000000
	s_or_b32 s4, s4, 0.5
	s_cmp_lt_u32 s5, 0x8000000
	v_mov_b32_e32 v4, 0x7800000
	v_add_f32_e64 v1, s4, -0.5
	v_mul_f32_e32 v4, s10, v4
	s_cselect_b64 vcc, -1, 0
	s_lshl_b32 s4, s16, 24
	v_cndmask_b32_e32 v1, v4, v1, vcc
	s_and_b32 s4, s4, 0x80000000
	v_or_b32_e32 v1, s4, v1
	v_trunc_f32_e32 v1, v1
	s_mov_b32 s4, 0x2f800000
	v_mul_f32_e64 v4, |v1|, s4
	v_floor_f32_e32 v4, v4
	s_mov_b32 s4, 0xcf800000
	v_fma_f32 v4, v4, s4, |v1|
	v_cvt_u32_f32_e32 v4, v4
	v_ashrrev_i32_e32 v1, 31, v1
	v_xor_b32_e32 v4, v4, v1
	v_sub_u32_e32 v1, v4, v1
	global_store_byte v[2:3], v1, off
.LBB119_908:
	s_branch .LBB119_778
.LBB119_909:
	s_mov_b64 s[0:1], 0
	s_mov_b64 s[4:5], 0
                                        ; implicit-def: $vgpr8
                                        ; implicit-def: $vgpr0_vgpr1
.LBB119_910:
	s_and_b64 s[28:29], s[4:5], exec
	s_andn2_b64 s[4:5], s[6:7], exec
	s_and_b64 s[2:3], s[2:3], exec
	s_and_b64 s[0:1], s[0:1], exec
	s_or_b64 s[6:7], s[4:5], s[2:3]
.LBB119_911:
	s_or_b64 exec, exec, s[24:25]
	s_and_saveexec_b64 s[2:3], s[6:7]
	s_cbranch_execz .LBB119_914
; %bb.912:
	; divergent unreachable
	s_or_b64 exec, exec, s[2:3]
	s_and_saveexec_b64 s[2:3], s[28:29]
	s_xor_b64 s[2:3], exec, s[2:3]
	s_cbranch_execnz .LBB119_915
.LBB119_913:
	s_or_b64 exec, exec, s[2:3]
	s_and_saveexec_b64 s[2:3], s[0:1]
	s_cbranch_execnz .LBB119_916
	s_branch .LBB119_953
.LBB119_914:
	s_or_b64 exec, exec, s[2:3]
	s_and_saveexec_b64 s[2:3], s[28:29]
	s_xor_b64 s[2:3], exec, s[2:3]
	s_cbranch_execz .LBB119_913
.LBB119_915:
	s_lshl_b32 s4, s16, 8
	s_lshl_b32 s5, s16, 25
	s_lshr_b32 s6, s5, 4
	s_and_b32 s4, s4, 0x7f00
	s_or_b32 s6, s6, 0x70000000
	s_or_b32 s4, s4, 0.5
	s_cmp_lt_u32 s5, 0x8000000
	v_mov_b32_e32 v3, 0x7800000
	v_add_f32_e64 v2, s4, -0.5
	v_mul_f32_e32 v3, s6, v3
	s_cselect_b64 vcc, -1, 0
	v_cndmask_b32_e32 v2, v3, v2, vcc
	v_cmp_neq_f32_e32 vcc, 0, v2
	v_cndmask_b32_e64 v2, 0, 1, vcc
	global_store_byte v[0:1], v2, off
	s_or_b64 exec, exec, s[2:3]
	s_and_saveexec_b64 s[2:3], s[0:1]
	s_cbranch_execz .LBB119_953
.LBB119_916:
	v_cmp_gt_i16_e32 vcc, 5, v8
	s_mov_b64 s[0:1], -1
	s_cbranch_vccnz .LBB119_937
; %bb.917:
	v_cmp_gt_i16_e32 vcc, 8, v8
	s_cbranch_vccnz .LBB119_927
; %bb.918:
	v_cmp_gt_i16_e32 vcc, 9, v8
	s_cbranch_vccnz .LBB119_924
; %bb.919:
	v_cmp_lt_i16_e32 vcc, 9, v8
	s_cbranch_vccz .LBB119_921
; %bb.920:
	s_lshl_b32 s0, s16, 8
	s_lshl_b32 s1, s16, 25
	s_lshr_b32 s2, s1, 4
	s_and_b32 s0, s0, 0x7f00
	s_or_b32 s2, s2, 0x70000000
	s_or_b32 s0, s0, 0.5
	s_cmp_lt_u32 s1, 0x8000000
	v_mov_b32_e32 v3, 0x7800000
	v_add_f32_e64 v2, s0, -0.5
	v_mul_f32_e32 v3, s2, v3
	s_cselect_b64 vcc, -1, 0
	s_lshl_b32 s0, s16, 24
	v_cndmask_b32_e32 v2, v3, v2, vcc
	s_and_b32 s0, s0, 0x80000000
	v_or_b32_e32 v2, s0, v2
	v_mov_b32_e32 v4, 0
	v_cvt_f64_f32_e32 v[2:3], v2
	v_mov_b32_e32 v5, v4
	global_store_dwordx4 v[0:1], v[2:5], off
	s_mov_b64 s[0:1], 0
.LBB119_921:
	s_andn2_b64 vcc, exec, s[0:1]
	s_cbranch_vccnz .LBB119_923
; %bb.922:
	s_lshl_b32 s0, s16, 8
	s_lshl_b32 s1, s16, 25
	s_lshr_b32 s2, s1, 4
	s_and_b32 s0, s0, 0x7f00
	s_or_b32 s2, s2, 0x70000000
	s_or_b32 s0, s0, 0.5
	s_cmp_lt_u32 s1, 0x8000000
	v_mov_b32_e32 v3, 0x7800000
	v_add_f32_e64 v2, s0, -0.5
	v_mul_f32_e32 v3, s2, v3
	s_cselect_b64 vcc, -1, 0
	s_lshl_b32 s0, s16, 24
	v_cndmask_b32_e32 v2, v3, v2, vcc
	s_and_b32 s0, s0, 0x80000000
	v_or_b32_e32 v2, s0, v2
	v_mov_b32_e32 v3, 0
	global_store_dwordx2 v[0:1], v[2:3], off
.LBB119_923:
	s_mov_b64 s[0:1], 0
.LBB119_924:
	s_andn2_b64 vcc, exec, s[0:1]
	s_cbranch_vccnz .LBB119_926
; %bb.925:
	s_lshl_b32 s0, s16, 8
	s_lshl_b32 s1, s16, 25
	s_lshr_b32 s2, s1, 4
	s_and_b32 s0, s0, 0x7f00
	s_or_b32 s2, s2, 0x70000000
	s_or_b32 s0, s0, 0.5
	s_cmp_lt_u32 s1, 0x8000000
	v_mov_b32_e32 v3, 0x7800000
	v_add_f32_e64 v2, s0, -0.5
	v_mul_f32_e32 v3, s2, v3
	s_cselect_b64 vcc, -1, 0
	s_lshl_b32 s0, s16, 24
	v_cndmask_b32_e32 v2, v3, v2, vcc
	s_and_b32 s0, s0, 0x80000000
	v_or_b32_e32 v2, s0, v2
	v_cvt_f16_f32_e32 v2, v2
	global_store_dword v[0:1], v2, off
.LBB119_926:
	s_mov_b64 s[0:1], 0
.LBB119_927:
	s_andn2_b64 vcc, exec, s[0:1]
	s_cbranch_vccnz .LBB119_936
; %bb.928:
	v_cmp_gt_i16_e32 vcc, 6, v8
	s_mov_b64 s[0:1], -1
	s_cbranch_vccnz .LBB119_934
; %bb.929:
	v_cmp_lt_i16_e32 vcc, 6, v8
	s_cbranch_vccz .LBB119_931
; %bb.930:
	s_lshl_b32 s0, s16, 8
	s_lshl_b32 s1, s16, 25
	s_lshr_b32 s2, s1, 4
	s_and_b32 s0, s0, 0x7f00
	s_or_b32 s2, s2, 0x70000000
	s_or_b32 s0, s0, 0.5
	s_cmp_lt_u32 s1, 0x8000000
	v_mov_b32_e32 v3, 0x7800000
	v_add_f32_e64 v2, s0, -0.5
	v_mul_f32_e32 v3, s2, v3
	s_cselect_b64 vcc, -1, 0
	s_lshl_b32 s0, s16, 24
	v_cndmask_b32_e32 v2, v3, v2, vcc
	s_and_b32 s0, s0, 0x80000000
	v_or_b32_e32 v2, s0, v2
	v_cvt_f64_f32_e32 v[2:3], v2
	global_store_dwordx2 v[0:1], v[2:3], off
	s_mov_b64 s[0:1], 0
.LBB119_931:
	s_andn2_b64 vcc, exec, s[0:1]
	s_cbranch_vccnz .LBB119_933
; %bb.932:
	s_lshl_b32 s0, s16, 8
	s_lshl_b32 s1, s16, 25
	s_lshr_b32 s2, s1, 4
	s_and_b32 s0, s0, 0x7f00
	s_or_b32 s2, s2, 0x70000000
	s_or_b32 s0, s0, 0.5
	s_cmp_lt_u32 s1, 0x8000000
	v_mov_b32_e32 v3, 0x7800000
	v_add_f32_e64 v2, s0, -0.5
	v_mul_f32_e32 v3, s2, v3
	s_cselect_b64 vcc, -1, 0
	s_lshl_b32 s0, s16, 24
	v_cndmask_b32_e32 v2, v3, v2, vcc
	s_and_b32 s0, s0, 0x80000000
	v_or_b32_e32 v2, s0, v2
	global_store_dword v[0:1], v2, off
.LBB119_933:
	s_mov_b64 s[0:1], 0
.LBB119_934:
	s_andn2_b64 vcc, exec, s[0:1]
	s_cbranch_vccnz .LBB119_936
; %bb.935:
	s_lshl_b32 s0, s16, 8
	s_lshl_b32 s1, s16, 25
	s_lshr_b32 s2, s1, 4
	s_and_b32 s0, s0, 0x7f00
	s_or_b32 s2, s2, 0x70000000
	s_or_b32 s0, s0, 0.5
	s_cmp_lt_u32 s1, 0x8000000
	v_mov_b32_e32 v3, 0x7800000
	v_add_f32_e64 v2, s0, -0.5
	v_mul_f32_e32 v3, s2, v3
	s_cselect_b64 vcc, -1, 0
	s_lshl_b32 s0, s16, 24
	v_cndmask_b32_e32 v2, v3, v2, vcc
	s_and_b32 s0, s0, 0x80000000
	v_or_b32_e32 v2, s0, v2
	v_cvt_f16_f32_e32 v2, v2
	global_store_short v[0:1], v2, off
.LBB119_936:
	s_mov_b64 s[0:1], 0
.LBB119_937:
	s_andn2_b64 vcc, exec, s[0:1]
	s_cbranch_vccnz .LBB119_953
; %bb.938:
	v_cmp_gt_i16_e32 vcc, 2, v8
	s_mov_b64 s[0:1], -1
	s_cbranch_vccnz .LBB119_948
; %bb.939:
	v_cmp_gt_i16_e32 vcc, 3, v8
	s_cbranch_vccnz .LBB119_945
; %bb.940:
	v_cmp_lt_i16_e32 vcc, 3, v8
	s_cbranch_vccz .LBB119_942
; %bb.941:
	s_lshl_b32 s0, s16, 8
	s_lshl_b32 s1, s16, 25
	s_lshr_b32 s2, s1, 4
	s_and_b32 s0, s0, 0x7f00
	s_or_b32 s2, s2, 0x70000000
	s_or_b32 s0, s0, 0.5
	s_cmp_lt_u32 s1, 0x8000000
	v_mov_b32_e32 v3, 0x7800000
	v_add_f32_e64 v2, s0, -0.5
	v_mul_f32_e32 v3, s2, v3
	s_cselect_b64 vcc, -1, 0
	s_lshl_b32 s0, s16, 24
	v_cndmask_b32_e32 v2, v3, v2, vcc
	s_and_b32 s0, s0, 0x80000000
	v_or_b32_e32 v2, s0, v2
	v_trunc_f32_e32 v2, v2
	s_mov_b32 s0, 0x2f800000
	v_mul_f32_e64 v3, |v2|, s0
	v_floor_f32_e32 v3, v3
	s_mov_b32 s0, 0xcf800000
	v_fma_f32 v4, v3, s0, |v2|
	v_cvt_u32_f32_e32 v4, v4
	v_cvt_u32_f32_e32 v3, v3
	v_ashrrev_i32_e32 v5, 31, v2
	s_mov_b64 s[0:1], 0
	v_xor_b32_e32 v2, v4, v5
	v_xor_b32_e32 v3, v3, v5
	v_sub_co_u32_e32 v2, vcc, v2, v5
	v_subb_co_u32_e32 v3, vcc, v3, v5, vcc
	global_store_dwordx2 v[0:1], v[2:3], off
.LBB119_942:
	s_andn2_b64 vcc, exec, s[0:1]
	s_cbranch_vccnz .LBB119_944
; %bb.943:
	s_lshl_b32 s0, s16, 8
	s_lshl_b32 s1, s16, 25
	s_lshr_b32 s2, s1, 4
	s_and_b32 s0, s0, 0x7f00
	s_or_b32 s2, s2, 0x70000000
	s_or_b32 s0, s0, 0.5
	s_cmp_lt_u32 s1, 0x8000000
	v_mov_b32_e32 v3, 0x7800000
	v_add_f32_e64 v2, s0, -0.5
	v_mul_f32_e32 v3, s2, v3
	s_cselect_b64 vcc, -1, 0
	s_lshl_b32 s0, s16, 24
	v_cndmask_b32_e32 v2, v3, v2, vcc
	s_and_b32 s0, s0, 0x80000000
	v_or_b32_e32 v2, s0, v2
	v_cvt_i32_f32_e32 v2, v2
	global_store_dword v[0:1], v2, off
.LBB119_944:
	s_mov_b64 s[0:1], 0
.LBB119_945:
	s_andn2_b64 vcc, exec, s[0:1]
	s_cbranch_vccnz .LBB119_947
; %bb.946:
	s_lshl_b32 s0, s16, 8
	s_lshl_b32 s1, s16, 25
	s_lshr_b32 s2, s1, 4
	s_and_b32 s0, s0, 0x7f00
	s_or_b32 s2, s2, 0x70000000
	s_or_b32 s0, s0, 0.5
	s_cmp_lt_u32 s1, 0x8000000
	v_mov_b32_e32 v3, 0x7800000
	v_add_f32_e64 v2, s0, -0.5
	v_mul_f32_e32 v3, s2, v3
	s_cselect_b64 vcc, -1, 0
	s_lshl_b32 s0, s16, 24
	v_cndmask_b32_e32 v2, v3, v2, vcc
	s_and_b32 s0, s0, 0x80000000
	v_or_b32_e32 v2, s0, v2
	v_cvt_i32_f32_e32 v2, v2
	global_store_short v[0:1], v2, off
.LBB119_947:
	s_mov_b64 s[0:1], 0
.LBB119_948:
	s_andn2_b64 vcc, exec, s[0:1]
	s_cbranch_vccnz .LBB119_953
; %bb.949:
	v_cmp_lt_i16_e32 vcc, 0, v8
	s_mov_b64 s[0:1], -1
	s_cbranch_vccz .LBB119_951
; %bb.950:
	s_lshl_b32 s0, s16, 8
	s_lshl_b32 s1, s16, 25
	s_lshr_b32 s2, s1, 4
	s_and_b32 s0, s0, 0x7f00
	s_or_b32 s2, s2, 0x70000000
	s_or_b32 s0, s0, 0.5
	s_cmp_lt_u32 s1, 0x8000000
	v_mov_b32_e32 v3, 0x7800000
	v_add_f32_e64 v2, s0, -0.5
	v_mul_f32_e32 v3, s2, v3
	s_cselect_b64 vcc, -1, 0
	s_lshl_b32 s0, s16, 24
	v_cndmask_b32_e32 v2, v3, v2, vcc
	s_and_b32 s0, s0, 0x80000000
	v_or_b32_e32 v2, s0, v2
	v_cvt_i32_f32_e32 v2, v2
	s_mov_b64 s[0:1], 0
	global_store_byte v[0:1], v2, off
.LBB119_951:
	s_andn2_b64 vcc, exec, s[0:1]
	s_cbranch_vccnz .LBB119_953
; %bb.952:
	s_lshl_b32 s0, s16, 8
	s_lshl_b32 s1, s16, 25
	s_lshr_b32 s2, s1, 4
	s_and_b32 s0, s0, 0x7f00
	s_or_b32 s2, s2, 0x70000000
	s_or_b32 s0, s0, 0.5
	s_cmp_lt_u32 s1, 0x8000000
	v_mov_b32_e32 v3, 0x7800000
	v_add_f32_e64 v2, s0, -0.5
	v_mul_f32_e32 v3, s2, v3
	s_cselect_b64 vcc, -1, 0
	s_lshl_b32 s0, s16, 24
	v_cndmask_b32_e32 v2, v3, v2, vcc
	s_and_b32 s0, s0, 0x80000000
	v_or_b32_e32 v2, s0, v2
	v_trunc_f32_e32 v2, v2
	s_mov_b32 s0, 0x2f800000
	v_mul_f32_e64 v3, |v2|, s0
	v_floor_f32_e32 v3, v3
	s_mov_b32 s0, 0xcf800000
	v_fma_f32 v3, v3, s0, |v2|
	v_cvt_u32_f32_e32 v3, v3
	v_ashrrev_i32_e32 v2, 31, v2
	v_xor_b32_e32 v3, v3, v2
	v_sub_u32_e32 v2, v3, v2
	global_store_byte v[0:1], v2, off
	s_endpgm
.LBB119_953:
	s_endpgm
.LBB119_954:
	s_trap 2
	s_or_b64 s[2:3], s[2:3], exec
	s_cbranch_execz .LBB119_869
	s_branch .LBB119_870
.LBB119_955:
	s_mov_b64 s[8:9], -1
	s_mov_b64 s[4:5], 0
                                        ; implicit-def: $vgpr2
.LBB119_956:
	s_andn2_b64 vcc, exec, s[8:9]
                                        ; implicit-def: $sgpr8
	s_cbranch_vccnz .LBB119_958
; %bb.957:
	v_mov_b32_e32 v2, 0x42800000
	v_add_f32_e64 v2, |s10|, v2
	v_and_b32_e32 v2, 0xff, v2
	s_mov_b32 s8, 0
	v_cmp_ne_u32_e64 s[4:5], 0, v2
.LBB119_958:
	s_andn2_b64 vcc, exec, s[4:5]
	v_mov_b32_e32 v3, s8
	s_cbranch_vccnz .LBB119_960
; %bb.959:
	s_lshr_b32 s4, s10, 24
	s_and_b32 s4, s4, 0x80
	v_or_b32_e32 v3, s4, v2
.LBB119_960:
	s_mov_b64 s[4:5], 0
	global_store_byte v[0:1], v3, off
.LBB119_961:
	s_and_b64 vcc, exec, s[4:5]
	s_cbranch_vccz .LBB119_973
; %bb.962:
	s_lshl_b32 s4, s16, 8
	s_lshl_b32 s5, s16, 25
	s_lshr_b32 s8, s5, 4
	s_and_b32 s4, s4, 0x7f00
	s_or_b32 s8, s8, 0x70000000
	s_or_b32 s4, s4, 0.5
	s_cmp_lt_u32 s5, 0x8000000
	v_mov_b32_e32 v3, 0x7800000
	v_add_f32_e64 v2, s4, -0.5
	v_mul_f32_e32 v3, s8, v3
	s_cselect_b64 vcc, -1, 0
	v_cndmask_b32_e32 v2, v3, v2, vcc
	s_lshl_b32 s5, s16, 24
	v_readfirstlane_b32 s4, v2
	s_and_b32 s5, s5, 0x80000000
	s_or_b32 s8, s5, s4
	s_and_b32 s9, s8, 0x7fffffff
	s_cmp_lt_u32 s9, 0x43f00000
	s_cbranch_scc0 .LBB119_965
; %bb.963:
	s_cmp_gt_u32 s9, 0x3c7fffff
	s_cbranch_scc0 .LBB119_966
; %bb.964:
	s_bfe_u32 s4, s4, 0x10014
	s_add_i32 s4, s8, s4
	s_add_i32 s4, s4, 0x407ffff
	s_lshr_b32 s5, s4, 20
	s_and_b32 s4, s4, 0xff00000
	s_cmp_lg_u32 s4, 0x7f00000
	s_cselect_b32 s10, s5, 0x7e
	s_mov_b64 s[4:5], 0
	s_branch .LBB119_967
.LBB119_965:
	s_mov_b64 s[4:5], -1
                                        ; implicit-def: $vgpr2
	s_branch .LBB119_970
.LBB119_966:
	s_mov_b64 s[4:5], -1
                                        ; implicit-def: $sgpr10
.LBB119_967:
	s_andn2_b64 vcc, exec, s[4:5]
	v_mov_b32_e32 v2, s10
	s_cbranch_vccnz .LBB119_969
; %bb.968:
	v_mov_b32_e32 v2, 0x46800000
	v_add_f32_e64 v2, |s8|, v2
.LBB119_969:
	s_mov_b64 s[4:5], 0
.LBB119_970:
	s_andn2_b64 vcc, exec, s[4:5]
	s_cbranch_vccnz .LBB119_972
; %bb.971:
	s_cmp_gt_u32 s9, 0x7f800000
	s_movk_i32 s4, 0x7f
	s_cselect_b32 s4, s4, 0x7e
	v_mov_b32_e32 v2, s4
.LBB119_972:
	s_lshr_b32 s4, s8, 24
	s_and_b32 s4, s4, 0x80
	v_or_b32_e32 v2, s4, v2
	global_store_byte v[0:1], v2, off
.LBB119_973:
	s_mov_b64 s[4:5], 0
.LBB119_974:
	s_andn2_b64 vcc, exec, s[4:5]
	s_cbranch_vccnz .LBB119_976
; %bb.975:
	v_mov_b32_e32 v2, s16
	global_store_byte v[0:1], v2, off
.LBB119_976:
	s_mov_b64 s[4:5], 0
.LBB119_977:
	s_andn2_b64 vcc, exec, s[4:5]
	s_mov_b64 s[4:5], 0
	s_cbranch_vccnz .LBB119_984
; %bb.978:
	v_cmp_lt_i16_e32 vcc, 14, v8
	s_mov_b64 s[8:9], -1
	s_cbranch_vccz .LBB119_982
; %bb.979:
	v_cmp_eq_u16_e32 vcc, 15, v8
	s_mov_b64 s[0:1], -1
	s_cbranch_vccz .LBB119_981
; %bb.980:
	s_lshl_b32 s0, s16, 8
	s_lshl_b32 s1, s16, 25
	s_lshr_b32 s4, s1, 4
	s_and_b32 s0, s0, 0x7f00
	s_or_b32 s4, s4, 0x70000000
	s_or_b32 s0, s0, 0.5
	s_cmp_lt_u32 s1, 0x8000000
	v_mov_b32_e32 v3, 0x7800000
	v_add_f32_e64 v2, s0, -0.5
	v_mul_f32_e32 v3, s4, v3
	s_cselect_b64 vcc, -1, 0
	s_lshl_b32 s0, s16, 24
	v_cndmask_b32_e32 v2, v3, v2, vcc
	s_and_b32 s0, s0, 0x80000000
	v_or_b32_e32 v3, s0, v2
	v_bfe_u32 v2, v2, 16, 1
	v_add_u32_e32 v2, v3, v2
	v_add_u32_e32 v2, 0x7fff, v2
	v_lshrrev_b32_e32 v2, 16, v2
	v_mov_b32_e32 v4, 0x7fc0
	v_cmp_o_f32_e32 vcc, v3, v3
	v_cndmask_b32_e32 v2, v4, v2, vcc
	global_store_short v[0:1], v2, off
	s_mov_b64 s[0:1], 0
.LBB119_981:
	s_mov_b64 s[8:9], 0
.LBB119_982:
	s_mov_b64 s[4:5], 0
	s_and_b64 vcc, exec, s[8:9]
	s_cbranch_vccz .LBB119_984
; %bb.983:
	v_cmp_ne_u16_e64 s[0:1], 11, v8
	s_mov_b64 s[4:5], -1
.LBB119_984:
	s_and_b64 vcc, exec, s[0:1]
	s_cbranch_vccnz .LBB119_986
.LBB119_985:
	s_mov_b64 s[0:1], 0
	s_branch .LBB119_910
.LBB119_986:
	s_mov_b64 s[4:5], 0
	s_or_b64 s[2:3], s[2:3], exec
	s_trap 2
	s_branch .LBB119_985
	.section	.rodata,"a",@progbits
	.p2align	6, 0x0
	.amdhsa_kernel _ZN2at6native32elementwise_kernel_manual_unrollILi128ELi4EZNS0_15gpu_kernel_implINS0_11FillFunctorIN3c1011Float8_e5m2EEEEEvRNS_18TensorIteratorBaseERKT_EUlibE0_EEviT1_
		.amdhsa_group_segment_fixed_size 0
		.amdhsa_private_segment_fixed_size 0
		.amdhsa_kernarg_size 288
		.amdhsa_user_sgpr_count 6
		.amdhsa_user_sgpr_private_segment_buffer 1
		.amdhsa_user_sgpr_dispatch_ptr 0
		.amdhsa_user_sgpr_queue_ptr 0
		.amdhsa_user_sgpr_kernarg_segment_ptr 1
		.amdhsa_user_sgpr_dispatch_id 0
		.amdhsa_user_sgpr_flat_scratch_init 0
		.amdhsa_user_sgpr_kernarg_preload_length 0
		.amdhsa_user_sgpr_kernarg_preload_offset 0
		.amdhsa_user_sgpr_private_segment_size 0
		.amdhsa_uses_dynamic_stack 0
		.amdhsa_system_sgpr_private_segment_wavefront_offset 0
		.amdhsa_system_sgpr_workgroup_id_x 1
		.amdhsa_system_sgpr_workgroup_id_y 0
		.amdhsa_system_sgpr_workgroup_id_z 0
		.amdhsa_system_sgpr_workgroup_info 0
		.amdhsa_system_vgpr_workitem_id 0
		.amdhsa_next_free_vgpr 23
		.amdhsa_next_free_sgpr 87
		.amdhsa_accum_offset 24
		.amdhsa_reserve_vcc 1
		.amdhsa_reserve_flat_scratch 0
		.amdhsa_float_round_mode_32 0
		.amdhsa_float_round_mode_16_64 0
		.amdhsa_float_denorm_mode_32 3
		.amdhsa_float_denorm_mode_16_64 3
		.amdhsa_dx10_clamp 1
		.amdhsa_ieee_mode 1
		.amdhsa_fp16_overflow 0
		.amdhsa_tg_split 0
		.amdhsa_exception_fp_ieee_invalid_op 0
		.amdhsa_exception_fp_denorm_src 0
		.amdhsa_exception_fp_ieee_div_zero 0
		.amdhsa_exception_fp_ieee_overflow 0
		.amdhsa_exception_fp_ieee_underflow 0
		.amdhsa_exception_fp_ieee_inexact 0
		.amdhsa_exception_int_div_zero 0
	.end_amdhsa_kernel
	.section	.text._ZN2at6native32elementwise_kernel_manual_unrollILi128ELi4EZNS0_15gpu_kernel_implINS0_11FillFunctorIN3c1011Float8_e5m2EEEEEvRNS_18TensorIteratorBaseERKT_EUlibE0_EEviT1_,"axG",@progbits,_ZN2at6native32elementwise_kernel_manual_unrollILi128ELi4EZNS0_15gpu_kernel_implINS0_11FillFunctorIN3c1011Float8_e5m2EEEEEvRNS_18TensorIteratorBaseERKT_EUlibE0_EEviT1_,comdat
.Lfunc_end119:
	.size	_ZN2at6native32elementwise_kernel_manual_unrollILi128ELi4EZNS0_15gpu_kernel_implINS0_11FillFunctorIN3c1011Float8_e5m2EEEEEvRNS_18TensorIteratorBaseERKT_EUlibE0_EEviT1_, .Lfunc_end119-_ZN2at6native32elementwise_kernel_manual_unrollILi128ELi4EZNS0_15gpu_kernel_implINS0_11FillFunctorIN3c1011Float8_e5m2EEEEEvRNS_18TensorIteratorBaseERKT_EUlibE0_EEviT1_
                                        ; -- End function
	.section	.AMDGPU.csdata,"",@progbits
; Kernel info:
; codeLenInByte = 23428
; NumSgprs: 91
; NumVgprs: 23
; NumAgprs: 0
; TotalNumVgprs: 23
; ScratchSize: 0
; MemoryBound: 0
; FloatMode: 240
; IeeeMode: 1
; LDSByteSize: 0 bytes/workgroup (compile time only)
; SGPRBlocks: 11
; VGPRBlocks: 2
; NumSGPRsForWavesPerEU: 91
; NumVGPRsForWavesPerEU: 23
; AccumOffset: 24
; Occupancy: 8
; WaveLimiterHint : 1
; COMPUTE_PGM_RSRC2:SCRATCH_EN: 0
; COMPUTE_PGM_RSRC2:USER_SGPR: 6
; COMPUTE_PGM_RSRC2:TRAP_HANDLER: 0
; COMPUTE_PGM_RSRC2:TGID_X_EN: 1
; COMPUTE_PGM_RSRC2:TGID_Y_EN: 0
; COMPUTE_PGM_RSRC2:TGID_Z_EN: 0
; COMPUTE_PGM_RSRC2:TIDIG_COMP_CNT: 0
; COMPUTE_PGM_RSRC3_GFX90A:ACCUM_OFFSET: 5
; COMPUTE_PGM_RSRC3_GFX90A:TG_SPLIT: 0
	.section	.text._ZN2at6native29vectorized_elementwise_kernelILi16ENS0_11FillFunctorIN3c1015Float8_e5m2fnuzEEESt5arrayIPcLm1EEEEviT0_T1_,"axG",@progbits,_ZN2at6native29vectorized_elementwise_kernelILi16ENS0_11FillFunctorIN3c1015Float8_e5m2fnuzEEESt5arrayIPcLm1EEEEviT0_T1_,comdat
	.protected	_ZN2at6native29vectorized_elementwise_kernelILi16ENS0_11FillFunctorIN3c1015Float8_e5m2fnuzEEESt5arrayIPcLm1EEEEviT0_T1_ ; -- Begin function _ZN2at6native29vectorized_elementwise_kernelILi16ENS0_11FillFunctorIN3c1015Float8_e5m2fnuzEEESt5arrayIPcLm1EEEEviT0_T1_
	.globl	_ZN2at6native29vectorized_elementwise_kernelILi16ENS0_11FillFunctorIN3c1015Float8_e5m2fnuzEEESt5arrayIPcLm1EEEEviT0_T1_
	.p2align	8
	.type	_ZN2at6native29vectorized_elementwise_kernelILi16ENS0_11FillFunctorIN3c1015Float8_e5m2fnuzEEESt5arrayIPcLm1EEEEviT0_T1_,@function
_ZN2at6native29vectorized_elementwise_kernelILi16ENS0_11FillFunctorIN3c1015Float8_e5m2fnuzEEESt5arrayIPcLm1EEEEviT0_T1_: ; @_ZN2at6native29vectorized_elementwise_kernelILi16ENS0_11FillFunctorIN3c1015Float8_e5m2fnuzEEESt5arrayIPcLm1EEEEviT0_T1_
; %bb.0:
	s_load_dwordx4 s[0:3], s[4:5], 0x0
	s_lshl_b32 s8, s6, 12
	s_waitcnt lgkmcnt(0)
	s_sub_i32 s0, s0, s8
	s_cmpk_gt_i32 s0, 0xfff
	s_cbranch_scc0 .LBB120_4
; %bb.1:
	s_ashr_i32 s5, s8, 31
	s_add_u32 s4, s2, s8
	s_addc_u32 s5, s3, s5
	v_lshlrev_b32_e32 v1, 4, v0
	v_mov_b32_e32 v2, s5
	v_add_co_u32_e32 v5, vcc, s4, v1
	v_addc_co_u32_e32 v6, vcc, 0, v2, vcc
	v_lshlrev_b16_e64 v2, 8, s1
	v_or_b32_sdwa v7, s1, v2 dst_sel:DWORD dst_unused:UNUSED_PAD src0_sel:BYTE_0 src1_sel:DWORD
	v_lshlrev_b32_e32 v2, 16, v7
	v_mov_b32_e32 v4, s1
	v_or_b32_sdwa v2, v7, v2 dst_sel:DWORD dst_unused:UNUSED_PAD src0_sel:WORD_0 src1_sel:DWORD
	v_mov_b32_e32 v3, v2
	global_store_byte v1, v4, s[4:5] offset:14
	global_store_short v1, v7, s[4:5] offset:12
	v_mov_b32_e32 v4, v2
	global_store_dwordx3 v1, v[2:4], s[4:5]
	s_nop 0
	v_add_co_u32_e32 v2, vcc, 15, v5
	v_addc_co_u32_e32 v3, vcc, 0, v6, vcc
	s_mov_b64 s[4:5], -1
	s_cbranch_execz .LBB120_5
; %bb.2:
	s_and_saveexec_b64 s[2:3], s[4:5]
	s_cbranch_execz .LBB120_24
.LBB120_3:
	v_mov_b32_e32 v0, s1
	global_store_byte v[2:3], v0, off
	s_endpgm
.LBB120_4:
	s_mov_b64 s[4:5], 0
                                        ; implicit-def: $vgpr2_vgpr3
.LBB120_5:
	v_cmp_gt_i32_e32 vcc, s0, v0
	s_and_saveexec_b64 s[6:7], vcc
	s_cbranch_execz .LBB120_25
; %bb.6:
	v_or_b32_e32 v1, 0x100, v0
	v_or_b32_e32 v0, s8, v0
	v_mov_b32_e32 v2, s1
	global_store_byte v0, v2, s[2:3]
	v_mov_b32_e32 v0, v1
	s_or_b64 exec, exec, s[6:7]
	v_cmp_gt_i32_e32 vcc, s0, v0
	s_and_saveexec_b64 s[6:7], vcc
	s_cbranch_execnz .LBB120_26
.LBB120_7:
	s_or_b64 exec, exec, s[6:7]
	v_cmp_gt_i32_e32 vcc, s0, v0
	s_and_saveexec_b64 s[6:7], vcc
	s_cbranch_execz .LBB120_27
.LBB120_8:
	v_add_u32_e32 v1, s8, v0
	v_add_u32_e32 v0, 0x100, v0
	v_mov_b32_e32 v2, s1
	global_store_byte v1, v2, s[2:3]
	s_or_b64 exec, exec, s[6:7]
	v_cmp_gt_i32_e32 vcc, s0, v0
	s_and_saveexec_b64 s[6:7], vcc
	s_cbranch_execnz .LBB120_28
.LBB120_9:
	s_or_b64 exec, exec, s[6:7]
	v_cmp_gt_i32_e32 vcc, s0, v0
	s_and_saveexec_b64 s[6:7], vcc
	s_cbranch_execz .LBB120_29
.LBB120_10:
	v_add_u32_e32 v1, s8, v0
	v_add_u32_e32 v0, 0x100, v0
	v_mov_b32_e32 v2, s1
	global_store_byte v1, v2, s[2:3]
	s_or_b64 exec, exec, s[6:7]
	v_cmp_gt_i32_e32 vcc, s0, v0
	s_and_saveexec_b64 s[6:7], vcc
	s_cbranch_execnz .LBB120_30
.LBB120_11:
	s_or_b64 exec, exec, s[6:7]
	v_cmp_gt_i32_e32 vcc, s0, v0
	s_and_saveexec_b64 s[6:7], vcc
	s_cbranch_execz .LBB120_31
.LBB120_12:
	v_add_u32_e32 v1, s8, v0
	v_add_u32_e32 v0, 0x100, v0
	v_mov_b32_e32 v2, s1
	global_store_byte v1, v2, s[2:3]
	s_or_b64 exec, exec, s[6:7]
	v_cmp_gt_i32_e32 vcc, s0, v0
	s_and_saveexec_b64 s[6:7], vcc
	s_cbranch_execnz .LBB120_32
.LBB120_13:
	s_or_b64 exec, exec, s[6:7]
	v_cmp_gt_i32_e32 vcc, s0, v0
	s_and_saveexec_b64 s[6:7], vcc
	s_cbranch_execz .LBB120_33
.LBB120_14:
	v_add_u32_e32 v1, s8, v0
	v_add_u32_e32 v0, 0x100, v0
	v_mov_b32_e32 v2, s1
	global_store_byte v1, v2, s[2:3]
	s_or_b64 exec, exec, s[6:7]
	v_cmp_gt_i32_e32 vcc, s0, v0
	s_and_saveexec_b64 s[6:7], vcc
	s_cbranch_execnz .LBB120_34
.LBB120_15:
	s_or_b64 exec, exec, s[6:7]
	v_cmp_gt_i32_e32 vcc, s0, v0
	s_and_saveexec_b64 s[6:7], vcc
	s_cbranch_execz .LBB120_35
.LBB120_16:
	v_add_u32_e32 v1, s8, v0
	v_add_u32_e32 v0, 0x100, v0
	v_mov_b32_e32 v2, s1
	global_store_byte v1, v2, s[2:3]
	s_or_b64 exec, exec, s[6:7]
	v_cmp_gt_i32_e32 vcc, s0, v0
	s_and_saveexec_b64 s[6:7], vcc
	s_cbranch_execnz .LBB120_36
.LBB120_17:
	s_or_b64 exec, exec, s[6:7]
	v_cmp_gt_i32_e32 vcc, s0, v0
	s_and_saveexec_b64 s[6:7], vcc
	s_cbranch_execz .LBB120_37
.LBB120_18:
	v_add_u32_e32 v1, s8, v0
	v_add_u32_e32 v0, 0x100, v0
	v_mov_b32_e32 v2, s1
	global_store_byte v1, v2, s[2:3]
	s_or_b64 exec, exec, s[6:7]
	v_cmp_gt_i32_e32 vcc, s0, v0
	s_and_saveexec_b64 s[6:7], vcc
	s_cbranch_execnz .LBB120_38
.LBB120_19:
	s_or_b64 exec, exec, s[6:7]
	v_cmp_gt_i32_e32 vcc, s0, v0
	s_and_saveexec_b64 s[6:7], vcc
	s_cbranch_execz .LBB120_21
.LBB120_20:
	v_add_u32_e32 v1, s8, v0
	v_add_u32_e32 v0, 0x100, v0
	v_mov_b32_e32 v2, s1
	global_store_byte v1, v2, s[2:3]
.LBB120_21:
	s_or_b64 exec, exec, s[6:7]
	v_cmp_gt_i32_e32 vcc, s0, v0
                                        ; implicit-def: $vgpr2_vgpr3
	s_and_saveexec_b64 s[6:7], vcc
; %bb.22:
	v_add_u32_e32 v0, s8, v0
	v_mov_b32_e32 v1, s3
	v_add_co_u32_e32 v2, vcc, s2, v0
	v_addc_co_u32_e32 v3, vcc, 0, v1, vcc
	s_or_b64 s[4:5], s[4:5], exec
; %bb.23:
	s_or_b64 exec, exec, s[6:7]
	s_and_saveexec_b64 s[2:3], s[4:5]
	s_cbranch_execnz .LBB120_3
.LBB120_24:
	s_endpgm
.LBB120_25:
	s_or_b64 exec, exec, s[6:7]
	v_cmp_gt_i32_e32 vcc, s0, v0
	s_and_saveexec_b64 s[6:7], vcc
	s_cbranch_execz .LBB120_7
.LBB120_26:
	v_add_u32_e32 v1, s8, v0
	v_add_u32_e32 v0, 0x100, v0
	v_mov_b32_e32 v2, s1
	global_store_byte v1, v2, s[2:3]
	s_or_b64 exec, exec, s[6:7]
	v_cmp_gt_i32_e32 vcc, s0, v0
	s_and_saveexec_b64 s[6:7], vcc
	s_cbranch_execnz .LBB120_8
.LBB120_27:
	s_or_b64 exec, exec, s[6:7]
	v_cmp_gt_i32_e32 vcc, s0, v0
	s_and_saveexec_b64 s[6:7], vcc
	s_cbranch_execz .LBB120_9
.LBB120_28:
	v_add_u32_e32 v1, s8, v0
	v_add_u32_e32 v0, 0x100, v0
	v_mov_b32_e32 v2, s1
	global_store_byte v1, v2, s[2:3]
	s_or_b64 exec, exec, s[6:7]
	v_cmp_gt_i32_e32 vcc, s0, v0
	s_and_saveexec_b64 s[6:7], vcc
	s_cbranch_execnz .LBB120_10
.LBB120_29:
	s_or_b64 exec, exec, s[6:7]
	v_cmp_gt_i32_e32 vcc, s0, v0
	s_and_saveexec_b64 s[6:7], vcc
	s_cbranch_execz .LBB120_11
.LBB120_30:
	v_add_u32_e32 v1, s8, v0
	v_add_u32_e32 v0, 0x100, v0
	v_mov_b32_e32 v2, s1
	global_store_byte v1, v2, s[2:3]
	s_or_b64 exec, exec, s[6:7]
	v_cmp_gt_i32_e32 vcc, s0, v0
	s_and_saveexec_b64 s[6:7], vcc
	s_cbranch_execnz .LBB120_12
.LBB120_31:
	s_or_b64 exec, exec, s[6:7]
	v_cmp_gt_i32_e32 vcc, s0, v0
	s_and_saveexec_b64 s[6:7], vcc
	s_cbranch_execz .LBB120_13
.LBB120_32:
	v_add_u32_e32 v1, s8, v0
	v_add_u32_e32 v0, 0x100, v0
	v_mov_b32_e32 v2, s1
	global_store_byte v1, v2, s[2:3]
	s_or_b64 exec, exec, s[6:7]
	v_cmp_gt_i32_e32 vcc, s0, v0
	s_and_saveexec_b64 s[6:7], vcc
	s_cbranch_execnz .LBB120_14
.LBB120_33:
	s_or_b64 exec, exec, s[6:7]
	v_cmp_gt_i32_e32 vcc, s0, v0
	s_and_saveexec_b64 s[6:7], vcc
	s_cbranch_execz .LBB120_15
.LBB120_34:
	v_add_u32_e32 v1, s8, v0
	v_add_u32_e32 v0, 0x100, v0
	v_mov_b32_e32 v2, s1
	global_store_byte v1, v2, s[2:3]
	s_or_b64 exec, exec, s[6:7]
	v_cmp_gt_i32_e32 vcc, s0, v0
	s_and_saveexec_b64 s[6:7], vcc
	s_cbranch_execnz .LBB120_16
.LBB120_35:
	s_or_b64 exec, exec, s[6:7]
	v_cmp_gt_i32_e32 vcc, s0, v0
	s_and_saveexec_b64 s[6:7], vcc
	s_cbranch_execz .LBB120_17
.LBB120_36:
	v_add_u32_e32 v1, s8, v0
	v_add_u32_e32 v0, 0x100, v0
	v_mov_b32_e32 v2, s1
	global_store_byte v1, v2, s[2:3]
	s_or_b64 exec, exec, s[6:7]
	v_cmp_gt_i32_e32 vcc, s0, v0
	s_and_saveexec_b64 s[6:7], vcc
	s_cbranch_execnz .LBB120_18
.LBB120_37:
	s_or_b64 exec, exec, s[6:7]
	v_cmp_gt_i32_e32 vcc, s0, v0
	s_and_saveexec_b64 s[6:7], vcc
	s_cbranch_execz .LBB120_19
.LBB120_38:
	v_add_u32_e32 v1, s8, v0
	v_add_u32_e32 v0, 0x100, v0
	v_mov_b32_e32 v2, s1
	global_store_byte v1, v2, s[2:3]
	s_or_b64 exec, exec, s[6:7]
	v_cmp_gt_i32_e32 vcc, s0, v0
	s_and_saveexec_b64 s[6:7], vcc
	s_cbranch_execz .LBB120_21
	s_branch .LBB120_20
	.section	.rodata,"a",@progbits
	.p2align	6, 0x0
	.amdhsa_kernel _ZN2at6native29vectorized_elementwise_kernelILi16ENS0_11FillFunctorIN3c1015Float8_e5m2fnuzEEESt5arrayIPcLm1EEEEviT0_T1_
		.amdhsa_group_segment_fixed_size 0
		.amdhsa_private_segment_fixed_size 0
		.amdhsa_kernarg_size 16
		.amdhsa_user_sgpr_count 6
		.amdhsa_user_sgpr_private_segment_buffer 1
		.amdhsa_user_sgpr_dispatch_ptr 0
		.amdhsa_user_sgpr_queue_ptr 0
		.amdhsa_user_sgpr_kernarg_segment_ptr 1
		.amdhsa_user_sgpr_dispatch_id 0
		.amdhsa_user_sgpr_flat_scratch_init 0
		.amdhsa_user_sgpr_kernarg_preload_length 0
		.amdhsa_user_sgpr_kernarg_preload_offset 0
		.amdhsa_user_sgpr_private_segment_size 0
		.amdhsa_uses_dynamic_stack 0
		.amdhsa_system_sgpr_private_segment_wavefront_offset 0
		.amdhsa_system_sgpr_workgroup_id_x 1
		.amdhsa_system_sgpr_workgroup_id_y 0
		.amdhsa_system_sgpr_workgroup_id_z 0
		.amdhsa_system_sgpr_workgroup_info 0
		.amdhsa_system_vgpr_workitem_id 0
		.amdhsa_next_free_vgpr 8
		.amdhsa_next_free_sgpr 9
		.amdhsa_accum_offset 8
		.amdhsa_reserve_vcc 1
		.amdhsa_reserve_flat_scratch 0
		.amdhsa_float_round_mode_32 0
		.amdhsa_float_round_mode_16_64 0
		.amdhsa_float_denorm_mode_32 3
		.amdhsa_float_denorm_mode_16_64 3
		.amdhsa_dx10_clamp 1
		.amdhsa_ieee_mode 1
		.amdhsa_fp16_overflow 0
		.amdhsa_tg_split 0
		.amdhsa_exception_fp_ieee_invalid_op 0
		.amdhsa_exception_fp_denorm_src 0
		.amdhsa_exception_fp_ieee_div_zero 0
		.amdhsa_exception_fp_ieee_overflow 0
		.amdhsa_exception_fp_ieee_underflow 0
		.amdhsa_exception_fp_ieee_inexact 0
		.amdhsa_exception_int_div_zero 0
	.end_amdhsa_kernel
	.section	.text._ZN2at6native29vectorized_elementwise_kernelILi16ENS0_11FillFunctorIN3c1015Float8_e5m2fnuzEEESt5arrayIPcLm1EEEEviT0_T1_,"axG",@progbits,_ZN2at6native29vectorized_elementwise_kernelILi16ENS0_11FillFunctorIN3c1015Float8_e5m2fnuzEEESt5arrayIPcLm1EEEEviT0_T1_,comdat
.Lfunc_end120:
	.size	_ZN2at6native29vectorized_elementwise_kernelILi16ENS0_11FillFunctorIN3c1015Float8_e5m2fnuzEEESt5arrayIPcLm1EEEEviT0_T1_, .Lfunc_end120-_ZN2at6native29vectorized_elementwise_kernelILi16ENS0_11FillFunctorIN3c1015Float8_e5m2fnuzEEESt5arrayIPcLm1EEEEviT0_T1_
                                        ; -- End function
	.section	.AMDGPU.csdata,"",@progbits
; Kernel info:
; codeLenInByte = 1044
; NumSgprs: 13
; NumVgprs: 8
; NumAgprs: 0
; TotalNumVgprs: 8
; ScratchSize: 0
; MemoryBound: 0
; FloatMode: 240
; IeeeMode: 1
; LDSByteSize: 0 bytes/workgroup (compile time only)
; SGPRBlocks: 1
; VGPRBlocks: 0
; NumSGPRsForWavesPerEU: 13
; NumVGPRsForWavesPerEU: 8
; AccumOffset: 8
; Occupancy: 8
; WaveLimiterHint : 0
; COMPUTE_PGM_RSRC2:SCRATCH_EN: 0
; COMPUTE_PGM_RSRC2:USER_SGPR: 6
; COMPUTE_PGM_RSRC2:TRAP_HANDLER: 0
; COMPUTE_PGM_RSRC2:TGID_X_EN: 1
; COMPUTE_PGM_RSRC2:TGID_Y_EN: 0
; COMPUTE_PGM_RSRC2:TGID_Z_EN: 0
; COMPUTE_PGM_RSRC2:TIDIG_COMP_CNT: 0
; COMPUTE_PGM_RSRC3_GFX90A:ACCUM_OFFSET: 1
; COMPUTE_PGM_RSRC3_GFX90A:TG_SPLIT: 0
	.section	.text._ZN2at6native29vectorized_elementwise_kernelILi8ENS0_11FillFunctorIN3c1015Float8_e5m2fnuzEEESt5arrayIPcLm1EEEEviT0_T1_,"axG",@progbits,_ZN2at6native29vectorized_elementwise_kernelILi8ENS0_11FillFunctorIN3c1015Float8_e5m2fnuzEEESt5arrayIPcLm1EEEEviT0_T1_,comdat
	.protected	_ZN2at6native29vectorized_elementwise_kernelILi8ENS0_11FillFunctorIN3c1015Float8_e5m2fnuzEEESt5arrayIPcLm1EEEEviT0_T1_ ; -- Begin function _ZN2at6native29vectorized_elementwise_kernelILi8ENS0_11FillFunctorIN3c1015Float8_e5m2fnuzEEESt5arrayIPcLm1EEEEviT0_T1_
	.globl	_ZN2at6native29vectorized_elementwise_kernelILi8ENS0_11FillFunctorIN3c1015Float8_e5m2fnuzEEESt5arrayIPcLm1EEEEviT0_T1_
	.p2align	8
	.type	_ZN2at6native29vectorized_elementwise_kernelILi8ENS0_11FillFunctorIN3c1015Float8_e5m2fnuzEEESt5arrayIPcLm1EEEEviT0_T1_,@function
_ZN2at6native29vectorized_elementwise_kernelILi8ENS0_11FillFunctorIN3c1015Float8_e5m2fnuzEEESt5arrayIPcLm1EEEEviT0_T1_: ; @_ZN2at6native29vectorized_elementwise_kernelILi8ENS0_11FillFunctorIN3c1015Float8_e5m2fnuzEEESt5arrayIPcLm1EEEEviT0_T1_
; %bb.0:
	s_load_dwordx4 s[0:3], s[4:5], 0x0
	s_lshl_b32 s6, s6, 12
	s_mov_b64 s[4:5], -1
	s_waitcnt lgkmcnt(0)
	s_sub_i32 s0, s0, s6
	s_cmpk_gt_i32 s0, 0xfff
	s_cbranch_scc0 .LBB121_2
; %bb.1:
	s_ashr_i32 s5, s6, 31
	s_add_u32 s4, s2, s6
	s_addc_u32 s5, s3, s5
	s_and_b32 s7, s1, 0xff
	s_mul_i32 s8, s7, 0x1010101
	s_mov_b32 s9, s8
	v_lshlrev_b32_e32 v1, 3, v0
	v_pk_mov_b32 v[2:3], s[8:9], s[8:9] op_sel:[0,1]
	global_store_dwordx2 v1, v[2:3], s[4:5]
	global_store_dwordx2 v1, v[2:3], s[4:5] offset:2048
	s_mov_b64 s[4:5], 0
.LBB121_2:
	s_andn2_b64 vcc, exec, s[4:5]
	s_cbranch_vccnz .LBB121_20
; %bb.3:
	v_cmp_gt_i32_e32 vcc, s0, v0
	s_and_saveexec_b64 s[4:5], vcc
	s_cbranch_execnz .LBB121_21
; %bb.4:
	s_or_b64 exec, exec, s[4:5]
	v_cmp_gt_i32_e32 vcc, s0, v0
	s_and_saveexec_b64 s[4:5], vcc
	s_cbranch_execnz .LBB121_22
.LBB121_5:
	s_or_b64 exec, exec, s[4:5]
	v_cmp_gt_i32_e32 vcc, s0, v0
	s_and_saveexec_b64 s[4:5], vcc
	s_cbranch_execnz .LBB121_23
.LBB121_6:
	s_or_b64 exec, exec, s[4:5]
	v_cmp_gt_i32_e32 vcc, s0, v0
	s_and_saveexec_b64 s[4:5], vcc
	s_cbranch_execnz .LBB121_24
.LBB121_7:
	s_or_b64 exec, exec, s[4:5]
	v_cmp_gt_i32_e32 vcc, s0, v0
	s_and_saveexec_b64 s[4:5], vcc
	s_cbranch_execnz .LBB121_25
.LBB121_8:
	s_or_b64 exec, exec, s[4:5]
	v_cmp_gt_i32_e32 vcc, s0, v0
	s_and_saveexec_b64 s[4:5], vcc
	s_cbranch_execnz .LBB121_26
.LBB121_9:
	s_or_b64 exec, exec, s[4:5]
	v_cmp_gt_i32_e32 vcc, s0, v0
	s_and_saveexec_b64 s[4:5], vcc
	s_cbranch_execnz .LBB121_27
.LBB121_10:
	s_or_b64 exec, exec, s[4:5]
	v_cmp_gt_i32_e32 vcc, s0, v0
	s_and_saveexec_b64 s[4:5], vcc
	s_cbranch_execnz .LBB121_28
.LBB121_11:
	s_or_b64 exec, exec, s[4:5]
	v_cmp_gt_i32_e32 vcc, s0, v0
	s_and_saveexec_b64 s[4:5], vcc
	s_cbranch_execnz .LBB121_29
.LBB121_12:
	s_or_b64 exec, exec, s[4:5]
	v_cmp_gt_i32_e32 vcc, s0, v0
	s_and_saveexec_b64 s[4:5], vcc
	s_cbranch_execnz .LBB121_30
.LBB121_13:
	s_or_b64 exec, exec, s[4:5]
	v_cmp_gt_i32_e32 vcc, s0, v0
	s_and_saveexec_b64 s[4:5], vcc
	s_cbranch_execnz .LBB121_31
.LBB121_14:
	s_or_b64 exec, exec, s[4:5]
	v_cmp_gt_i32_e32 vcc, s0, v0
	s_and_saveexec_b64 s[4:5], vcc
	s_cbranch_execnz .LBB121_32
.LBB121_15:
	s_or_b64 exec, exec, s[4:5]
	v_cmp_gt_i32_e32 vcc, s0, v0
	s_and_saveexec_b64 s[4:5], vcc
	s_cbranch_execnz .LBB121_33
.LBB121_16:
	s_or_b64 exec, exec, s[4:5]
	v_cmp_gt_i32_e32 vcc, s0, v0
	s_and_saveexec_b64 s[4:5], vcc
	s_cbranch_execnz .LBB121_34
.LBB121_17:
	s_or_b64 exec, exec, s[4:5]
	v_cmp_gt_i32_e32 vcc, s0, v0
	s_and_saveexec_b64 s[4:5], vcc
	s_cbranch_execnz .LBB121_35
.LBB121_18:
	s_or_b64 exec, exec, s[4:5]
	v_cmp_gt_i32_e32 vcc, s0, v0
	s_and_saveexec_b64 s[4:5], vcc
	s_cbranch_execz .LBB121_20
.LBB121_19:
	v_add_u32_e32 v0, s6, v0
	v_mov_b32_e32 v1, s1
	global_store_byte v0, v1, s[2:3]
.LBB121_20:
	s_endpgm
.LBB121_21:
	v_or_b32_e32 v1, 0x100, v0
	v_or_b32_e32 v0, s6, v0
	v_mov_b32_e32 v2, s1
	global_store_byte v0, v2, s[2:3]
	v_mov_b32_e32 v0, v1
	s_or_b64 exec, exec, s[4:5]
	v_cmp_gt_i32_e32 vcc, s0, v0
	s_and_saveexec_b64 s[4:5], vcc
	s_cbranch_execz .LBB121_5
.LBB121_22:
	v_add_u32_e32 v1, s6, v0
	v_add_u32_e32 v0, 0x100, v0
	v_mov_b32_e32 v2, s1
	global_store_byte v1, v2, s[2:3]
	s_or_b64 exec, exec, s[4:5]
	v_cmp_gt_i32_e32 vcc, s0, v0
	s_and_saveexec_b64 s[4:5], vcc
	s_cbranch_execz .LBB121_6
.LBB121_23:
	v_add_u32_e32 v1, s6, v0
	v_add_u32_e32 v0, 0x100, v0
	v_mov_b32_e32 v2, s1
	global_store_byte v1, v2, s[2:3]
	s_or_b64 exec, exec, s[4:5]
	v_cmp_gt_i32_e32 vcc, s0, v0
	s_and_saveexec_b64 s[4:5], vcc
	s_cbranch_execz .LBB121_7
.LBB121_24:
	v_add_u32_e32 v1, s6, v0
	v_add_u32_e32 v0, 0x100, v0
	v_mov_b32_e32 v2, s1
	global_store_byte v1, v2, s[2:3]
	s_or_b64 exec, exec, s[4:5]
	v_cmp_gt_i32_e32 vcc, s0, v0
	s_and_saveexec_b64 s[4:5], vcc
	s_cbranch_execz .LBB121_8
.LBB121_25:
	v_add_u32_e32 v1, s6, v0
	v_add_u32_e32 v0, 0x100, v0
	v_mov_b32_e32 v2, s1
	global_store_byte v1, v2, s[2:3]
	s_or_b64 exec, exec, s[4:5]
	v_cmp_gt_i32_e32 vcc, s0, v0
	s_and_saveexec_b64 s[4:5], vcc
	s_cbranch_execz .LBB121_9
.LBB121_26:
	v_add_u32_e32 v1, s6, v0
	v_add_u32_e32 v0, 0x100, v0
	v_mov_b32_e32 v2, s1
	global_store_byte v1, v2, s[2:3]
	s_or_b64 exec, exec, s[4:5]
	v_cmp_gt_i32_e32 vcc, s0, v0
	s_and_saveexec_b64 s[4:5], vcc
	s_cbranch_execz .LBB121_10
.LBB121_27:
	v_add_u32_e32 v1, s6, v0
	v_add_u32_e32 v0, 0x100, v0
	v_mov_b32_e32 v2, s1
	global_store_byte v1, v2, s[2:3]
	s_or_b64 exec, exec, s[4:5]
	v_cmp_gt_i32_e32 vcc, s0, v0
	s_and_saveexec_b64 s[4:5], vcc
	s_cbranch_execz .LBB121_11
.LBB121_28:
	v_add_u32_e32 v1, s6, v0
	v_add_u32_e32 v0, 0x100, v0
	v_mov_b32_e32 v2, s1
	global_store_byte v1, v2, s[2:3]
	s_or_b64 exec, exec, s[4:5]
	v_cmp_gt_i32_e32 vcc, s0, v0
	s_and_saveexec_b64 s[4:5], vcc
	s_cbranch_execz .LBB121_12
.LBB121_29:
	v_add_u32_e32 v1, s6, v0
	v_add_u32_e32 v0, 0x100, v0
	v_mov_b32_e32 v2, s1
	global_store_byte v1, v2, s[2:3]
	s_or_b64 exec, exec, s[4:5]
	v_cmp_gt_i32_e32 vcc, s0, v0
	s_and_saveexec_b64 s[4:5], vcc
	s_cbranch_execz .LBB121_13
.LBB121_30:
	v_add_u32_e32 v1, s6, v0
	v_add_u32_e32 v0, 0x100, v0
	v_mov_b32_e32 v2, s1
	global_store_byte v1, v2, s[2:3]
	s_or_b64 exec, exec, s[4:5]
	v_cmp_gt_i32_e32 vcc, s0, v0
	s_and_saveexec_b64 s[4:5], vcc
	s_cbranch_execz .LBB121_14
.LBB121_31:
	v_add_u32_e32 v1, s6, v0
	v_add_u32_e32 v0, 0x100, v0
	v_mov_b32_e32 v2, s1
	global_store_byte v1, v2, s[2:3]
	s_or_b64 exec, exec, s[4:5]
	v_cmp_gt_i32_e32 vcc, s0, v0
	s_and_saveexec_b64 s[4:5], vcc
	s_cbranch_execz .LBB121_15
.LBB121_32:
	v_add_u32_e32 v1, s6, v0
	v_add_u32_e32 v0, 0x100, v0
	v_mov_b32_e32 v2, s1
	global_store_byte v1, v2, s[2:3]
	s_or_b64 exec, exec, s[4:5]
	v_cmp_gt_i32_e32 vcc, s0, v0
	s_and_saveexec_b64 s[4:5], vcc
	s_cbranch_execz .LBB121_16
.LBB121_33:
	v_add_u32_e32 v1, s6, v0
	v_add_u32_e32 v0, 0x100, v0
	v_mov_b32_e32 v2, s1
	global_store_byte v1, v2, s[2:3]
	s_or_b64 exec, exec, s[4:5]
	v_cmp_gt_i32_e32 vcc, s0, v0
	s_and_saveexec_b64 s[4:5], vcc
	s_cbranch_execz .LBB121_17
.LBB121_34:
	v_add_u32_e32 v1, s6, v0
	v_add_u32_e32 v0, 0x100, v0
	v_mov_b32_e32 v2, s1
	global_store_byte v1, v2, s[2:3]
	s_or_b64 exec, exec, s[4:5]
	v_cmp_gt_i32_e32 vcc, s0, v0
	s_and_saveexec_b64 s[4:5], vcc
	s_cbranch_execz .LBB121_18
.LBB121_35:
	v_add_u32_e32 v1, s6, v0
	v_add_u32_e32 v0, 0x100, v0
	v_mov_b32_e32 v2, s1
	global_store_byte v1, v2, s[2:3]
	s_or_b64 exec, exec, s[4:5]
	v_cmp_gt_i32_e32 vcc, s0, v0
	s_and_saveexec_b64 s[4:5], vcc
	s_cbranch_execnz .LBB121_19
	s_branch .LBB121_20
	.section	.rodata,"a",@progbits
	.p2align	6, 0x0
	.amdhsa_kernel _ZN2at6native29vectorized_elementwise_kernelILi8ENS0_11FillFunctorIN3c1015Float8_e5m2fnuzEEESt5arrayIPcLm1EEEEviT0_T1_
		.amdhsa_group_segment_fixed_size 0
		.amdhsa_private_segment_fixed_size 0
		.amdhsa_kernarg_size 16
		.amdhsa_user_sgpr_count 6
		.amdhsa_user_sgpr_private_segment_buffer 1
		.amdhsa_user_sgpr_dispatch_ptr 0
		.amdhsa_user_sgpr_queue_ptr 0
		.amdhsa_user_sgpr_kernarg_segment_ptr 1
		.amdhsa_user_sgpr_dispatch_id 0
		.amdhsa_user_sgpr_flat_scratch_init 0
		.amdhsa_user_sgpr_kernarg_preload_length 0
		.amdhsa_user_sgpr_kernarg_preload_offset 0
		.amdhsa_user_sgpr_private_segment_size 0
		.amdhsa_uses_dynamic_stack 0
		.amdhsa_system_sgpr_private_segment_wavefront_offset 0
		.amdhsa_system_sgpr_workgroup_id_x 1
		.amdhsa_system_sgpr_workgroup_id_y 0
		.amdhsa_system_sgpr_workgroup_id_z 0
		.amdhsa_system_sgpr_workgroup_info 0
		.amdhsa_system_vgpr_workitem_id 0
		.amdhsa_next_free_vgpr 4
		.amdhsa_next_free_sgpr 10
		.amdhsa_accum_offset 4
		.amdhsa_reserve_vcc 1
		.amdhsa_reserve_flat_scratch 0
		.amdhsa_float_round_mode_32 0
		.amdhsa_float_round_mode_16_64 0
		.amdhsa_float_denorm_mode_32 3
		.amdhsa_float_denorm_mode_16_64 3
		.amdhsa_dx10_clamp 1
		.amdhsa_ieee_mode 1
		.amdhsa_fp16_overflow 0
		.amdhsa_tg_split 0
		.amdhsa_exception_fp_ieee_invalid_op 0
		.amdhsa_exception_fp_denorm_src 0
		.amdhsa_exception_fp_ieee_div_zero 0
		.amdhsa_exception_fp_ieee_overflow 0
		.amdhsa_exception_fp_ieee_underflow 0
		.amdhsa_exception_fp_ieee_inexact 0
		.amdhsa_exception_int_div_zero 0
	.end_amdhsa_kernel
	.section	.text._ZN2at6native29vectorized_elementwise_kernelILi8ENS0_11FillFunctorIN3c1015Float8_e5m2fnuzEEESt5arrayIPcLm1EEEEviT0_T1_,"axG",@progbits,_ZN2at6native29vectorized_elementwise_kernelILi8ENS0_11FillFunctorIN3c1015Float8_e5m2fnuzEEESt5arrayIPcLm1EEEEviT0_T1_,comdat
.Lfunc_end121:
	.size	_ZN2at6native29vectorized_elementwise_kernelILi8ENS0_11FillFunctorIN3c1015Float8_e5m2fnuzEEESt5arrayIPcLm1EEEEviT0_T1_, .Lfunc_end121-_ZN2at6native29vectorized_elementwise_kernelILi8ENS0_11FillFunctorIN3c1015Float8_e5m2fnuzEEESt5arrayIPcLm1EEEEviT0_T1_
                                        ; -- End function
	.section	.AMDGPU.csdata,"",@progbits
; Kernel info:
; codeLenInByte = 984
; NumSgprs: 14
; NumVgprs: 4
; NumAgprs: 0
; TotalNumVgprs: 4
; ScratchSize: 0
; MemoryBound: 0
; FloatMode: 240
; IeeeMode: 1
; LDSByteSize: 0 bytes/workgroup (compile time only)
; SGPRBlocks: 1
; VGPRBlocks: 0
; NumSGPRsForWavesPerEU: 14
; NumVGPRsForWavesPerEU: 4
; AccumOffset: 4
; Occupancy: 8
; WaveLimiterHint : 1
; COMPUTE_PGM_RSRC2:SCRATCH_EN: 0
; COMPUTE_PGM_RSRC2:USER_SGPR: 6
; COMPUTE_PGM_RSRC2:TRAP_HANDLER: 0
; COMPUTE_PGM_RSRC2:TGID_X_EN: 1
; COMPUTE_PGM_RSRC2:TGID_Y_EN: 0
; COMPUTE_PGM_RSRC2:TGID_Z_EN: 0
; COMPUTE_PGM_RSRC2:TIDIG_COMP_CNT: 0
; COMPUTE_PGM_RSRC3_GFX90A:ACCUM_OFFSET: 0
; COMPUTE_PGM_RSRC3_GFX90A:TG_SPLIT: 0
	.section	.text._ZN2at6native29vectorized_elementwise_kernelILi4ENS0_11FillFunctorIN3c1015Float8_e5m2fnuzEEESt5arrayIPcLm1EEEEviT0_T1_,"axG",@progbits,_ZN2at6native29vectorized_elementwise_kernelILi4ENS0_11FillFunctorIN3c1015Float8_e5m2fnuzEEESt5arrayIPcLm1EEEEviT0_T1_,comdat
	.protected	_ZN2at6native29vectorized_elementwise_kernelILi4ENS0_11FillFunctorIN3c1015Float8_e5m2fnuzEEESt5arrayIPcLm1EEEEviT0_T1_ ; -- Begin function _ZN2at6native29vectorized_elementwise_kernelILi4ENS0_11FillFunctorIN3c1015Float8_e5m2fnuzEEESt5arrayIPcLm1EEEEviT0_T1_
	.globl	_ZN2at6native29vectorized_elementwise_kernelILi4ENS0_11FillFunctorIN3c1015Float8_e5m2fnuzEEESt5arrayIPcLm1EEEEviT0_T1_
	.p2align	8
	.type	_ZN2at6native29vectorized_elementwise_kernelILi4ENS0_11FillFunctorIN3c1015Float8_e5m2fnuzEEESt5arrayIPcLm1EEEEviT0_T1_,@function
_ZN2at6native29vectorized_elementwise_kernelILi4ENS0_11FillFunctorIN3c1015Float8_e5m2fnuzEEESt5arrayIPcLm1EEEEviT0_T1_: ; @_ZN2at6native29vectorized_elementwise_kernelILi4ENS0_11FillFunctorIN3c1015Float8_e5m2fnuzEEESt5arrayIPcLm1EEEEviT0_T1_
; %bb.0:
	s_load_dwordx4 s[0:3], s[4:5], 0x0
	s_lshl_b32 s6, s6, 12
	s_mov_b64 s[4:5], -1
	s_waitcnt lgkmcnt(0)
	s_sub_i32 s0, s0, s6
	s_cmpk_gt_i32 s0, 0xfff
	s_cbranch_scc0 .LBB122_2
; %bb.1:
	s_ashr_i32 s5, s6, 31
	s_add_u32 s4, s2, s6
	s_addc_u32 s5, s3, s5
	s_and_b32 s7, s1, 0xff
	s_mul_i32 s7, s7, 0x1010101
	v_lshlrev_b32_e32 v1, 2, v0
	v_mov_b32_e32 v2, s7
	global_store_dword v1, v2, s[4:5]
	global_store_dword v1, v2, s[4:5] offset:1024
	global_store_dword v1, v2, s[4:5] offset:2048
	;; [unrolled: 1-line block ×3, first 2 shown]
	s_mov_b64 s[4:5], 0
.LBB122_2:
	s_andn2_b64 vcc, exec, s[4:5]
	s_cbranch_vccnz .LBB122_20
; %bb.3:
	v_cmp_gt_i32_e32 vcc, s0, v0
	s_and_saveexec_b64 s[4:5], vcc
	s_cbranch_execnz .LBB122_21
; %bb.4:
	s_or_b64 exec, exec, s[4:5]
	v_cmp_gt_i32_e32 vcc, s0, v0
	s_and_saveexec_b64 s[4:5], vcc
	s_cbranch_execnz .LBB122_22
.LBB122_5:
	s_or_b64 exec, exec, s[4:5]
	v_cmp_gt_i32_e32 vcc, s0, v0
	s_and_saveexec_b64 s[4:5], vcc
	s_cbranch_execnz .LBB122_23
.LBB122_6:
	s_or_b64 exec, exec, s[4:5]
	v_cmp_gt_i32_e32 vcc, s0, v0
	s_and_saveexec_b64 s[4:5], vcc
	s_cbranch_execnz .LBB122_24
.LBB122_7:
	s_or_b64 exec, exec, s[4:5]
	v_cmp_gt_i32_e32 vcc, s0, v0
	s_and_saveexec_b64 s[4:5], vcc
	s_cbranch_execnz .LBB122_25
.LBB122_8:
	s_or_b64 exec, exec, s[4:5]
	v_cmp_gt_i32_e32 vcc, s0, v0
	s_and_saveexec_b64 s[4:5], vcc
	s_cbranch_execnz .LBB122_26
.LBB122_9:
	s_or_b64 exec, exec, s[4:5]
	v_cmp_gt_i32_e32 vcc, s0, v0
	s_and_saveexec_b64 s[4:5], vcc
	s_cbranch_execnz .LBB122_27
.LBB122_10:
	s_or_b64 exec, exec, s[4:5]
	v_cmp_gt_i32_e32 vcc, s0, v0
	s_and_saveexec_b64 s[4:5], vcc
	s_cbranch_execnz .LBB122_28
.LBB122_11:
	s_or_b64 exec, exec, s[4:5]
	v_cmp_gt_i32_e32 vcc, s0, v0
	s_and_saveexec_b64 s[4:5], vcc
	s_cbranch_execnz .LBB122_29
.LBB122_12:
	s_or_b64 exec, exec, s[4:5]
	v_cmp_gt_i32_e32 vcc, s0, v0
	s_and_saveexec_b64 s[4:5], vcc
	s_cbranch_execnz .LBB122_30
.LBB122_13:
	s_or_b64 exec, exec, s[4:5]
	v_cmp_gt_i32_e32 vcc, s0, v0
	s_and_saveexec_b64 s[4:5], vcc
	s_cbranch_execnz .LBB122_31
.LBB122_14:
	s_or_b64 exec, exec, s[4:5]
	v_cmp_gt_i32_e32 vcc, s0, v0
	s_and_saveexec_b64 s[4:5], vcc
	s_cbranch_execnz .LBB122_32
.LBB122_15:
	s_or_b64 exec, exec, s[4:5]
	v_cmp_gt_i32_e32 vcc, s0, v0
	s_and_saveexec_b64 s[4:5], vcc
	s_cbranch_execnz .LBB122_33
.LBB122_16:
	s_or_b64 exec, exec, s[4:5]
	v_cmp_gt_i32_e32 vcc, s0, v0
	s_and_saveexec_b64 s[4:5], vcc
	s_cbranch_execnz .LBB122_34
.LBB122_17:
	s_or_b64 exec, exec, s[4:5]
	v_cmp_gt_i32_e32 vcc, s0, v0
	s_and_saveexec_b64 s[4:5], vcc
	s_cbranch_execnz .LBB122_35
.LBB122_18:
	s_or_b64 exec, exec, s[4:5]
	v_cmp_gt_i32_e32 vcc, s0, v0
	s_and_saveexec_b64 s[4:5], vcc
	s_cbranch_execz .LBB122_20
.LBB122_19:
	v_add_u32_e32 v0, s6, v0
	v_mov_b32_e32 v1, s1
	global_store_byte v0, v1, s[2:3]
.LBB122_20:
	s_endpgm
.LBB122_21:
	v_or_b32_e32 v1, 0x100, v0
	v_or_b32_e32 v0, s6, v0
	v_mov_b32_e32 v2, s1
	global_store_byte v0, v2, s[2:3]
	v_mov_b32_e32 v0, v1
	s_or_b64 exec, exec, s[4:5]
	v_cmp_gt_i32_e32 vcc, s0, v0
	s_and_saveexec_b64 s[4:5], vcc
	s_cbranch_execz .LBB122_5
.LBB122_22:
	v_add_u32_e32 v1, s6, v0
	v_add_u32_e32 v0, 0x100, v0
	v_mov_b32_e32 v2, s1
	global_store_byte v1, v2, s[2:3]
	s_or_b64 exec, exec, s[4:5]
	v_cmp_gt_i32_e32 vcc, s0, v0
	s_and_saveexec_b64 s[4:5], vcc
	s_cbranch_execz .LBB122_6
.LBB122_23:
	v_add_u32_e32 v1, s6, v0
	v_add_u32_e32 v0, 0x100, v0
	v_mov_b32_e32 v2, s1
	global_store_byte v1, v2, s[2:3]
	s_or_b64 exec, exec, s[4:5]
	v_cmp_gt_i32_e32 vcc, s0, v0
	s_and_saveexec_b64 s[4:5], vcc
	s_cbranch_execz .LBB122_7
.LBB122_24:
	v_add_u32_e32 v1, s6, v0
	v_add_u32_e32 v0, 0x100, v0
	v_mov_b32_e32 v2, s1
	global_store_byte v1, v2, s[2:3]
	s_or_b64 exec, exec, s[4:5]
	v_cmp_gt_i32_e32 vcc, s0, v0
	s_and_saveexec_b64 s[4:5], vcc
	s_cbranch_execz .LBB122_8
.LBB122_25:
	v_add_u32_e32 v1, s6, v0
	v_add_u32_e32 v0, 0x100, v0
	v_mov_b32_e32 v2, s1
	global_store_byte v1, v2, s[2:3]
	s_or_b64 exec, exec, s[4:5]
	v_cmp_gt_i32_e32 vcc, s0, v0
	s_and_saveexec_b64 s[4:5], vcc
	s_cbranch_execz .LBB122_9
.LBB122_26:
	v_add_u32_e32 v1, s6, v0
	v_add_u32_e32 v0, 0x100, v0
	v_mov_b32_e32 v2, s1
	global_store_byte v1, v2, s[2:3]
	s_or_b64 exec, exec, s[4:5]
	v_cmp_gt_i32_e32 vcc, s0, v0
	s_and_saveexec_b64 s[4:5], vcc
	s_cbranch_execz .LBB122_10
.LBB122_27:
	v_add_u32_e32 v1, s6, v0
	v_add_u32_e32 v0, 0x100, v0
	v_mov_b32_e32 v2, s1
	global_store_byte v1, v2, s[2:3]
	s_or_b64 exec, exec, s[4:5]
	v_cmp_gt_i32_e32 vcc, s0, v0
	s_and_saveexec_b64 s[4:5], vcc
	s_cbranch_execz .LBB122_11
.LBB122_28:
	v_add_u32_e32 v1, s6, v0
	v_add_u32_e32 v0, 0x100, v0
	v_mov_b32_e32 v2, s1
	global_store_byte v1, v2, s[2:3]
	s_or_b64 exec, exec, s[4:5]
	v_cmp_gt_i32_e32 vcc, s0, v0
	s_and_saveexec_b64 s[4:5], vcc
	s_cbranch_execz .LBB122_12
.LBB122_29:
	v_add_u32_e32 v1, s6, v0
	v_add_u32_e32 v0, 0x100, v0
	v_mov_b32_e32 v2, s1
	global_store_byte v1, v2, s[2:3]
	s_or_b64 exec, exec, s[4:5]
	v_cmp_gt_i32_e32 vcc, s0, v0
	s_and_saveexec_b64 s[4:5], vcc
	s_cbranch_execz .LBB122_13
.LBB122_30:
	v_add_u32_e32 v1, s6, v0
	v_add_u32_e32 v0, 0x100, v0
	v_mov_b32_e32 v2, s1
	global_store_byte v1, v2, s[2:3]
	s_or_b64 exec, exec, s[4:5]
	v_cmp_gt_i32_e32 vcc, s0, v0
	s_and_saveexec_b64 s[4:5], vcc
	s_cbranch_execz .LBB122_14
.LBB122_31:
	v_add_u32_e32 v1, s6, v0
	v_add_u32_e32 v0, 0x100, v0
	v_mov_b32_e32 v2, s1
	global_store_byte v1, v2, s[2:3]
	s_or_b64 exec, exec, s[4:5]
	v_cmp_gt_i32_e32 vcc, s0, v0
	s_and_saveexec_b64 s[4:5], vcc
	s_cbranch_execz .LBB122_15
.LBB122_32:
	v_add_u32_e32 v1, s6, v0
	v_add_u32_e32 v0, 0x100, v0
	v_mov_b32_e32 v2, s1
	global_store_byte v1, v2, s[2:3]
	s_or_b64 exec, exec, s[4:5]
	v_cmp_gt_i32_e32 vcc, s0, v0
	s_and_saveexec_b64 s[4:5], vcc
	s_cbranch_execz .LBB122_16
.LBB122_33:
	v_add_u32_e32 v1, s6, v0
	v_add_u32_e32 v0, 0x100, v0
	v_mov_b32_e32 v2, s1
	global_store_byte v1, v2, s[2:3]
	s_or_b64 exec, exec, s[4:5]
	v_cmp_gt_i32_e32 vcc, s0, v0
	s_and_saveexec_b64 s[4:5], vcc
	s_cbranch_execz .LBB122_17
.LBB122_34:
	v_add_u32_e32 v1, s6, v0
	v_add_u32_e32 v0, 0x100, v0
	v_mov_b32_e32 v2, s1
	global_store_byte v1, v2, s[2:3]
	s_or_b64 exec, exec, s[4:5]
	v_cmp_gt_i32_e32 vcc, s0, v0
	s_and_saveexec_b64 s[4:5], vcc
	s_cbranch_execz .LBB122_18
.LBB122_35:
	v_add_u32_e32 v1, s6, v0
	v_add_u32_e32 v0, 0x100, v0
	v_mov_b32_e32 v2, s1
	global_store_byte v1, v2, s[2:3]
	s_or_b64 exec, exec, s[4:5]
	v_cmp_gt_i32_e32 vcc, s0, v0
	s_and_saveexec_b64 s[4:5], vcc
	s_cbranch_execnz .LBB122_19
	s_branch .LBB122_20
	.section	.rodata,"a",@progbits
	.p2align	6, 0x0
	.amdhsa_kernel _ZN2at6native29vectorized_elementwise_kernelILi4ENS0_11FillFunctorIN3c1015Float8_e5m2fnuzEEESt5arrayIPcLm1EEEEviT0_T1_
		.amdhsa_group_segment_fixed_size 0
		.amdhsa_private_segment_fixed_size 0
		.amdhsa_kernarg_size 16
		.amdhsa_user_sgpr_count 6
		.amdhsa_user_sgpr_private_segment_buffer 1
		.amdhsa_user_sgpr_dispatch_ptr 0
		.amdhsa_user_sgpr_queue_ptr 0
		.amdhsa_user_sgpr_kernarg_segment_ptr 1
		.amdhsa_user_sgpr_dispatch_id 0
		.amdhsa_user_sgpr_flat_scratch_init 0
		.amdhsa_user_sgpr_kernarg_preload_length 0
		.amdhsa_user_sgpr_kernarg_preload_offset 0
		.amdhsa_user_sgpr_private_segment_size 0
		.amdhsa_uses_dynamic_stack 0
		.amdhsa_system_sgpr_private_segment_wavefront_offset 0
		.amdhsa_system_sgpr_workgroup_id_x 1
		.amdhsa_system_sgpr_workgroup_id_y 0
		.amdhsa_system_sgpr_workgroup_id_z 0
		.amdhsa_system_sgpr_workgroup_info 0
		.amdhsa_system_vgpr_workitem_id 0
		.amdhsa_next_free_vgpr 3
		.amdhsa_next_free_sgpr 8
		.amdhsa_accum_offset 4
		.amdhsa_reserve_vcc 1
		.amdhsa_reserve_flat_scratch 0
		.amdhsa_float_round_mode_32 0
		.amdhsa_float_round_mode_16_64 0
		.amdhsa_float_denorm_mode_32 3
		.amdhsa_float_denorm_mode_16_64 3
		.amdhsa_dx10_clamp 1
		.amdhsa_ieee_mode 1
		.amdhsa_fp16_overflow 0
		.amdhsa_tg_split 0
		.amdhsa_exception_fp_ieee_invalid_op 0
		.amdhsa_exception_fp_denorm_src 0
		.amdhsa_exception_fp_ieee_div_zero 0
		.amdhsa_exception_fp_ieee_overflow 0
		.amdhsa_exception_fp_ieee_underflow 0
		.amdhsa_exception_fp_ieee_inexact 0
		.amdhsa_exception_int_div_zero 0
	.end_amdhsa_kernel
	.section	.text._ZN2at6native29vectorized_elementwise_kernelILi4ENS0_11FillFunctorIN3c1015Float8_e5m2fnuzEEESt5arrayIPcLm1EEEEviT0_T1_,"axG",@progbits,_ZN2at6native29vectorized_elementwise_kernelILi4ENS0_11FillFunctorIN3c1015Float8_e5m2fnuzEEESt5arrayIPcLm1EEEEviT0_T1_,comdat
.Lfunc_end122:
	.size	_ZN2at6native29vectorized_elementwise_kernelILi4ENS0_11FillFunctorIN3c1015Float8_e5m2fnuzEEESt5arrayIPcLm1EEEEviT0_T1_, .Lfunc_end122-_ZN2at6native29vectorized_elementwise_kernelILi4ENS0_11FillFunctorIN3c1015Float8_e5m2fnuzEEESt5arrayIPcLm1EEEEviT0_T1_
                                        ; -- End function
	.section	.AMDGPU.csdata,"",@progbits
; Kernel info:
; codeLenInByte = 992
; NumSgprs: 12
; NumVgprs: 3
; NumAgprs: 0
; TotalNumVgprs: 3
; ScratchSize: 0
; MemoryBound: 0
; FloatMode: 240
; IeeeMode: 1
; LDSByteSize: 0 bytes/workgroup (compile time only)
; SGPRBlocks: 1
; VGPRBlocks: 0
; NumSGPRsForWavesPerEU: 12
; NumVGPRsForWavesPerEU: 3
; AccumOffset: 4
; Occupancy: 8
; WaveLimiterHint : 1
; COMPUTE_PGM_RSRC2:SCRATCH_EN: 0
; COMPUTE_PGM_RSRC2:USER_SGPR: 6
; COMPUTE_PGM_RSRC2:TRAP_HANDLER: 0
; COMPUTE_PGM_RSRC2:TGID_X_EN: 1
; COMPUTE_PGM_RSRC2:TGID_Y_EN: 0
; COMPUTE_PGM_RSRC2:TGID_Z_EN: 0
; COMPUTE_PGM_RSRC2:TIDIG_COMP_CNT: 0
; COMPUTE_PGM_RSRC3_GFX90A:ACCUM_OFFSET: 0
; COMPUTE_PGM_RSRC3_GFX90A:TG_SPLIT: 0
	.section	.text._ZN2at6native29vectorized_elementwise_kernelILi2ENS0_11FillFunctorIN3c1015Float8_e5m2fnuzEEESt5arrayIPcLm1EEEEviT0_T1_,"axG",@progbits,_ZN2at6native29vectorized_elementwise_kernelILi2ENS0_11FillFunctorIN3c1015Float8_e5m2fnuzEEESt5arrayIPcLm1EEEEviT0_T1_,comdat
	.protected	_ZN2at6native29vectorized_elementwise_kernelILi2ENS0_11FillFunctorIN3c1015Float8_e5m2fnuzEEESt5arrayIPcLm1EEEEviT0_T1_ ; -- Begin function _ZN2at6native29vectorized_elementwise_kernelILi2ENS0_11FillFunctorIN3c1015Float8_e5m2fnuzEEESt5arrayIPcLm1EEEEviT0_T1_
	.globl	_ZN2at6native29vectorized_elementwise_kernelILi2ENS0_11FillFunctorIN3c1015Float8_e5m2fnuzEEESt5arrayIPcLm1EEEEviT0_T1_
	.p2align	8
	.type	_ZN2at6native29vectorized_elementwise_kernelILi2ENS0_11FillFunctorIN3c1015Float8_e5m2fnuzEEESt5arrayIPcLm1EEEEviT0_T1_,@function
_ZN2at6native29vectorized_elementwise_kernelILi2ENS0_11FillFunctorIN3c1015Float8_e5m2fnuzEEESt5arrayIPcLm1EEEEviT0_T1_: ; @_ZN2at6native29vectorized_elementwise_kernelILi2ENS0_11FillFunctorIN3c1015Float8_e5m2fnuzEEESt5arrayIPcLm1EEEEviT0_T1_
; %bb.0:
	s_load_dwordx4 s[0:3], s[4:5], 0x0
	s_lshl_b32 s6, s6, 12
	s_mov_b64 s[4:5], -1
	s_waitcnt lgkmcnt(0)
	s_sub_i32 s0, s0, s6
	s_cmpk_gt_i32 s0, 0xfff
	s_cbranch_scc0 .LBB123_2
; %bb.1:
	s_ashr_i32 s5, s6, 31
	s_add_u32 s4, s2, s6
	v_mov_b32_e32 v2, 0x101
	s_addc_u32 s5, s3, s5
	v_lshlrev_b32_e32 v1, 1, v0
	v_mul_lo_u16_sdwa v2, s1, v2 dst_sel:DWORD dst_unused:UNUSED_PAD src0_sel:BYTE_0 src1_sel:DWORD
	global_store_short v1, v2, s[4:5]
	global_store_short v1, v2, s[4:5] offset:512
	global_store_short v1, v2, s[4:5] offset:1024
	;; [unrolled: 1-line block ×7, first 2 shown]
	s_mov_b64 s[4:5], 0
.LBB123_2:
	s_andn2_b64 vcc, exec, s[4:5]
	s_cbranch_vccnz .LBB123_20
; %bb.3:
	v_cmp_gt_i32_e32 vcc, s0, v0
	s_and_saveexec_b64 s[4:5], vcc
	s_cbranch_execnz .LBB123_21
; %bb.4:
	s_or_b64 exec, exec, s[4:5]
	v_cmp_gt_i32_e32 vcc, s0, v0
	s_and_saveexec_b64 s[4:5], vcc
	s_cbranch_execnz .LBB123_22
.LBB123_5:
	s_or_b64 exec, exec, s[4:5]
	v_cmp_gt_i32_e32 vcc, s0, v0
	s_and_saveexec_b64 s[4:5], vcc
	s_cbranch_execnz .LBB123_23
.LBB123_6:
	s_or_b64 exec, exec, s[4:5]
	v_cmp_gt_i32_e32 vcc, s0, v0
	s_and_saveexec_b64 s[4:5], vcc
	s_cbranch_execnz .LBB123_24
.LBB123_7:
	s_or_b64 exec, exec, s[4:5]
	v_cmp_gt_i32_e32 vcc, s0, v0
	s_and_saveexec_b64 s[4:5], vcc
	s_cbranch_execnz .LBB123_25
.LBB123_8:
	s_or_b64 exec, exec, s[4:5]
	v_cmp_gt_i32_e32 vcc, s0, v0
	s_and_saveexec_b64 s[4:5], vcc
	s_cbranch_execnz .LBB123_26
.LBB123_9:
	s_or_b64 exec, exec, s[4:5]
	v_cmp_gt_i32_e32 vcc, s0, v0
	s_and_saveexec_b64 s[4:5], vcc
	s_cbranch_execnz .LBB123_27
.LBB123_10:
	s_or_b64 exec, exec, s[4:5]
	v_cmp_gt_i32_e32 vcc, s0, v0
	s_and_saveexec_b64 s[4:5], vcc
	s_cbranch_execnz .LBB123_28
.LBB123_11:
	s_or_b64 exec, exec, s[4:5]
	v_cmp_gt_i32_e32 vcc, s0, v0
	s_and_saveexec_b64 s[4:5], vcc
	s_cbranch_execnz .LBB123_29
.LBB123_12:
	s_or_b64 exec, exec, s[4:5]
	v_cmp_gt_i32_e32 vcc, s0, v0
	s_and_saveexec_b64 s[4:5], vcc
	s_cbranch_execnz .LBB123_30
.LBB123_13:
	s_or_b64 exec, exec, s[4:5]
	v_cmp_gt_i32_e32 vcc, s0, v0
	s_and_saveexec_b64 s[4:5], vcc
	s_cbranch_execnz .LBB123_31
.LBB123_14:
	s_or_b64 exec, exec, s[4:5]
	v_cmp_gt_i32_e32 vcc, s0, v0
	s_and_saveexec_b64 s[4:5], vcc
	s_cbranch_execnz .LBB123_32
.LBB123_15:
	s_or_b64 exec, exec, s[4:5]
	v_cmp_gt_i32_e32 vcc, s0, v0
	s_and_saveexec_b64 s[4:5], vcc
	s_cbranch_execnz .LBB123_33
.LBB123_16:
	s_or_b64 exec, exec, s[4:5]
	v_cmp_gt_i32_e32 vcc, s0, v0
	s_and_saveexec_b64 s[4:5], vcc
	s_cbranch_execnz .LBB123_34
.LBB123_17:
	s_or_b64 exec, exec, s[4:5]
	v_cmp_gt_i32_e32 vcc, s0, v0
	s_and_saveexec_b64 s[4:5], vcc
	s_cbranch_execnz .LBB123_35
.LBB123_18:
	s_or_b64 exec, exec, s[4:5]
	v_cmp_gt_i32_e32 vcc, s0, v0
	s_and_saveexec_b64 s[4:5], vcc
	s_cbranch_execz .LBB123_20
.LBB123_19:
	v_add_u32_e32 v0, s6, v0
	v_mov_b32_e32 v1, s1
	global_store_byte v0, v1, s[2:3]
.LBB123_20:
	s_endpgm
.LBB123_21:
	v_or_b32_e32 v1, 0x100, v0
	v_or_b32_e32 v0, s6, v0
	v_mov_b32_e32 v2, s1
	global_store_byte v0, v2, s[2:3]
	v_mov_b32_e32 v0, v1
	s_or_b64 exec, exec, s[4:5]
	v_cmp_gt_i32_e32 vcc, s0, v0
	s_and_saveexec_b64 s[4:5], vcc
	s_cbranch_execz .LBB123_5
.LBB123_22:
	v_add_u32_e32 v1, s6, v0
	v_add_u32_e32 v0, 0x100, v0
	v_mov_b32_e32 v2, s1
	global_store_byte v1, v2, s[2:3]
	s_or_b64 exec, exec, s[4:5]
	v_cmp_gt_i32_e32 vcc, s0, v0
	s_and_saveexec_b64 s[4:5], vcc
	s_cbranch_execz .LBB123_6
.LBB123_23:
	v_add_u32_e32 v1, s6, v0
	v_add_u32_e32 v0, 0x100, v0
	v_mov_b32_e32 v2, s1
	global_store_byte v1, v2, s[2:3]
	s_or_b64 exec, exec, s[4:5]
	v_cmp_gt_i32_e32 vcc, s0, v0
	s_and_saveexec_b64 s[4:5], vcc
	s_cbranch_execz .LBB123_7
.LBB123_24:
	v_add_u32_e32 v1, s6, v0
	v_add_u32_e32 v0, 0x100, v0
	v_mov_b32_e32 v2, s1
	global_store_byte v1, v2, s[2:3]
	s_or_b64 exec, exec, s[4:5]
	v_cmp_gt_i32_e32 vcc, s0, v0
	s_and_saveexec_b64 s[4:5], vcc
	s_cbranch_execz .LBB123_8
.LBB123_25:
	v_add_u32_e32 v1, s6, v0
	v_add_u32_e32 v0, 0x100, v0
	v_mov_b32_e32 v2, s1
	global_store_byte v1, v2, s[2:3]
	s_or_b64 exec, exec, s[4:5]
	v_cmp_gt_i32_e32 vcc, s0, v0
	s_and_saveexec_b64 s[4:5], vcc
	s_cbranch_execz .LBB123_9
.LBB123_26:
	v_add_u32_e32 v1, s6, v0
	v_add_u32_e32 v0, 0x100, v0
	v_mov_b32_e32 v2, s1
	global_store_byte v1, v2, s[2:3]
	s_or_b64 exec, exec, s[4:5]
	v_cmp_gt_i32_e32 vcc, s0, v0
	s_and_saveexec_b64 s[4:5], vcc
	s_cbranch_execz .LBB123_10
.LBB123_27:
	v_add_u32_e32 v1, s6, v0
	v_add_u32_e32 v0, 0x100, v0
	v_mov_b32_e32 v2, s1
	global_store_byte v1, v2, s[2:3]
	s_or_b64 exec, exec, s[4:5]
	v_cmp_gt_i32_e32 vcc, s0, v0
	s_and_saveexec_b64 s[4:5], vcc
	s_cbranch_execz .LBB123_11
.LBB123_28:
	v_add_u32_e32 v1, s6, v0
	v_add_u32_e32 v0, 0x100, v0
	v_mov_b32_e32 v2, s1
	global_store_byte v1, v2, s[2:3]
	s_or_b64 exec, exec, s[4:5]
	v_cmp_gt_i32_e32 vcc, s0, v0
	s_and_saveexec_b64 s[4:5], vcc
	s_cbranch_execz .LBB123_12
.LBB123_29:
	v_add_u32_e32 v1, s6, v0
	v_add_u32_e32 v0, 0x100, v0
	v_mov_b32_e32 v2, s1
	global_store_byte v1, v2, s[2:3]
	s_or_b64 exec, exec, s[4:5]
	v_cmp_gt_i32_e32 vcc, s0, v0
	s_and_saveexec_b64 s[4:5], vcc
	s_cbranch_execz .LBB123_13
.LBB123_30:
	v_add_u32_e32 v1, s6, v0
	v_add_u32_e32 v0, 0x100, v0
	v_mov_b32_e32 v2, s1
	global_store_byte v1, v2, s[2:3]
	s_or_b64 exec, exec, s[4:5]
	v_cmp_gt_i32_e32 vcc, s0, v0
	s_and_saveexec_b64 s[4:5], vcc
	s_cbranch_execz .LBB123_14
.LBB123_31:
	v_add_u32_e32 v1, s6, v0
	v_add_u32_e32 v0, 0x100, v0
	v_mov_b32_e32 v2, s1
	global_store_byte v1, v2, s[2:3]
	s_or_b64 exec, exec, s[4:5]
	v_cmp_gt_i32_e32 vcc, s0, v0
	s_and_saveexec_b64 s[4:5], vcc
	s_cbranch_execz .LBB123_15
.LBB123_32:
	v_add_u32_e32 v1, s6, v0
	v_add_u32_e32 v0, 0x100, v0
	v_mov_b32_e32 v2, s1
	global_store_byte v1, v2, s[2:3]
	s_or_b64 exec, exec, s[4:5]
	v_cmp_gt_i32_e32 vcc, s0, v0
	s_and_saveexec_b64 s[4:5], vcc
	s_cbranch_execz .LBB123_16
.LBB123_33:
	v_add_u32_e32 v1, s6, v0
	v_add_u32_e32 v0, 0x100, v0
	v_mov_b32_e32 v2, s1
	global_store_byte v1, v2, s[2:3]
	s_or_b64 exec, exec, s[4:5]
	v_cmp_gt_i32_e32 vcc, s0, v0
	s_and_saveexec_b64 s[4:5], vcc
	s_cbranch_execz .LBB123_17
.LBB123_34:
	v_add_u32_e32 v1, s6, v0
	v_add_u32_e32 v0, 0x100, v0
	v_mov_b32_e32 v2, s1
	global_store_byte v1, v2, s[2:3]
	s_or_b64 exec, exec, s[4:5]
	v_cmp_gt_i32_e32 vcc, s0, v0
	s_and_saveexec_b64 s[4:5], vcc
	s_cbranch_execz .LBB123_18
.LBB123_35:
	v_add_u32_e32 v1, s6, v0
	v_add_u32_e32 v0, 0x100, v0
	v_mov_b32_e32 v2, s1
	global_store_byte v1, v2, s[2:3]
	s_or_b64 exec, exec, s[4:5]
	v_cmp_gt_i32_e32 vcc, s0, v0
	s_and_saveexec_b64 s[4:5], vcc
	s_cbranch_execnz .LBB123_19
	s_branch .LBB123_20
	.section	.rodata,"a",@progbits
	.p2align	6, 0x0
	.amdhsa_kernel _ZN2at6native29vectorized_elementwise_kernelILi2ENS0_11FillFunctorIN3c1015Float8_e5m2fnuzEEESt5arrayIPcLm1EEEEviT0_T1_
		.amdhsa_group_segment_fixed_size 0
		.amdhsa_private_segment_fixed_size 0
		.amdhsa_kernarg_size 16
		.amdhsa_user_sgpr_count 6
		.amdhsa_user_sgpr_private_segment_buffer 1
		.amdhsa_user_sgpr_dispatch_ptr 0
		.amdhsa_user_sgpr_queue_ptr 0
		.amdhsa_user_sgpr_kernarg_segment_ptr 1
		.amdhsa_user_sgpr_dispatch_id 0
		.amdhsa_user_sgpr_flat_scratch_init 0
		.amdhsa_user_sgpr_kernarg_preload_length 0
		.amdhsa_user_sgpr_kernarg_preload_offset 0
		.amdhsa_user_sgpr_private_segment_size 0
		.amdhsa_uses_dynamic_stack 0
		.amdhsa_system_sgpr_private_segment_wavefront_offset 0
		.amdhsa_system_sgpr_workgroup_id_x 1
		.amdhsa_system_sgpr_workgroup_id_y 0
		.amdhsa_system_sgpr_workgroup_id_z 0
		.amdhsa_system_sgpr_workgroup_info 0
		.amdhsa_system_vgpr_workitem_id 0
		.amdhsa_next_free_vgpr 3
		.amdhsa_next_free_sgpr 7
		.amdhsa_accum_offset 4
		.amdhsa_reserve_vcc 1
		.amdhsa_reserve_flat_scratch 0
		.amdhsa_float_round_mode_32 0
		.amdhsa_float_round_mode_16_64 0
		.amdhsa_float_denorm_mode_32 3
		.amdhsa_float_denorm_mode_16_64 3
		.amdhsa_dx10_clamp 1
		.amdhsa_ieee_mode 1
		.amdhsa_fp16_overflow 0
		.amdhsa_tg_split 0
		.amdhsa_exception_fp_ieee_invalid_op 0
		.amdhsa_exception_fp_denorm_src 0
		.amdhsa_exception_fp_ieee_div_zero 0
		.amdhsa_exception_fp_ieee_overflow 0
		.amdhsa_exception_fp_ieee_underflow 0
		.amdhsa_exception_fp_ieee_inexact 0
		.amdhsa_exception_int_div_zero 0
	.end_amdhsa_kernel
	.section	.text._ZN2at6native29vectorized_elementwise_kernelILi2ENS0_11FillFunctorIN3c1015Float8_e5m2fnuzEEESt5arrayIPcLm1EEEEviT0_T1_,"axG",@progbits,_ZN2at6native29vectorized_elementwise_kernelILi2ENS0_11FillFunctorIN3c1015Float8_e5m2fnuzEEESt5arrayIPcLm1EEEEviT0_T1_,comdat
.Lfunc_end123:
	.size	_ZN2at6native29vectorized_elementwise_kernelILi2ENS0_11FillFunctorIN3c1015Float8_e5m2fnuzEEESt5arrayIPcLm1EEEEviT0_T1_, .Lfunc_end123-_ZN2at6native29vectorized_elementwise_kernelILi2ENS0_11FillFunctorIN3c1015Float8_e5m2fnuzEEESt5arrayIPcLm1EEEEviT0_T1_
                                        ; -- End function
	.section	.AMDGPU.csdata,"",@progbits
; Kernel info:
; codeLenInByte = 1020
; NumSgprs: 11
; NumVgprs: 3
; NumAgprs: 0
; TotalNumVgprs: 3
; ScratchSize: 0
; MemoryBound: 0
; FloatMode: 240
; IeeeMode: 1
; LDSByteSize: 0 bytes/workgroup (compile time only)
; SGPRBlocks: 1
; VGPRBlocks: 0
; NumSGPRsForWavesPerEU: 11
; NumVGPRsForWavesPerEU: 3
; AccumOffset: 4
; Occupancy: 8
; WaveLimiterHint : 1
; COMPUTE_PGM_RSRC2:SCRATCH_EN: 0
; COMPUTE_PGM_RSRC2:USER_SGPR: 6
; COMPUTE_PGM_RSRC2:TRAP_HANDLER: 0
; COMPUTE_PGM_RSRC2:TGID_X_EN: 1
; COMPUTE_PGM_RSRC2:TGID_Y_EN: 0
; COMPUTE_PGM_RSRC2:TGID_Z_EN: 0
; COMPUTE_PGM_RSRC2:TIDIG_COMP_CNT: 0
; COMPUTE_PGM_RSRC3_GFX90A:ACCUM_OFFSET: 0
; COMPUTE_PGM_RSRC3_GFX90A:TG_SPLIT: 0
	.section	.text._ZN2at6native27unrolled_elementwise_kernelINS0_11FillFunctorIN3c1015Float8_e5m2fnuzEEESt5arrayIPcLm1EELi4E23TrivialOffsetCalculatorILi0EjES9_ILi1EjENS0_6memory15LoadWithoutCastENSC_16StoreWithoutCastEEEviT_T0_T2_T3_T4_T5_,"axG",@progbits,_ZN2at6native27unrolled_elementwise_kernelINS0_11FillFunctorIN3c1015Float8_e5m2fnuzEEESt5arrayIPcLm1EELi4E23TrivialOffsetCalculatorILi0EjES9_ILi1EjENS0_6memory15LoadWithoutCastENSC_16StoreWithoutCastEEEviT_T0_T2_T3_T4_T5_,comdat
	.protected	_ZN2at6native27unrolled_elementwise_kernelINS0_11FillFunctorIN3c1015Float8_e5m2fnuzEEESt5arrayIPcLm1EELi4E23TrivialOffsetCalculatorILi0EjES9_ILi1EjENS0_6memory15LoadWithoutCastENSC_16StoreWithoutCastEEEviT_T0_T2_T3_T4_T5_ ; -- Begin function _ZN2at6native27unrolled_elementwise_kernelINS0_11FillFunctorIN3c1015Float8_e5m2fnuzEEESt5arrayIPcLm1EELi4E23TrivialOffsetCalculatorILi0EjES9_ILi1EjENS0_6memory15LoadWithoutCastENSC_16StoreWithoutCastEEEviT_T0_T2_T3_T4_T5_
	.globl	_ZN2at6native27unrolled_elementwise_kernelINS0_11FillFunctorIN3c1015Float8_e5m2fnuzEEESt5arrayIPcLm1EELi4E23TrivialOffsetCalculatorILi0EjES9_ILi1EjENS0_6memory15LoadWithoutCastENSC_16StoreWithoutCastEEEviT_T0_T2_T3_T4_T5_
	.p2align	8
	.type	_ZN2at6native27unrolled_elementwise_kernelINS0_11FillFunctorIN3c1015Float8_e5m2fnuzEEESt5arrayIPcLm1EELi4E23TrivialOffsetCalculatorILi0EjES9_ILi1EjENS0_6memory15LoadWithoutCastENSC_16StoreWithoutCastEEEviT_T0_T2_T3_T4_T5_,@function
_ZN2at6native27unrolled_elementwise_kernelINS0_11FillFunctorIN3c1015Float8_e5m2fnuzEEESt5arrayIPcLm1EELi4E23TrivialOffsetCalculatorILi0EjES9_ILi1EjENS0_6memory15LoadWithoutCastENSC_16StoreWithoutCastEEEviT_T0_T2_T3_T4_T5_: ; @_ZN2at6native27unrolled_elementwise_kernelINS0_11FillFunctorIN3c1015Float8_e5m2fnuzEEESt5arrayIPcLm1EELi4E23TrivialOffsetCalculatorILi0EjES9_ILi1EjENS0_6memory15LoadWithoutCastENSC_16StoreWithoutCastEEEviT_T0_T2_T3_T4_T5_
; %bb.0:
	s_load_dwordx4 s[0:3], s[4:5], 0x0
	s_lshl_b32 s6, s6, 10
	s_waitcnt lgkmcnt(0)
	s_sub_i32 s0, s0, s6
	v_cmp_gt_i32_e32 vcc, s0, v0
	s_and_saveexec_b64 s[4:5], vcc
	s_cbranch_execnz .LBB124_5
; %bb.1:
	s_or_b64 exec, exec, s[4:5]
	v_cmp_gt_i32_e32 vcc, s0, v0
	s_and_saveexec_b64 s[4:5], vcc
	s_cbranch_execnz .LBB124_6
.LBB124_2:
	s_or_b64 exec, exec, s[4:5]
	v_cmp_gt_i32_e32 vcc, s0, v0
	s_and_saveexec_b64 s[4:5], vcc
	s_cbranch_execnz .LBB124_7
.LBB124_3:
	s_or_b64 exec, exec, s[4:5]
	v_cmp_gt_i32_e32 vcc, s0, v0
	s_and_saveexec_b64 s[4:5], vcc
	s_cbranch_execnz .LBB124_8
.LBB124_4:
	s_endpgm
.LBB124_5:
	v_or_b32_e32 v1, s6, v0
	v_or_b32_e32 v0, 0x100, v0
	v_mov_b32_e32 v2, s1
	global_store_byte v1, v2, s[2:3]
	s_or_b64 exec, exec, s[4:5]
	v_cmp_gt_i32_e32 vcc, s0, v0
	s_and_saveexec_b64 s[4:5], vcc
	s_cbranch_execz .LBB124_2
.LBB124_6:
	v_add_u32_e32 v1, 0x100, v0
	v_add_u32_e32 v0, s6, v0
	v_mov_b32_e32 v2, s1
	global_store_byte v0, v2, s[2:3]
	v_mov_b32_e32 v0, v1
	s_or_b64 exec, exec, s[4:5]
	v_cmp_gt_i32_e32 vcc, s0, v0
	s_and_saveexec_b64 s[4:5], vcc
	s_cbranch_execz .LBB124_3
.LBB124_7:
	v_add_u32_e32 v1, 0x100, v0
	v_add_u32_e32 v0, s6, v0
	v_mov_b32_e32 v2, s1
	global_store_byte v0, v2, s[2:3]
	v_mov_b32_e32 v0, v1
	s_or_b64 exec, exec, s[4:5]
	v_cmp_gt_i32_e32 vcc, s0, v0
	s_and_saveexec_b64 s[4:5], vcc
	s_cbranch_execz .LBB124_4
.LBB124_8:
	v_add_u32_e32 v0, s6, v0
	v_mov_b32_e32 v1, s1
	global_store_byte v0, v1, s[2:3]
	s_endpgm
	.section	.rodata,"a",@progbits
	.p2align	6, 0x0
	.amdhsa_kernel _ZN2at6native27unrolled_elementwise_kernelINS0_11FillFunctorIN3c1015Float8_e5m2fnuzEEESt5arrayIPcLm1EELi4E23TrivialOffsetCalculatorILi0EjES9_ILi1EjENS0_6memory15LoadWithoutCastENSC_16StoreWithoutCastEEEviT_T0_T2_T3_T4_T5_
		.amdhsa_group_segment_fixed_size 0
		.amdhsa_private_segment_fixed_size 0
		.amdhsa_kernarg_size 20
		.amdhsa_user_sgpr_count 6
		.amdhsa_user_sgpr_private_segment_buffer 1
		.amdhsa_user_sgpr_dispatch_ptr 0
		.amdhsa_user_sgpr_queue_ptr 0
		.amdhsa_user_sgpr_kernarg_segment_ptr 1
		.amdhsa_user_sgpr_dispatch_id 0
		.amdhsa_user_sgpr_flat_scratch_init 0
		.amdhsa_user_sgpr_kernarg_preload_length 0
		.amdhsa_user_sgpr_kernarg_preload_offset 0
		.amdhsa_user_sgpr_private_segment_size 0
		.amdhsa_uses_dynamic_stack 0
		.amdhsa_system_sgpr_private_segment_wavefront_offset 0
		.amdhsa_system_sgpr_workgroup_id_x 1
		.amdhsa_system_sgpr_workgroup_id_y 0
		.amdhsa_system_sgpr_workgroup_id_z 0
		.amdhsa_system_sgpr_workgroup_info 0
		.amdhsa_system_vgpr_workitem_id 0
		.amdhsa_next_free_vgpr 3
		.amdhsa_next_free_sgpr 7
		.amdhsa_accum_offset 4
		.amdhsa_reserve_vcc 1
		.amdhsa_reserve_flat_scratch 0
		.amdhsa_float_round_mode_32 0
		.amdhsa_float_round_mode_16_64 0
		.amdhsa_float_denorm_mode_32 3
		.amdhsa_float_denorm_mode_16_64 3
		.amdhsa_dx10_clamp 1
		.amdhsa_ieee_mode 1
		.amdhsa_fp16_overflow 0
		.amdhsa_tg_split 0
		.amdhsa_exception_fp_ieee_invalid_op 0
		.amdhsa_exception_fp_denorm_src 0
		.amdhsa_exception_fp_ieee_div_zero 0
		.amdhsa_exception_fp_ieee_overflow 0
		.amdhsa_exception_fp_ieee_underflow 0
		.amdhsa_exception_fp_ieee_inexact 0
		.amdhsa_exception_int_div_zero 0
	.end_amdhsa_kernel
	.section	.text._ZN2at6native27unrolled_elementwise_kernelINS0_11FillFunctorIN3c1015Float8_e5m2fnuzEEESt5arrayIPcLm1EELi4E23TrivialOffsetCalculatorILi0EjES9_ILi1EjENS0_6memory15LoadWithoutCastENSC_16StoreWithoutCastEEEviT_T0_T2_T3_T4_T5_,"axG",@progbits,_ZN2at6native27unrolled_elementwise_kernelINS0_11FillFunctorIN3c1015Float8_e5m2fnuzEEESt5arrayIPcLm1EELi4E23TrivialOffsetCalculatorILi0EjES9_ILi1EjENS0_6memory15LoadWithoutCastENSC_16StoreWithoutCastEEEviT_T0_T2_T3_T4_T5_,comdat
.Lfunc_end124:
	.size	_ZN2at6native27unrolled_elementwise_kernelINS0_11FillFunctorIN3c1015Float8_e5m2fnuzEEESt5arrayIPcLm1EELi4E23TrivialOffsetCalculatorILi0EjES9_ILi1EjENS0_6memory15LoadWithoutCastENSC_16StoreWithoutCastEEEviT_T0_T2_T3_T4_T5_, .Lfunc_end124-_ZN2at6native27unrolled_elementwise_kernelINS0_11FillFunctorIN3c1015Float8_e5m2fnuzEEESt5arrayIPcLm1EELi4E23TrivialOffsetCalculatorILi0EjES9_ILi1EjENS0_6memory15LoadWithoutCastENSC_16StoreWithoutCastEEEviT_T0_T2_T3_T4_T5_
                                        ; -- End function
	.section	.AMDGPU.csdata,"",@progbits
; Kernel info:
; codeLenInByte = 232
; NumSgprs: 11
; NumVgprs: 3
; NumAgprs: 0
; TotalNumVgprs: 3
; ScratchSize: 0
; MemoryBound: 0
; FloatMode: 240
; IeeeMode: 1
; LDSByteSize: 0 bytes/workgroup (compile time only)
; SGPRBlocks: 1
; VGPRBlocks: 0
; NumSGPRsForWavesPerEU: 11
; NumVGPRsForWavesPerEU: 3
; AccumOffset: 4
; Occupancy: 8
; WaveLimiterHint : 0
; COMPUTE_PGM_RSRC2:SCRATCH_EN: 0
; COMPUTE_PGM_RSRC2:USER_SGPR: 6
; COMPUTE_PGM_RSRC2:TRAP_HANDLER: 0
; COMPUTE_PGM_RSRC2:TGID_X_EN: 1
; COMPUTE_PGM_RSRC2:TGID_Y_EN: 0
; COMPUTE_PGM_RSRC2:TGID_Z_EN: 0
; COMPUTE_PGM_RSRC2:TIDIG_COMP_CNT: 0
; COMPUTE_PGM_RSRC3_GFX90A:ACCUM_OFFSET: 0
; COMPUTE_PGM_RSRC3_GFX90A:TG_SPLIT: 0
	.section	.text._ZN2at6native32elementwise_kernel_manual_unrollILi128ELi8EZNS0_22gpu_kernel_impl_nocastINS0_11FillFunctorIN3c1015Float8_e5m2fnuzEEEEEvRNS_18TensorIteratorBaseERKT_EUlibE_EEviT1_,"axG",@progbits,_ZN2at6native32elementwise_kernel_manual_unrollILi128ELi8EZNS0_22gpu_kernel_impl_nocastINS0_11FillFunctorIN3c1015Float8_e5m2fnuzEEEEEvRNS_18TensorIteratorBaseERKT_EUlibE_EEviT1_,comdat
	.protected	_ZN2at6native32elementwise_kernel_manual_unrollILi128ELi8EZNS0_22gpu_kernel_impl_nocastINS0_11FillFunctorIN3c1015Float8_e5m2fnuzEEEEEvRNS_18TensorIteratorBaseERKT_EUlibE_EEviT1_ ; -- Begin function _ZN2at6native32elementwise_kernel_manual_unrollILi128ELi8EZNS0_22gpu_kernel_impl_nocastINS0_11FillFunctorIN3c1015Float8_e5m2fnuzEEEEEvRNS_18TensorIteratorBaseERKT_EUlibE_EEviT1_
	.globl	_ZN2at6native32elementwise_kernel_manual_unrollILi128ELi8EZNS0_22gpu_kernel_impl_nocastINS0_11FillFunctorIN3c1015Float8_e5m2fnuzEEEEEvRNS_18TensorIteratorBaseERKT_EUlibE_EEviT1_
	.p2align	8
	.type	_ZN2at6native32elementwise_kernel_manual_unrollILi128ELi8EZNS0_22gpu_kernel_impl_nocastINS0_11FillFunctorIN3c1015Float8_e5m2fnuzEEEEEvRNS_18TensorIteratorBaseERKT_EUlibE_EEviT1_,@function
_ZN2at6native32elementwise_kernel_manual_unrollILi128ELi8EZNS0_22gpu_kernel_impl_nocastINS0_11FillFunctorIN3c1015Float8_e5m2fnuzEEEEEvRNS_18TensorIteratorBaseERKT_EUlibE_EEviT1_: ; @_ZN2at6native32elementwise_kernel_manual_unrollILi128ELi8EZNS0_22gpu_kernel_impl_nocastINS0_11FillFunctorIN3c1015Float8_e5m2fnuzEEEEEvRNS_18TensorIteratorBaseERKT_EUlibE_EEviT1_
; %bb.0:
	s_load_dword s48, s[4:5], 0x0
	s_load_dword s33, s[4:5], 0x8
	s_or_b32 s4, s4, 8
	v_lshl_or_b32 v12, s6, 10, v0
	v_or_b32_e32 v16, 0x380, v12
	s_waitcnt lgkmcnt(0)
	v_cmp_le_i32_e32 vcc, s48, v16
	s_add_i32 s46, s33, -1
	s_cmp_gt_u32 s46, 1
	s_cselect_b64 s[6:7], -1, 0
	s_and_saveexec_b64 s[0:1], vcc
	s_xor_b64 s[24:25], exec, s[0:1]
	s_cbranch_execz .LBB125_7
; %bb.1:
	s_load_dwordx4 s[0:3], s[4:5], 0x4
	s_load_dwordx2 s[30:31], s[4:5], 0x14
	s_load_dwordx2 s[28:29], s[4:5], 0xc4
	;; [unrolled: 1-line block ×3, first 2 shown]
	s_load_dword s47, s[4:5], 0x110
	s_cmp_lg_u32 s33, 0
	s_cselect_b64 s[38:39], -1, 0
	s_add_u32 s36, s4, 0xc4
	s_addc_u32 s37, s5, 0
	s_min_u32 s49, s46, 15
	s_cmp_gt_u32 s33, 1
	s_cselect_b64 s[34:35], -1, 0
	v_cmp_gt_i32_e32 vcc, s48, v12
	s_and_saveexec_b64 s[40:41], vcc
	s_cbranch_execz .LBB125_14
; %bb.2:
	s_andn2_b64 vcc, exec, s[6:7]
	s_cbranch_vccnz .LBB125_21
; %bb.3:
	s_andn2_b64 vcc, exec, s[38:39]
	s_cbranch_vccnz .LBB125_121
; %bb.4:
	s_add_i32 s51, s49, 1
	s_mov_b32 s50, 0
	s_cmp_eq_u32 s46, 2
	v_mov_b32_e32 v0, 0
	s_cbranch_scc1 .LBB125_123
; %bb.5:
	s_and_b32 s50, s51, 28
	s_mov_b32 s52, 0
	v_mov_b32_e32 v0, 0
	s_mov_b64 s[42:43], s[4:5]
	s_mov_b64 s[44:45], s[36:37]
	v_mov_b32_e32 v2, v12
.LBB125_6:                              ; =>This Inner Loop Header: Depth=1
	s_load_dwordx8 s[8:15], s[42:43], 0x4
	s_load_dwordx4 s[16:19], s[42:43], 0x24
	s_load_dwordx4 s[20:23], s[44:45], 0x0
	s_add_u32 s42, s42, 48
	s_addc_u32 s43, s43, 0
	s_waitcnt lgkmcnt(0)
	v_mul_hi_u32 v1, s9, v2
	v_add_u32_e32 v1, v2, v1
	v_lshrrev_b32_e32 v1, s10, v1
	v_mul_lo_u32 v3, v1, s8
	v_mul_hi_u32 v4, s12, v1
	v_sub_u32_e32 v2, v2, v3
	v_add_u32_e32 v3, v1, v4
	v_lshrrev_b32_e32 v3, s13, v3
	v_mul_lo_u32 v4, v3, s11
	v_mul_hi_u32 v5, s15, v3
	v_sub_u32_e32 v1, v1, v4
	v_add_u32_e32 v4, v3, v5
	v_mul_lo_u32 v2, v2, s20
	v_mul_lo_u32 v1, v1, s21
	v_lshrrev_b32_e32 v4, s16, v4
	v_add3_u32 v0, v2, v0, v1
	v_mul_hi_u32 v2, s18, v4
	v_add_u32_e32 v2, v4, v2
	v_mul_lo_u32 v1, v4, s14
	v_lshrrev_b32_e32 v2, s19, v2
	s_add_i32 s52, s52, 4
	v_sub_u32_e32 v1, v3, v1
	v_mul_lo_u32 v3, v2, s17
	s_add_u32 s44, s44, 16
	v_sub_u32_e32 v3, v4, v3
	s_addc_u32 s45, s45, 0
	v_mul_lo_u32 v1, v1, s22
	v_mul_lo_u32 v3, v3, s23
	s_cmp_lg_u32 s50, s52
	v_add3_u32 v0, v1, v0, v3
	s_cbranch_scc1 .LBB125_6
	s_branch .LBB125_124
.LBB125_7:
	s_andn2_saveexec_b64 s[0:1], s[24:25]
	s_cbranch_execz .LBB125_213
.LBB125_8:
	v_cndmask_b32_e64 v0, 0, 1, s[6:7]
	v_cmp_ne_u32_e64 s[0:1], 1, v0
	s_andn2_b64 vcc, exec, s[6:7]
	s_cbranch_vccnz .LBB125_20
; %bb.9:
	s_mov_b32 s24, 0
	s_cmp_eq_u32 s33, 0
	v_mov_b32_e32 v0, 0
	s_cbranch_scc1 .LBB125_26
; %bb.10:
	s_min_u32 s25, s46, 15
	s_add_i32 s25, s25, 1
	s_cmp_eq_u32 s46, 2
	v_mov_b32_e32 v0, 0
	s_cbranch_scc1 .LBB125_23
; %bb.11:
	s_add_u32 s2, s4, 0xc4
	s_addc_u32 s3, s5, 0
	s_and_b32 s24, s25, 28
	s_mov_b32 s26, 0
	v_mov_b32_e32 v0, 0
	s_mov_b64 s[6:7], s[4:5]
	v_mov_b32_e32 v2, v12
.LBB125_12:                             ; =>This Inner Loop Header: Depth=1
	s_load_dwordx8 s[8:15], s[6:7], 0x4
	s_load_dwordx4 s[16:19], s[6:7], 0x24
	s_load_dwordx4 s[20:23], s[2:3], 0x0
	s_add_u32 s6, s6, 48
	s_addc_u32 s7, s7, 0
	s_waitcnt lgkmcnt(0)
	v_mul_hi_u32 v1, s9, v2
	v_add_u32_e32 v1, v2, v1
	v_lshrrev_b32_e32 v1, s10, v1
	v_mul_lo_u32 v3, v1, s8
	v_mul_hi_u32 v4, s12, v1
	v_sub_u32_e32 v2, v2, v3
	v_add_u32_e32 v3, v1, v4
	v_lshrrev_b32_e32 v3, s13, v3
	v_mul_lo_u32 v4, v3, s11
	v_mul_hi_u32 v5, s15, v3
	v_sub_u32_e32 v1, v1, v4
	v_add_u32_e32 v4, v3, v5
	v_mul_lo_u32 v2, v2, s20
	v_mul_lo_u32 v1, v1, s21
	v_lshrrev_b32_e32 v4, s16, v4
	v_add3_u32 v0, v2, v0, v1
	v_mul_hi_u32 v2, s18, v4
	v_add_u32_e32 v2, v4, v2
	v_mul_lo_u32 v1, v4, s14
	v_lshrrev_b32_e32 v2, s19, v2
	s_add_i32 s26, s26, 4
	v_sub_u32_e32 v1, v3, v1
	v_mul_lo_u32 v3, v2, s17
	s_add_u32 s2, s2, 16
	v_sub_u32_e32 v3, v4, v3
	s_addc_u32 s3, s3, 0
	v_mul_lo_u32 v1, v1, s22
	v_mul_lo_u32 v3, v3, s23
	s_cmp_lg_u32 s24, s26
	v_add3_u32 v0, v1, v0, v3
	s_cbranch_scc1 .LBB125_12
; %bb.13:
	s_and_b32 s8, s25, 3
	s_cmp_eq_u32 s8, 0
	s_cbranch_scc0 .LBB125_24
	s_branch .LBB125_26
.LBB125_14:
	s_or_b64 exec, exec, s[40:41]
	v_cmp_gt_i32_e32 vcc, s48, v12
	s_and_saveexec_b64 s[40:41], vcc
	s_cbranch_execz .LBB125_131
.LBB125_15:
	s_andn2_b64 vcc, exec, s[6:7]
	s_cbranch_vccnz .LBB125_22
; %bb.16:
	s_andn2_b64 vcc, exec, s[38:39]
	s_cbranch_vccnz .LBB125_122
; %bb.17:
	s_add_i32 s51, s49, 1
	s_mov_b32 s50, 0
	s_cmp_eq_u32 s46, 2
	v_mov_b32_e32 v0, 0
	s_cbranch_scc1 .LBB125_139
; %bb.18:
	s_and_b32 s50, s51, 28
	s_mov_b32 s52, 0
	v_mov_b32_e32 v0, 0
	s_mov_b64 s[42:43], s[4:5]
	s_mov_b64 s[44:45], s[36:37]
	v_mov_b32_e32 v2, v12
.LBB125_19:                             ; =>This Inner Loop Header: Depth=1
	s_load_dwordx8 s[8:15], s[42:43], 0x4
	s_load_dwordx4 s[16:19], s[42:43], 0x24
	s_load_dwordx4 s[20:23], s[44:45], 0x0
	s_add_u32 s42, s42, 48
	s_addc_u32 s43, s43, 0
	s_waitcnt lgkmcnt(0)
	v_mul_hi_u32 v1, s9, v2
	v_add_u32_e32 v1, v2, v1
	v_lshrrev_b32_e32 v1, s10, v1
	v_mul_lo_u32 v3, v1, s8
	v_mul_hi_u32 v4, s12, v1
	v_sub_u32_e32 v2, v2, v3
	v_add_u32_e32 v3, v1, v4
	v_lshrrev_b32_e32 v3, s13, v3
	v_mul_lo_u32 v4, v3, s11
	v_mul_hi_u32 v5, s15, v3
	v_sub_u32_e32 v1, v1, v4
	v_add_u32_e32 v4, v3, v5
	v_mul_lo_u32 v2, v2, s20
	v_mul_lo_u32 v1, v1, s21
	v_lshrrev_b32_e32 v4, s16, v4
	v_add3_u32 v0, v2, v0, v1
	v_mul_hi_u32 v2, s18, v4
	v_add_u32_e32 v2, v4, v2
	v_mul_lo_u32 v1, v4, s14
	v_lshrrev_b32_e32 v2, s19, v2
	s_add_i32 s52, s52, 4
	v_sub_u32_e32 v1, v3, v1
	v_mul_lo_u32 v3, v2, s17
	s_add_u32 s44, s44, 16
	v_sub_u32_e32 v3, v4, v3
	s_addc_u32 s45, s45, 0
	v_mul_lo_u32 v1, v1, s22
	v_mul_lo_u32 v3, v3, s23
	s_cmp_eq_u32 s50, s52
	v_add3_u32 v0, v1, v0, v3
	s_cbranch_scc0 .LBB125_19
	s_branch .LBB125_140
.LBB125_20:
                                        ; implicit-def: $vgpr0
	s_branch .LBB125_27
.LBB125_21:
                                        ; implicit-def: $vgpr0
	s_branch .LBB125_128
.LBB125_22:
                                        ; implicit-def: $vgpr0
	s_branch .LBB125_144
.LBB125_23:
	v_mov_b32_e32 v2, v12
	s_and_b32 s8, s25, 3
	s_cmp_eq_u32 s8, 0
	s_cbranch_scc1 .LBB125_26
.LBB125_24:
	s_lshl_b32 s2, s24, 2
	s_add_u32 s2, s2, s4
	s_addc_u32 s3, 0, s5
	s_add_u32 s2, s2, 0xc4
	s_addc_u32 s3, s3, 0
	s_mul_i32 s6, s24, 12
	s_add_u32 s6, s4, s6
	s_addc_u32 s7, 0, s5
.LBB125_25:                             ; =>This Inner Loop Header: Depth=1
	s_load_dwordx2 s[10:11], s[6:7], 0x4
	s_load_dword s9, s[6:7], 0xc
	s_load_dword s12, s[2:3], 0x0
	s_add_u32 s6, s6, 12
	s_addc_u32 s7, s7, 0
	s_waitcnt lgkmcnt(0)
	v_mul_hi_u32 v1, s11, v2
	v_add_u32_e32 v1, v2, v1
	v_lshrrev_b32_e32 v1, s9, v1
	s_add_u32 s2, s2, 4
	v_mul_lo_u32 v3, v1, s10
	s_addc_u32 s3, s3, 0
	s_add_i32 s8, s8, -1
	v_sub_u32_e32 v3, v2, v3
	s_cmp_lg_u32 s8, 0
	v_mov_b32_e32 v2, v1
	v_mad_u64_u32 v[0:1], s[10:11], v3, s12, v[0:1]
	s_cbranch_scc1 .LBB125_25
.LBB125_26:
	s_cbranch_execnz .LBB125_29
.LBB125_27:
	s_load_dwordx4 s[8:11], s[4:5], 0x4
	s_load_dword s2, s[4:5], 0xc4
	s_cmp_lt_u32 s33, 2
	s_waitcnt lgkmcnt(0)
	v_mul_hi_u32 v0, s9, v12
	v_add_u32_e32 v0, v12, v0
	v_lshrrev_b32_e32 v1, s10, v0
	v_mul_lo_u32 v0, v1, s8
	v_sub_u32_e32 v0, v12, v0
	v_mul_lo_u32 v0, v0, s2
	s_cbranch_scc1 .LBB125_29
; %bb.28:
	s_load_dwordx4 s[8:11], s[4:5], 0x10
	s_load_dword s2, s[4:5], 0xc8
	s_waitcnt lgkmcnt(0)
	v_mul_hi_u32 v2, s9, v1
	v_add_u32_e32 v2, v1, v2
	v_lshrrev_b32_e32 v2, s10, v2
	v_mul_lo_u32 v2, v2, s8
	v_sub_u32_e32 v1, v1, v2
	v_mad_u64_u32 v[0:1], s[2:3], v1, s2, v[0:1]
.LBB125_29:
	s_and_b64 vcc, exec, s[0:1]
	v_add_u32_e32 v1, 0x80, v12
	s_cbranch_vccnz .LBB125_35
; %bb.30:
	s_mov_b32 s24, 0
	s_cmp_eq_u32 s33, 0
	v_mov_b32_e32 v2, 0
	s_cbranch_scc1 .LBB125_39
; %bb.31:
	s_min_u32 s25, s46, 15
	s_add_i32 s25, s25, 1
	s_cmp_eq_u32 s46, 2
	v_mov_b32_e32 v2, 0
	s_cbranch_scc1 .LBB125_36
; %bb.32:
	s_add_u32 s2, s4, 0xc4
	s_addc_u32 s3, s5, 0
	s_and_b32 s24, s25, 28
	s_mov_b32 s26, 0
	v_mov_b32_e32 v2, 0
	s_mov_b64 s[6:7], s[4:5]
	v_mov_b32_e32 v4, v1
.LBB125_33:                             ; =>This Inner Loop Header: Depth=1
	s_load_dwordx8 s[8:15], s[6:7], 0x4
	s_load_dwordx4 s[16:19], s[6:7], 0x24
	s_load_dwordx4 s[20:23], s[2:3], 0x0
	s_add_u32 s6, s6, 48
	s_addc_u32 s7, s7, 0
	s_waitcnt lgkmcnt(0)
	v_mul_hi_u32 v3, s9, v4
	v_add_u32_e32 v3, v4, v3
	v_lshrrev_b32_e32 v3, s10, v3
	v_mul_lo_u32 v5, v3, s8
	v_mul_hi_u32 v6, s12, v3
	v_sub_u32_e32 v4, v4, v5
	v_add_u32_e32 v5, v3, v6
	v_lshrrev_b32_e32 v5, s13, v5
	v_mul_lo_u32 v6, v5, s11
	v_mul_hi_u32 v7, s15, v5
	v_sub_u32_e32 v3, v3, v6
	v_add_u32_e32 v6, v5, v7
	v_mul_lo_u32 v4, v4, s20
	v_mul_lo_u32 v3, v3, s21
	v_lshrrev_b32_e32 v6, s16, v6
	v_add3_u32 v2, v4, v2, v3
	v_mul_hi_u32 v4, s18, v6
	v_add_u32_e32 v4, v6, v4
	v_mul_lo_u32 v3, v6, s14
	v_lshrrev_b32_e32 v4, s19, v4
	s_add_i32 s26, s26, 4
	v_sub_u32_e32 v3, v5, v3
	v_mul_lo_u32 v5, v4, s17
	s_add_u32 s2, s2, 16
	v_sub_u32_e32 v5, v6, v5
	s_addc_u32 s3, s3, 0
	v_mul_lo_u32 v3, v3, s22
	v_mul_lo_u32 v5, v5, s23
	s_cmp_lg_u32 s24, s26
	v_add3_u32 v2, v3, v2, v5
	s_cbranch_scc1 .LBB125_33
; %bb.34:
	s_and_b32 s8, s25, 3
	s_cmp_eq_u32 s8, 0
	s_cbranch_scc0 .LBB125_37
	s_branch .LBB125_39
.LBB125_35:
                                        ; implicit-def: $vgpr2
	s_branch .LBB125_40
.LBB125_36:
	v_mov_b32_e32 v4, v1
	s_and_b32 s8, s25, 3
	s_cmp_eq_u32 s8, 0
	s_cbranch_scc1 .LBB125_39
.LBB125_37:
	s_lshl_b32 s2, s24, 2
	s_add_u32 s2, s2, s4
	s_addc_u32 s3, 0, s5
	s_add_u32 s2, s2, 0xc4
	s_addc_u32 s3, s3, 0
	s_mul_i32 s6, s24, 12
	s_add_u32 s6, s4, s6
	s_addc_u32 s7, 0, s5
.LBB125_38:                             ; =>This Inner Loop Header: Depth=1
	s_load_dwordx2 s[10:11], s[6:7], 0x4
	s_load_dword s9, s[6:7], 0xc
	s_load_dword s12, s[2:3], 0x0
	s_add_u32 s6, s6, 12
	s_addc_u32 s7, s7, 0
	s_waitcnt lgkmcnt(0)
	v_mul_hi_u32 v3, s11, v4
	v_add_u32_e32 v3, v4, v3
	v_lshrrev_b32_e32 v3, s9, v3
	s_add_u32 s2, s2, 4
	v_mul_lo_u32 v5, v3, s10
	s_addc_u32 s3, s3, 0
	s_add_i32 s8, s8, -1
	v_sub_u32_e32 v5, v4, v5
	s_cmp_lg_u32 s8, 0
	v_mov_b32_e32 v4, v3
	v_mad_u64_u32 v[2:3], s[10:11], v5, s12, v[2:3]
	s_cbranch_scc1 .LBB125_38
.LBB125_39:
	s_cbranch_execnz .LBB125_42
.LBB125_40:
	s_load_dwordx4 s[8:11], s[4:5], 0x4
	s_load_dword s2, s[4:5], 0xc4
	s_cmp_lt_u32 s33, 2
	s_waitcnt lgkmcnt(0)
	v_mul_hi_u32 v2, s9, v1
	v_add_u32_e32 v2, v1, v2
	v_lshrrev_b32_e32 v3, s10, v2
	v_mul_lo_u32 v2, v3, s8
	v_sub_u32_e32 v1, v1, v2
	v_mul_lo_u32 v2, v1, s2
	s_cbranch_scc1 .LBB125_42
; %bb.41:
	s_load_dwordx4 s[8:11], s[4:5], 0x10
	s_load_dword s2, s[4:5], 0xc8
	s_waitcnt lgkmcnt(0)
	v_mul_hi_u32 v1, s9, v3
	v_add_u32_e32 v1, v3, v1
	v_lshrrev_b32_e32 v1, s10, v1
	v_mul_lo_u32 v1, v1, s8
	v_sub_u32_e32 v1, v3, v1
	v_mad_u64_u32 v[2:3], s[2:3], v1, s2, v[2:3]
.LBB125_42:
	s_and_b64 vcc, exec, s[0:1]
	v_add_u32_e32 v1, 0x100, v12
	s_cbranch_vccnz .LBB125_48
; %bb.43:
	s_mov_b32 s24, 0
	s_cmp_eq_u32 s33, 0
	v_mov_b32_e32 v4, 0
	s_cbranch_scc1 .LBB125_52
; %bb.44:
	s_min_u32 s25, s46, 15
	s_add_i32 s25, s25, 1
	s_cmp_eq_u32 s46, 2
	v_mov_b32_e32 v4, 0
	s_cbranch_scc1 .LBB125_49
; %bb.45:
	s_add_u32 s2, s4, 0xc4
	s_addc_u32 s3, s5, 0
	s_and_b32 s24, s25, 28
	s_mov_b32 s26, 0
	v_mov_b32_e32 v4, 0
	s_mov_b64 s[6:7], s[4:5]
	v_mov_b32_e32 v3, v1
.LBB125_46:                             ; =>This Inner Loop Header: Depth=1
	s_load_dwordx8 s[8:15], s[6:7], 0x4
	s_load_dwordx4 s[16:19], s[6:7], 0x24
	s_load_dwordx4 s[20:23], s[2:3], 0x0
	s_add_u32 s6, s6, 48
	s_addc_u32 s7, s7, 0
	s_waitcnt lgkmcnt(0)
	v_mul_hi_u32 v5, s9, v3
	v_add_u32_e32 v5, v3, v5
	v_lshrrev_b32_e32 v5, s10, v5
	v_mul_lo_u32 v6, v5, s8
	v_mul_hi_u32 v7, s12, v5
	v_sub_u32_e32 v3, v3, v6
	v_add_u32_e32 v6, v5, v7
	v_lshrrev_b32_e32 v6, s13, v6
	v_mul_lo_u32 v7, v6, s11
	v_mul_hi_u32 v8, s15, v6
	v_sub_u32_e32 v5, v5, v7
	v_add_u32_e32 v7, v6, v8
	v_mul_lo_u32 v3, v3, s20
	v_mul_lo_u32 v5, v5, s21
	v_lshrrev_b32_e32 v7, s16, v7
	v_add3_u32 v4, v3, v4, v5
	v_mul_lo_u32 v3, v7, s14
	v_mul_hi_u32 v5, s18, v7
	v_sub_u32_e32 v3, v6, v3
	v_add_u32_e32 v5, v7, v5
	v_mul_lo_u32 v6, v3, s22
	v_lshrrev_b32_e32 v3, s19, v5
	s_add_i32 s26, s26, 4
	v_mul_lo_u32 v5, v3, s17
	s_add_u32 s2, s2, 16
	v_sub_u32_e32 v5, v7, v5
	s_addc_u32 s3, s3, 0
	v_mul_lo_u32 v5, v5, s23
	s_cmp_lg_u32 s24, s26
	v_add3_u32 v4, v6, v4, v5
	s_cbranch_scc1 .LBB125_46
; %bb.47:
	s_and_b32 s8, s25, 3
	s_cmp_eq_u32 s8, 0
	s_cbranch_scc0 .LBB125_50
	s_branch .LBB125_52
.LBB125_48:
                                        ; implicit-def: $vgpr4
	s_branch .LBB125_53
.LBB125_49:
	v_mov_b32_e32 v3, v1
	s_and_b32 s8, s25, 3
	s_cmp_eq_u32 s8, 0
	s_cbranch_scc1 .LBB125_52
.LBB125_50:
	s_lshl_b32 s2, s24, 2
	s_add_u32 s2, s2, s4
	s_addc_u32 s3, 0, s5
	s_add_u32 s2, s2, 0xc4
	s_addc_u32 s3, s3, 0
	s_mul_i32 s6, s24, 12
	s_add_u32 s6, s4, s6
	s_addc_u32 s7, 0, s5
.LBB125_51:                             ; =>This Inner Loop Header: Depth=1
	s_load_dwordx2 s[10:11], s[6:7], 0x4
	s_load_dword s9, s[6:7], 0xc
	s_load_dword s12, s[2:3], 0x0
	s_add_u32 s6, s6, 12
	s_addc_u32 s7, s7, 0
	s_waitcnt lgkmcnt(0)
	v_mul_hi_u32 v5, s11, v3
	v_add_u32_e32 v5, v3, v5
	v_lshrrev_b32_e32 v5, s9, v5
	s_add_u32 s2, s2, 4
	v_mul_lo_u32 v6, v5, s10
	s_addc_u32 s3, s3, 0
	s_add_i32 s8, s8, -1
	v_sub_u32_e32 v6, v3, v6
	s_cmp_lg_u32 s8, 0
	v_mov_b32_e32 v3, v5
	v_mad_u64_u32 v[4:5], s[10:11], v6, s12, v[4:5]
	s_cbranch_scc1 .LBB125_51
.LBB125_52:
	s_cbranch_execnz .LBB125_55
.LBB125_53:
	s_load_dwordx4 s[8:11], s[4:5], 0x4
	s_load_dword s2, s[4:5], 0xc4
	s_cmp_lt_u32 s33, 2
	s_waitcnt lgkmcnt(0)
	v_mul_hi_u32 v3, s9, v1
	v_add_u32_e32 v3, v1, v3
	v_lshrrev_b32_e32 v3, s10, v3
	v_mul_lo_u32 v4, v3, s8
	v_sub_u32_e32 v1, v1, v4
	v_mul_lo_u32 v4, v1, s2
	s_cbranch_scc1 .LBB125_55
; %bb.54:
	s_load_dwordx4 s[8:11], s[4:5], 0x10
	s_load_dword s2, s[4:5], 0xc8
	s_waitcnt lgkmcnt(0)
	v_mul_hi_u32 v1, s9, v3
	v_add_u32_e32 v1, v3, v1
	v_lshrrev_b32_e32 v1, s10, v1
	v_mul_lo_u32 v1, v1, s8
	v_sub_u32_e32 v1, v3, v1
	v_mad_u64_u32 v[4:5], s[2:3], v1, s2, v[4:5]
.LBB125_55:
	s_and_b64 vcc, exec, s[0:1]
	v_add_u32_e32 v1, 0x180, v12
	s_cbranch_vccnz .LBB125_61
; %bb.56:
	s_mov_b32 s24, 0
	s_cmp_eq_u32 s33, 0
	v_mov_b32_e32 v6, 0
	s_cbranch_scc1 .LBB125_65
; %bb.57:
	s_min_u32 s25, s46, 15
	s_add_i32 s25, s25, 1
	s_cmp_eq_u32 s46, 2
	v_mov_b32_e32 v6, 0
	s_cbranch_scc1 .LBB125_62
; %bb.58:
	s_add_u32 s2, s4, 0xc4
	s_addc_u32 s3, s5, 0
	s_and_b32 s24, s25, 28
	s_mov_b32 s26, 0
	v_mov_b32_e32 v6, 0
	s_mov_b64 s[6:7], s[4:5]
	v_mov_b32_e32 v3, v1
.LBB125_59:                             ; =>This Inner Loop Header: Depth=1
	s_load_dwordx8 s[8:15], s[6:7], 0x4
	s_load_dwordx4 s[16:19], s[6:7], 0x24
	s_load_dwordx4 s[20:23], s[2:3], 0x0
	s_add_u32 s6, s6, 48
	s_addc_u32 s7, s7, 0
	s_waitcnt lgkmcnt(0)
	v_mul_hi_u32 v5, s9, v3
	v_add_u32_e32 v5, v3, v5
	v_lshrrev_b32_e32 v5, s10, v5
	v_mul_lo_u32 v7, v5, s8
	v_mul_hi_u32 v8, s12, v5
	v_sub_u32_e32 v3, v3, v7
	v_add_u32_e32 v7, v5, v8
	v_lshrrev_b32_e32 v7, s13, v7
	v_mul_lo_u32 v8, v7, s11
	v_mul_hi_u32 v9, s15, v7
	v_sub_u32_e32 v5, v5, v8
	v_add_u32_e32 v8, v7, v9
	v_mul_lo_u32 v3, v3, s20
	v_mul_lo_u32 v5, v5, s21
	v_lshrrev_b32_e32 v8, s16, v8
	v_add3_u32 v5, v3, v6, v5
	v_mul_lo_u32 v3, v8, s14
	v_mul_hi_u32 v6, s18, v8
	v_sub_u32_e32 v3, v7, v3
	v_add_u32_e32 v6, v8, v6
	v_mul_lo_u32 v7, v3, s22
	v_lshrrev_b32_e32 v3, s19, v6
	s_add_i32 s26, s26, 4
	v_mul_lo_u32 v6, v3, s17
	s_add_u32 s2, s2, 16
	v_sub_u32_e32 v6, v8, v6
	s_addc_u32 s3, s3, 0
	v_mul_lo_u32 v6, v6, s23
	s_cmp_lg_u32 s24, s26
	v_add3_u32 v6, v7, v5, v6
	s_cbranch_scc1 .LBB125_59
; %bb.60:
	s_and_b32 s8, s25, 3
	s_cmp_eq_u32 s8, 0
	s_cbranch_scc0 .LBB125_63
	s_branch .LBB125_65
.LBB125_61:
                                        ; implicit-def: $vgpr6
	s_branch .LBB125_66
.LBB125_62:
	v_mov_b32_e32 v3, v1
	s_and_b32 s8, s25, 3
	s_cmp_eq_u32 s8, 0
	s_cbranch_scc1 .LBB125_65
.LBB125_63:
	s_lshl_b32 s2, s24, 2
	s_add_u32 s2, s2, s4
	s_addc_u32 s3, 0, s5
	s_add_u32 s2, s2, 0xc4
	s_addc_u32 s3, s3, 0
	s_mul_i32 s6, s24, 12
	s_add_u32 s6, s4, s6
	s_addc_u32 s7, 0, s5
.LBB125_64:                             ; =>This Inner Loop Header: Depth=1
	s_load_dwordx2 s[10:11], s[6:7], 0x4
	s_load_dword s9, s[6:7], 0xc
	s_load_dword s12, s[2:3], 0x0
	s_add_u32 s6, s6, 12
	s_addc_u32 s7, s7, 0
	s_waitcnt lgkmcnt(0)
	v_mul_hi_u32 v5, s11, v3
	v_add_u32_e32 v5, v3, v5
	v_lshrrev_b32_e32 v5, s9, v5
	s_add_u32 s2, s2, 4
	v_mul_lo_u32 v7, v5, s10
	s_addc_u32 s3, s3, 0
	s_add_i32 s8, s8, -1
	v_sub_u32_e32 v7, v3, v7
	s_cmp_lg_u32 s8, 0
	v_mov_b32_e32 v3, v5
	v_mad_u64_u32 v[6:7], s[10:11], v7, s12, v[6:7]
	s_cbranch_scc1 .LBB125_64
.LBB125_65:
	s_cbranch_execnz .LBB125_68
.LBB125_66:
	s_load_dwordx4 s[8:11], s[4:5], 0x4
	s_load_dword s2, s[4:5], 0xc4
	s_cmp_lt_u32 s33, 2
	s_waitcnt lgkmcnt(0)
	v_mul_hi_u32 v3, s9, v1
	v_add_u32_e32 v3, v1, v3
	v_lshrrev_b32_e32 v3, s10, v3
	v_mul_lo_u32 v5, v3, s8
	v_sub_u32_e32 v1, v1, v5
	v_mul_lo_u32 v6, v1, s2
	s_cbranch_scc1 .LBB125_68
; %bb.67:
	s_load_dwordx4 s[8:11], s[4:5], 0x10
	s_load_dword s2, s[4:5], 0xc8
	s_waitcnt lgkmcnt(0)
	v_mul_hi_u32 v1, s9, v3
	v_add_u32_e32 v1, v3, v1
	v_lshrrev_b32_e32 v1, s10, v1
	v_mul_lo_u32 v1, v1, s8
	v_sub_u32_e32 v1, v3, v1
	v_mad_u64_u32 v[6:7], s[2:3], v1, s2, v[6:7]
.LBB125_68:
	s_and_b64 vcc, exec, s[0:1]
	v_add_u32_e32 v1, 0x200, v12
	s_cbranch_vccnz .LBB125_74
; %bb.69:
	s_mov_b32 s24, 0
	s_cmp_eq_u32 s33, 0
	v_mov_b32_e32 v8, 0
	s_cbranch_scc1 .LBB125_78
; %bb.70:
	s_min_u32 s25, s46, 15
	s_add_i32 s25, s25, 1
	s_cmp_eq_u32 s46, 2
	v_mov_b32_e32 v8, 0
	s_cbranch_scc1 .LBB125_75
; %bb.71:
	s_add_u32 s2, s4, 0xc4
	s_addc_u32 s3, s5, 0
	s_and_b32 s24, s25, 28
	s_mov_b32 s26, 0
	v_mov_b32_e32 v8, 0
	s_mov_b64 s[6:7], s[4:5]
	v_mov_b32_e32 v3, v1
.LBB125_72:                             ; =>This Inner Loop Header: Depth=1
	s_load_dwordx8 s[8:15], s[6:7], 0x4
	s_load_dwordx4 s[16:19], s[6:7], 0x24
	s_load_dwordx4 s[20:23], s[2:3], 0x0
	s_add_u32 s6, s6, 48
	s_addc_u32 s7, s7, 0
	s_waitcnt lgkmcnt(0)
	v_mul_hi_u32 v5, s9, v3
	v_add_u32_e32 v5, v3, v5
	v_lshrrev_b32_e32 v5, s10, v5
	v_mul_lo_u32 v7, v5, s8
	v_mul_hi_u32 v9, s12, v5
	v_sub_u32_e32 v3, v3, v7
	v_add_u32_e32 v7, v5, v9
	v_lshrrev_b32_e32 v7, s13, v7
	v_mul_lo_u32 v9, v7, s11
	v_mul_hi_u32 v10, s15, v7
	v_sub_u32_e32 v5, v5, v9
	v_add_u32_e32 v9, v7, v10
	v_mul_lo_u32 v3, v3, s20
	v_mul_lo_u32 v5, v5, s21
	v_lshrrev_b32_e32 v9, s16, v9
	v_add3_u32 v5, v3, v8, v5
	v_mul_lo_u32 v3, v9, s14
	v_mul_hi_u32 v8, s18, v9
	v_sub_u32_e32 v3, v7, v3
	v_add_u32_e32 v7, v9, v8
	v_mul_lo_u32 v8, v3, s22
	v_lshrrev_b32_e32 v3, s19, v7
	s_add_i32 s26, s26, 4
	v_mul_lo_u32 v7, v3, s17
	s_add_u32 s2, s2, 16
	v_sub_u32_e32 v7, v9, v7
	s_addc_u32 s3, s3, 0
	v_mul_lo_u32 v7, v7, s23
	s_cmp_lg_u32 s24, s26
	v_add3_u32 v8, v8, v5, v7
	s_cbranch_scc1 .LBB125_72
; %bb.73:
	s_and_b32 s8, s25, 3
	s_cmp_eq_u32 s8, 0
	s_cbranch_scc0 .LBB125_76
	s_branch .LBB125_78
.LBB125_74:
                                        ; implicit-def: $vgpr8
	s_branch .LBB125_79
.LBB125_75:
	v_mov_b32_e32 v3, v1
	s_and_b32 s8, s25, 3
	s_cmp_eq_u32 s8, 0
	s_cbranch_scc1 .LBB125_78
.LBB125_76:
	s_lshl_b32 s2, s24, 2
	s_add_u32 s2, s2, s4
	s_addc_u32 s3, 0, s5
	s_add_u32 s2, s2, 0xc4
	s_addc_u32 s3, s3, 0
	s_mul_i32 s6, s24, 12
	s_add_u32 s6, s4, s6
	s_addc_u32 s7, 0, s5
.LBB125_77:                             ; =>This Inner Loop Header: Depth=1
	s_load_dwordx2 s[10:11], s[6:7], 0x4
	s_load_dword s9, s[6:7], 0xc
	s_load_dword s12, s[2:3], 0x0
	s_add_u32 s6, s6, 12
	s_addc_u32 s7, s7, 0
	s_waitcnt lgkmcnt(0)
	v_mul_hi_u32 v5, s11, v3
	v_add_u32_e32 v5, v3, v5
	v_lshrrev_b32_e32 v5, s9, v5
	s_add_u32 s2, s2, 4
	v_mul_lo_u32 v7, v5, s10
	s_addc_u32 s3, s3, 0
	s_add_i32 s8, s8, -1
	v_sub_u32_e32 v7, v3, v7
	s_cmp_lg_u32 s8, 0
	v_mov_b32_e32 v3, v5
	v_mad_u64_u32 v[8:9], s[10:11], v7, s12, v[8:9]
	s_cbranch_scc1 .LBB125_77
.LBB125_78:
	s_cbranch_execnz .LBB125_81
.LBB125_79:
	s_load_dwordx4 s[8:11], s[4:5], 0x4
	s_load_dword s2, s[4:5], 0xc4
	s_cmp_lt_u32 s33, 2
	s_waitcnt lgkmcnt(0)
	v_mul_hi_u32 v3, s9, v1
	v_add_u32_e32 v3, v1, v3
	v_lshrrev_b32_e32 v3, s10, v3
	v_mul_lo_u32 v5, v3, s8
	v_sub_u32_e32 v1, v1, v5
	v_mul_lo_u32 v8, v1, s2
	s_cbranch_scc1 .LBB125_81
; %bb.80:
	s_load_dwordx4 s[8:11], s[4:5], 0x10
	s_load_dword s2, s[4:5], 0xc8
	s_waitcnt lgkmcnt(0)
	v_mul_hi_u32 v1, s9, v3
	v_add_u32_e32 v1, v3, v1
	v_lshrrev_b32_e32 v1, s10, v1
	v_mul_lo_u32 v1, v1, s8
	v_sub_u32_e32 v1, v3, v1
	v_mad_u64_u32 v[8:9], s[2:3], v1, s2, v[8:9]
.LBB125_81:
	s_and_b64 vcc, exec, s[0:1]
	v_add_u32_e32 v1, 0x280, v12
	s_cbranch_vccnz .LBB125_87
; %bb.82:
	s_mov_b32 s24, 0
	s_cmp_eq_u32 s33, 0
	v_mov_b32_e32 v10, 0
	s_cbranch_scc1 .LBB125_91
; %bb.83:
	s_min_u32 s25, s46, 15
	s_add_i32 s25, s25, 1
	s_cmp_eq_u32 s46, 2
	v_mov_b32_e32 v10, 0
	s_cbranch_scc1 .LBB125_88
; %bb.84:
	s_add_u32 s2, s4, 0xc4
	s_addc_u32 s3, s5, 0
	s_and_b32 s24, s25, 28
	s_mov_b32 s26, 0
	v_mov_b32_e32 v10, 0
	s_mov_b64 s[6:7], s[4:5]
	v_mov_b32_e32 v3, v1
.LBB125_85:                             ; =>This Inner Loop Header: Depth=1
	s_load_dwordx8 s[8:15], s[6:7], 0x4
	s_load_dwordx4 s[16:19], s[6:7], 0x24
	s_load_dwordx4 s[20:23], s[2:3], 0x0
	s_add_u32 s6, s6, 48
	s_addc_u32 s7, s7, 0
	s_waitcnt lgkmcnt(0)
	v_mul_hi_u32 v5, s9, v3
	v_add_u32_e32 v5, v3, v5
	v_lshrrev_b32_e32 v5, s10, v5
	v_mul_lo_u32 v7, v5, s8
	v_mul_hi_u32 v9, s12, v5
	v_sub_u32_e32 v3, v3, v7
	v_add_u32_e32 v7, v5, v9
	v_lshrrev_b32_e32 v7, s13, v7
	v_mul_lo_u32 v9, v7, s11
	v_mul_hi_u32 v11, s15, v7
	v_sub_u32_e32 v5, v5, v9
	v_add_u32_e32 v9, v7, v11
	v_mul_lo_u32 v3, v3, s20
	v_mul_lo_u32 v5, v5, s21
	v_lshrrev_b32_e32 v9, s16, v9
	v_add3_u32 v5, v3, v10, v5
	v_mul_lo_u32 v3, v9, s14
	v_mul_hi_u32 v10, s18, v9
	v_sub_u32_e32 v3, v7, v3
	v_add_u32_e32 v7, v9, v10
	v_mul_lo_u32 v10, v3, s22
	v_lshrrev_b32_e32 v3, s19, v7
	s_add_i32 s26, s26, 4
	v_mul_lo_u32 v7, v3, s17
	s_add_u32 s2, s2, 16
	v_sub_u32_e32 v7, v9, v7
	s_addc_u32 s3, s3, 0
	v_mul_lo_u32 v7, v7, s23
	s_cmp_lg_u32 s24, s26
	v_add3_u32 v10, v10, v5, v7
	s_cbranch_scc1 .LBB125_85
; %bb.86:
	s_and_b32 s8, s25, 3
	s_cmp_eq_u32 s8, 0
	s_cbranch_scc0 .LBB125_89
	s_branch .LBB125_91
.LBB125_87:
                                        ; implicit-def: $vgpr10
	s_branch .LBB125_92
.LBB125_88:
	v_mov_b32_e32 v3, v1
	s_and_b32 s8, s25, 3
	s_cmp_eq_u32 s8, 0
	s_cbranch_scc1 .LBB125_91
.LBB125_89:
	s_lshl_b32 s2, s24, 2
	s_add_u32 s2, s2, s4
	s_addc_u32 s3, 0, s5
	s_add_u32 s2, s2, 0xc4
	s_addc_u32 s3, s3, 0
	s_mul_i32 s6, s24, 12
	s_add_u32 s6, s4, s6
	s_addc_u32 s7, 0, s5
.LBB125_90:                             ; =>This Inner Loop Header: Depth=1
	s_load_dwordx2 s[10:11], s[6:7], 0x4
	s_load_dword s9, s[6:7], 0xc
	s_load_dword s12, s[2:3], 0x0
	s_add_u32 s6, s6, 12
	s_addc_u32 s7, s7, 0
	s_waitcnt lgkmcnt(0)
	v_mul_hi_u32 v5, s11, v3
	v_add_u32_e32 v5, v3, v5
	v_lshrrev_b32_e32 v5, s9, v5
	s_add_u32 s2, s2, 4
	v_mul_lo_u32 v7, v5, s10
	s_addc_u32 s3, s3, 0
	s_add_i32 s8, s8, -1
	v_sub_u32_e32 v7, v3, v7
	s_cmp_lg_u32 s8, 0
	v_mov_b32_e32 v3, v5
	v_mad_u64_u32 v[10:11], s[10:11], v7, s12, v[10:11]
	s_cbranch_scc1 .LBB125_90
.LBB125_91:
	s_cbranch_execnz .LBB125_94
.LBB125_92:
	s_load_dwordx4 s[8:11], s[4:5], 0x4
	s_load_dword s2, s[4:5], 0xc4
	s_cmp_lt_u32 s33, 2
	s_waitcnt lgkmcnt(0)
	v_mul_hi_u32 v3, s9, v1
	v_add_u32_e32 v3, v1, v3
	v_lshrrev_b32_e32 v3, s10, v3
	v_mul_lo_u32 v5, v3, s8
	v_sub_u32_e32 v1, v1, v5
	v_mul_lo_u32 v10, v1, s2
	s_cbranch_scc1 .LBB125_94
; %bb.93:
	s_load_dwordx4 s[8:11], s[4:5], 0x10
	s_load_dword s2, s[4:5], 0xc8
	s_waitcnt lgkmcnt(0)
	v_mul_hi_u32 v1, s9, v3
	v_add_u32_e32 v1, v3, v1
	v_lshrrev_b32_e32 v1, s10, v1
	v_mul_lo_u32 v1, v1, s8
	v_sub_u32_e32 v1, v3, v1
	v_mad_u64_u32 v[10:11], s[2:3], v1, s2, v[10:11]
.LBB125_94:
	s_and_b64 vcc, exec, s[0:1]
	v_add_u32_e32 v1, 0x300, v12
	s_cbranch_vccnz .LBB125_100
; %bb.95:
	s_mov_b32 s24, 0
	s_cmp_eq_u32 s33, 0
	v_mov_b32_e32 v12, 0
	s_cbranch_scc1 .LBB125_104
; %bb.96:
	s_min_u32 s25, s46, 15
	s_add_i32 s25, s25, 1
	s_cmp_eq_u32 s46, 2
	v_mov_b32_e32 v12, 0
	s_cbranch_scc1 .LBB125_101
; %bb.97:
	s_add_u32 s2, s4, 0xc4
	s_addc_u32 s3, s5, 0
	s_and_b32 s24, s25, 28
	s_mov_b32 s26, 0
	v_mov_b32_e32 v12, 0
	s_mov_b64 s[6:7], s[4:5]
	v_mov_b32_e32 v3, v1
.LBB125_98:                             ; =>This Inner Loop Header: Depth=1
	s_load_dwordx8 s[8:15], s[6:7], 0x4
	s_load_dwordx4 s[16:19], s[6:7], 0x24
	s_load_dwordx4 s[20:23], s[2:3], 0x0
	s_add_u32 s6, s6, 48
	s_addc_u32 s7, s7, 0
	s_waitcnt lgkmcnt(0)
	v_mul_hi_u32 v5, s9, v3
	v_add_u32_e32 v5, v3, v5
	v_lshrrev_b32_e32 v5, s10, v5
	v_mul_lo_u32 v7, v5, s8
	v_mul_hi_u32 v9, s12, v5
	v_sub_u32_e32 v3, v3, v7
	v_add_u32_e32 v7, v5, v9
	v_lshrrev_b32_e32 v7, s13, v7
	v_mul_lo_u32 v9, v7, s11
	v_mul_hi_u32 v11, s15, v7
	v_sub_u32_e32 v5, v5, v9
	v_add_u32_e32 v9, v7, v11
	v_mul_lo_u32 v3, v3, s20
	v_mul_lo_u32 v5, v5, s21
	v_lshrrev_b32_e32 v9, s16, v9
	v_add3_u32 v5, v3, v12, v5
	v_mul_lo_u32 v3, v9, s14
	v_mul_hi_u32 v11, s18, v9
	v_sub_u32_e32 v3, v7, v3
	v_add_u32_e32 v7, v9, v11
	v_mul_lo_u32 v11, v3, s22
	v_lshrrev_b32_e32 v3, s19, v7
	s_add_i32 s26, s26, 4
	v_mul_lo_u32 v7, v3, s17
	s_add_u32 s2, s2, 16
	v_sub_u32_e32 v7, v9, v7
	s_addc_u32 s3, s3, 0
	v_mul_lo_u32 v7, v7, s23
	s_cmp_lg_u32 s24, s26
	v_add3_u32 v12, v11, v5, v7
	s_cbranch_scc1 .LBB125_98
; %bb.99:
	s_and_b32 s8, s25, 3
	s_cmp_eq_u32 s8, 0
	s_cbranch_scc0 .LBB125_102
	s_branch .LBB125_104
.LBB125_100:
                                        ; implicit-def: $vgpr12
	s_branch .LBB125_105
.LBB125_101:
	v_mov_b32_e32 v3, v1
	s_and_b32 s8, s25, 3
	s_cmp_eq_u32 s8, 0
	s_cbranch_scc1 .LBB125_104
.LBB125_102:
	s_lshl_b32 s2, s24, 2
	s_add_u32 s2, s2, s4
	s_addc_u32 s3, 0, s5
	s_add_u32 s2, s2, 0xc4
	s_addc_u32 s3, s3, 0
	s_mul_i32 s6, s24, 12
	s_add_u32 s6, s4, s6
	s_addc_u32 s7, 0, s5
.LBB125_103:                            ; =>This Inner Loop Header: Depth=1
	s_load_dwordx2 s[10:11], s[6:7], 0x4
	s_load_dword s9, s[6:7], 0xc
	s_load_dword s12, s[2:3], 0x0
	s_add_u32 s6, s6, 12
	s_addc_u32 s7, s7, 0
	s_waitcnt lgkmcnt(0)
	v_mul_hi_u32 v5, s11, v3
	v_add_u32_e32 v5, v3, v5
	v_lshrrev_b32_e32 v5, s9, v5
	s_add_u32 s2, s2, 4
	v_mul_lo_u32 v7, v5, s10
	s_addc_u32 s3, s3, 0
	s_add_i32 s8, s8, -1
	v_sub_u32_e32 v7, v3, v7
	s_cmp_lg_u32 s8, 0
	v_mov_b32_e32 v3, v5
	v_mad_u64_u32 v[12:13], s[10:11], v7, s12, v[12:13]
	s_cbranch_scc1 .LBB125_103
.LBB125_104:
	s_cbranch_execnz .LBB125_107
.LBB125_105:
	s_load_dwordx4 s[8:11], s[4:5], 0x4
	s_load_dword s2, s[4:5], 0xc4
	s_cmp_lt_u32 s33, 2
	s_waitcnt lgkmcnt(0)
	v_mul_hi_u32 v3, s9, v1
	v_add_u32_e32 v3, v1, v3
	v_lshrrev_b32_e32 v3, s10, v3
	v_mul_lo_u32 v5, v3, s8
	v_sub_u32_e32 v1, v1, v5
	v_mul_lo_u32 v12, v1, s2
	s_cbranch_scc1 .LBB125_107
; %bb.106:
	s_load_dwordx4 s[8:11], s[4:5], 0x10
	s_load_dword s2, s[4:5], 0xc8
	s_waitcnt lgkmcnt(0)
	v_mul_hi_u32 v1, s9, v3
	v_add_u32_e32 v1, v3, v1
	v_lshrrev_b32_e32 v1, s10, v1
	v_mul_lo_u32 v1, v1, s8
	v_sub_u32_e32 v1, v3, v1
	v_mad_u64_u32 v[12:13], s[2:3], v1, s2, v[12:13]
.LBB125_107:
	s_and_b64 vcc, exec, s[0:1]
	s_cbranch_vccnz .LBB125_113
; %bb.108:
	s_mov_b32 s22, 0
	s_cmp_eq_u32 s33, 0
	v_mov_b32_e32 v14, 0
	s_cbranch_scc1 .LBB125_117
; %bb.109:
	s_min_u32 s23, s46, 15
	s_add_i32 s23, s23, 1
	s_cmp_eq_u32 s46, 2
	v_mov_b32_e32 v14, 0
	s_cbranch_scc1 .LBB125_114
; %bb.110:
	s_add_u32 s6, s4, 0xc4
	s_addc_u32 s7, s5, 0
	s_and_b32 s22, s23, 28
	s_mov_b32 s24, 0
	v_mov_b32_e32 v14, 0
	s_mov_b64 s[20:21], s[4:5]
	v_mov_b32_e32 v1, v16
.LBB125_111:                            ; =>This Inner Loop Header: Depth=1
	s_load_dwordx8 s[8:15], s[20:21], 0x4
	s_load_dwordx4 s[0:3], s[20:21], 0x24
	s_load_dwordx4 s[16:19], s[6:7], 0x0
	s_add_u32 s20, s20, 48
	s_addc_u32 s21, s21, 0
	s_waitcnt lgkmcnt(0)
	v_mul_hi_u32 v3, s9, v1
	v_add_u32_e32 v3, v1, v3
	v_lshrrev_b32_e32 v3, s10, v3
	v_mul_lo_u32 v5, v3, s8
	v_mul_hi_u32 v7, s12, v3
	v_sub_u32_e32 v1, v1, v5
	v_add_u32_e32 v5, v3, v7
	v_lshrrev_b32_e32 v5, s13, v5
	v_mul_lo_u32 v7, v5, s11
	v_mul_hi_u32 v9, s15, v5
	v_sub_u32_e32 v3, v3, v7
	v_add_u32_e32 v7, v5, v9
	v_mul_lo_u32 v1, v1, s16
	v_mul_lo_u32 v3, v3, s17
	v_lshrrev_b32_e32 v7, s0, v7
	v_add3_u32 v3, v1, v14, v3
	v_mul_lo_u32 v1, v7, s14
	v_mul_hi_u32 v9, s2, v7
	v_sub_u32_e32 v1, v5, v1
	v_add_u32_e32 v5, v7, v9
	v_mul_lo_u32 v9, v1, s18
	v_lshrrev_b32_e32 v1, s3, v5
	s_add_i32 s24, s24, 4
	v_mul_lo_u32 v5, v1, s1
	s_add_u32 s6, s6, 16
	v_sub_u32_e32 v5, v7, v5
	s_addc_u32 s7, s7, 0
	v_mul_lo_u32 v5, v5, s19
	s_cmp_lg_u32 s22, s24
	v_add3_u32 v14, v9, v3, v5
	s_cbranch_scc1 .LBB125_111
; %bb.112:
	s_and_b32 s6, s23, 3
	s_cmp_eq_u32 s6, 0
	s_cbranch_scc0 .LBB125_115
	s_branch .LBB125_117
.LBB125_113:
                                        ; implicit-def: $vgpr14
	s_branch .LBB125_118
.LBB125_114:
	v_mov_b32_e32 v1, v16
	s_and_b32 s6, s23, 3
	s_cmp_eq_u32 s6, 0
	s_cbranch_scc1 .LBB125_117
.LBB125_115:
	s_lshl_b32 s0, s22, 2
	s_add_u32 s0, s0, s4
	s_addc_u32 s1, 0, s5
	s_add_u32 s0, s0, 0xc4
	s_addc_u32 s1, s1, 0
	s_mul_i32 s2, s22, 12
	s_add_u32 s2, s4, s2
	s_addc_u32 s3, 0, s5
.LBB125_116:                            ; =>This Inner Loop Header: Depth=1
	s_load_dwordx2 s[8:9], s[2:3], 0x4
	s_load_dword s7, s[2:3], 0xc
	s_load_dword s10, s[0:1], 0x0
	s_add_u32 s2, s2, 12
	s_addc_u32 s3, s3, 0
	s_waitcnt lgkmcnt(0)
	v_mul_hi_u32 v3, s9, v1
	v_add_u32_e32 v3, v1, v3
	v_lshrrev_b32_e32 v3, s7, v3
	s_add_u32 s0, s0, 4
	v_mul_lo_u32 v5, v3, s8
	s_addc_u32 s1, s1, 0
	s_add_i32 s6, s6, -1
	v_sub_u32_e32 v5, v1, v5
	s_cmp_lg_u32 s6, 0
	v_mov_b32_e32 v1, v3
	v_mad_u64_u32 v[14:15], s[8:9], v5, s10, v[14:15]
	s_cbranch_scc1 .LBB125_116
.LBB125_117:
	s_cbranch_execnz .LBB125_120
.LBB125_118:
	s_load_dwordx4 s[0:3], s[4:5], 0x4
	s_waitcnt lgkmcnt(0)
	s_load_dword s3, s[4:5], 0xc4
	s_cmp_lt_u32 s33, 2
	v_mul_hi_u32 v1, s1, v16
	v_add_u32_e32 v1, v16, v1
	v_lshrrev_b32_e32 v1, s2, v1
	v_mul_lo_u32 v3, v1, s0
	v_sub_u32_e32 v3, v16, v3
	s_waitcnt lgkmcnt(0)
	v_mul_lo_u32 v14, v3, s3
	s_cbranch_scc1 .LBB125_120
; %bb.119:
	s_load_dwordx4 s[0:3], s[4:5], 0x10
	s_waitcnt lgkmcnt(0)
	s_load_dword s3, s[4:5], 0xc8
	v_mul_hi_u32 v3, s1, v1
	v_add_u32_e32 v3, v1, v3
	v_lshrrev_b32_e32 v3, s2, v3
	v_mul_lo_u32 v3, v3, s0
	v_sub_u32_e32 v1, v1, v3
	s_waitcnt lgkmcnt(0)
	v_mad_u64_u32 v[14:15], s[0:1], v1, s3, v[14:15]
.LBB125_120:
	s_load_dword s2, s[4:5], 0x110
	s_load_dwordx2 s[0:1], s[4:5], 0x108
	s_waitcnt lgkmcnt(0)
	v_mov_b32_e32 v1, s2
	s_nop 0
	global_store_byte v0, v1, s[0:1]
	global_store_byte v2, v1, s[0:1]
	;; [unrolled: 1-line block ×8, first 2 shown]
	s_endpgm
.LBB125_121:
	v_mov_b32_e32 v0, 0
	s_branch .LBB125_127
.LBB125_122:
	v_mov_b32_e32 v0, 0
	s_branch .LBB125_143
.LBB125_123:
	v_mov_b32_e32 v2, v12
.LBB125_124:
	s_and_b32 s12, s51, 3
	s_cmp_eq_u32 s12, 0
	s_cbranch_scc1 .LBB125_127
; %bb.125:
	s_lshl_b32 s8, s50, 2
	s_add_u32 s8, s8, s4
	s_addc_u32 s9, s5, 0
	s_add_u32 s8, s8, 0xc4
	s_addc_u32 s9, s9, 0
	s_mul_i32 s10, s50, 12
	s_add_u32 s10, s4, s10
	s_addc_u32 s11, s5, 0
.LBB125_126:                            ; =>This Inner Loop Header: Depth=1
	s_load_dwordx2 s[14:15], s[10:11], 0x4
	s_load_dword s13, s[10:11], 0xc
	s_load_dword s16, s[8:9], 0x0
	s_add_u32 s10, s10, 12
	s_addc_u32 s11, s11, 0
	s_waitcnt lgkmcnt(0)
	v_mul_hi_u32 v1, s15, v2
	v_add_u32_e32 v1, v2, v1
	v_lshrrev_b32_e32 v1, s13, v1
	s_add_u32 s8, s8, 4
	v_mul_lo_u32 v3, v1, s14
	s_addc_u32 s9, s9, 0
	s_add_i32 s12, s12, -1
	v_sub_u32_e32 v3, v2, v3
	s_cmp_lg_u32 s12, 0
	v_mov_b32_e32 v2, v1
	v_mad_u64_u32 v[0:1], s[14:15], v3, s16, v[0:1]
	s_cbranch_scc1 .LBB125_126
.LBB125_127:
	s_cbranch_execnz .LBB125_130
.LBB125_128:
	s_waitcnt lgkmcnt(0)
	v_mul_hi_u32 v0, s1, v12
	v_add_u32_e32 v0, v12, v0
	v_lshrrev_b32_e32 v1, s2, v0
	v_mul_lo_u32 v0, v1, s0
	v_sub_u32_e32 v0, v12, v0
	s_andn2_b64 vcc, exec, s[34:35]
	v_mul_lo_u32 v0, v0, s28
	s_cbranch_vccnz .LBB125_130
; %bb.129:
	v_mul_hi_u32 v2, s30, v1
	v_add_u32_e32 v2, v1, v2
	v_lshrrev_b32_e32 v2, s31, v2
	v_mul_lo_u32 v2, v2, s3
	v_sub_u32_e32 v1, v1, v2
	v_mad_u64_u32 v[0:1], s[8:9], v1, s29, v[0:1]
.LBB125_130:
	s_waitcnt lgkmcnt(0)
	v_mov_b32_e32 v1, s47
	v_add_u32_e32 v12, 0x80, v12
	global_store_byte v0, v1, s[26:27]
	s_or_b64 exec, exec, s[40:41]
	v_cmp_gt_i32_e32 vcc, s48, v12
	s_and_saveexec_b64 s[40:41], vcc
	s_cbranch_execnz .LBB125_15
.LBB125_131:
	s_or_b64 exec, exec, s[40:41]
	v_cmp_gt_i32_e32 vcc, s48, v12
	s_and_saveexec_b64 s[40:41], vcc
	s_cbranch_execz .LBB125_147
.LBB125_132:
	s_andn2_b64 vcc, exec, s[6:7]
	s_cbranch_vccnz .LBB125_137
; %bb.133:
	s_andn2_b64 vcc, exec, s[38:39]
	s_cbranch_vccnz .LBB125_138
; %bb.134:
	s_add_i32 s51, s49, 1
	s_mov_b32 s50, 0
	s_cmp_eq_u32 s46, 2
	v_mov_b32_e32 v0, 0
	s_cbranch_scc1 .LBB125_155
; %bb.135:
	s_and_b32 s50, s51, 28
	s_mov_b32 s52, 0
	v_mov_b32_e32 v0, 0
	s_mov_b64 s[42:43], s[4:5]
	s_mov_b64 s[44:45], s[36:37]
	v_mov_b32_e32 v2, v12
.LBB125_136:                            ; =>This Inner Loop Header: Depth=1
	s_load_dwordx8 s[8:15], s[42:43], 0x4
	s_load_dwordx4 s[16:19], s[42:43], 0x24
	s_load_dwordx4 s[20:23], s[44:45], 0x0
	s_add_u32 s42, s42, 48
	s_addc_u32 s43, s43, 0
	s_waitcnt lgkmcnt(0)
	v_mul_hi_u32 v1, s9, v2
	v_add_u32_e32 v1, v2, v1
	v_lshrrev_b32_e32 v1, s10, v1
	v_mul_lo_u32 v3, v1, s8
	v_mul_hi_u32 v4, s12, v1
	v_sub_u32_e32 v2, v2, v3
	v_add_u32_e32 v3, v1, v4
	v_lshrrev_b32_e32 v3, s13, v3
	v_mul_lo_u32 v4, v3, s11
	v_mul_hi_u32 v5, s15, v3
	v_sub_u32_e32 v1, v1, v4
	v_add_u32_e32 v4, v3, v5
	v_mul_lo_u32 v2, v2, s20
	v_mul_lo_u32 v1, v1, s21
	v_lshrrev_b32_e32 v4, s16, v4
	v_add3_u32 v0, v2, v0, v1
	v_mul_hi_u32 v2, s18, v4
	v_add_u32_e32 v2, v4, v2
	v_mul_lo_u32 v1, v4, s14
	v_lshrrev_b32_e32 v2, s19, v2
	s_add_i32 s52, s52, 4
	v_sub_u32_e32 v1, v3, v1
	v_mul_lo_u32 v3, v2, s17
	s_add_u32 s44, s44, 16
	v_sub_u32_e32 v3, v4, v3
	s_addc_u32 s45, s45, 0
	v_mul_lo_u32 v1, v1, s22
	v_mul_lo_u32 v3, v3, s23
	s_cmp_eq_u32 s50, s52
	v_add3_u32 v0, v1, v0, v3
	s_cbranch_scc0 .LBB125_136
	s_branch .LBB125_156
.LBB125_137:
                                        ; implicit-def: $vgpr0
	s_branch .LBB125_160
.LBB125_138:
	v_mov_b32_e32 v0, 0
	s_branch .LBB125_159
.LBB125_139:
	v_mov_b32_e32 v2, v12
.LBB125_140:
	s_and_b32 s12, s51, 3
	s_cmp_eq_u32 s12, 0
	s_cbranch_scc1 .LBB125_143
; %bb.141:
	s_lshl_b32 s8, s50, 2
	s_add_u32 s8, s8, s4
	s_addc_u32 s9, s5, 0
	s_add_u32 s8, s8, 0xc4
	s_addc_u32 s9, s9, 0
	s_mul_i32 s10, s50, 12
	s_add_u32 s10, s4, s10
	s_addc_u32 s11, s5, 0
.LBB125_142:                            ; =>This Inner Loop Header: Depth=1
	s_load_dwordx2 s[14:15], s[10:11], 0x4
	s_load_dword s13, s[10:11], 0xc
	s_load_dword s16, s[8:9], 0x0
	s_add_u32 s10, s10, 12
	s_addc_u32 s11, s11, 0
	s_waitcnt lgkmcnt(0)
	v_mul_hi_u32 v1, s15, v2
	v_add_u32_e32 v1, v2, v1
	v_lshrrev_b32_e32 v1, s13, v1
	s_add_u32 s8, s8, 4
	v_mul_lo_u32 v3, v1, s14
	s_addc_u32 s9, s9, 0
	s_add_i32 s12, s12, -1
	v_sub_u32_e32 v3, v2, v3
	s_cmp_lg_u32 s12, 0
	v_mov_b32_e32 v2, v1
	v_mad_u64_u32 v[0:1], s[14:15], v3, s16, v[0:1]
	s_cbranch_scc1 .LBB125_142
.LBB125_143:
	s_cbranch_execnz .LBB125_146
.LBB125_144:
	s_waitcnt lgkmcnt(0)
	v_mul_hi_u32 v0, s1, v12
	v_add_u32_e32 v0, v12, v0
	v_lshrrev_b32_e32 v1, s2, v0
	v_mul_lo_u32 v0, v1, s0
	v_sub_u32_e32 v0, v12, v0
	s_andn2_b64 vcc, exec, s[34:35]
	v_mul_lo_u32 v0, v0, s28
	s_cbranch_vccnz .LBB125_146
; %bb.145:
	v_mul_hi_u32 v2, s30, v1
	v_add_u32_e32 v2, v1, v2
	v_lshrrev_b32_e32 v2, s31, v2
	v_mul_lo_u32 v2, v2, s3
	v_sub_u32_e32 v1, v1, v2
	v_mad_u64_u32 v[0:1], s[8:9], v1, s29, v[0:1]
.LBB125_146:
	s_waitcnt lgkmcnt(0)
	v_mov_b32_e32 v1, s47
	v_add_u32_e32 v12, 0x80, v12
	global_store_byte v0, v1, s[26:27]
	s_or_b64 exec, exec, s[40:41]
	v_cmp_gt_i32_e32 vcc, s48, v12
	s_and_saveexec_b64 s[40:41], vcc
	s_cbranch_execnz .LBB125_132
.LBB125_147:
	s_or_b64 exec, exec, s[40:41]
	v_cmp_gt_i32_e32 vcc, s48, v12
	s_and_saveexec_b64 s[40:41], vcc
	s_cbranch_execz .LBB125_163
.LBB125_148:
	s_andn2_b64 vcc, exec, s[6:7]
	s_cbranch_vccnz .LBB125_153
; %bb.149:
	s_andn2_b64 vcc, exec, s[38:39]
	s_cbranch_vccnz .LBB125_154
; %bb.150:
	s_add_i32 s51, s49, 1
	s_mov_b32 s50, 0
	s_cmp_eq_u32 s46, 2
	v_mov_b32_e32 v0, 0
	s_cbranch_scc1 .LBB125_171
; %bb.151:
	s_and_b32 s50, s51, 28
	s_mov_b32 s52, 0
	v_mov_b32_e32 v0, 0
	s_mov_b64 s[42:43], s[4:5]
	s_mov_b64 s[44:45], s[36:37]
	v_mov_b32_e32 v2, v12
.LBB125_152:                            ; =>This Inner Loop Header: Depth=1
	s_load_dwordx8 s[8:15], s[42:43], 0x4
	s_load_dwordx4 s[16:19], s[42:43], 0x24
	s_load_dwordx4 s[20:23], s[44:45], 0x0
	s_add_u32 s42, s42, 48
	s_addc_u32 s43, s43, 0
	s_waitcnt lgkmcnt(0)
	v_mul_hi_u32 v1, s9, v2
	v_add_u32_e32 v1, v2, v1
	v_lshrrev_b32_e32 v1, s10, v1
	v_mul_lo_u32 v3, v1, s8
	v_mul_hi_u32 v4, s12, v1
	v_sub_u32_e32 v2, v2, v3
	v_add_u32_e32 v3, v1, v4
	v_lshrrev_b32_e32 v3, s13, v3
	v_mul_lo_u32 v4, v3, s11
	v_mul_hi_u32 v5, s15, v3
	v_sub_u32_e32 v1, v1, v4
	v_add_u32_e32 v4, v3, v5
	v_mul_lo_u32 v2, v2, s20
	v_mul_lo_u32 v1, v1, s21
	v_lshrrev_b32_e32 v4, s16, v4
	v_add3_u32 v0, v2, v0, v1
	v_mul_hi_u32 v2, s18, v4
	v_add_u32_e32 v2, v4, v2
	v_mul_lo_u32 v1, v4, s14
	v_lshrrev_b32_e32 v2, s19, v2
	s_add_i32 s52, s52, 4
	v_sub_u32_e32 v1, v3, v1
	v_mul_lo_u32 v3, v2, s17
	s_add_u32 s44, s44, 16
	v_sub_u32_e32 v3, v4, v3
	s_addc_u32 s45, s45, 0
	v_mul_lo_u32 v1, v1, s22
	v_mul_lo_u32 v3, v3, s23
	s_cmp_eq_u32 s50, s52
	v_add3_u32 v0, v1, v0, v3
	s_cbranch_scc0 .LBB125_152
	s_branch .LBB125_172
.LBB125_153:
                                        ; implicit-def: $vgpr0
	s_branch .LBB125_176
.LBB125_154:
	v_mov_b32_e32 v0, 0
	s_branch .LBB125_175
.LBB125_155:
	v_mov_b32_e32 v2, v12
.LBB125_156:
	s_and_b32 s12, s51, 3
	s_cmp_eq_u32 s12, 0
	s_cbranch_scc1 .LBB125_159
; %bb.157:
	s_lshl_b32 s8, s50, 2
	s_add_u32 s8, s8, s4
	s_addc_u32 s9, s5, 0
	s_add_u32 s8, s8, 0xc4
	s_addc_u32 s9, s9, 0
	s_mul_i32 s10, s50, 12
	s_add_u32 s10, s4, s10
	s_addc_u32 s11, s5, 0
.LBB125_158:                            ; =>This Inner Loop Header: Depth=1
	s_load_dwordx2 s[14:15], s[10:11], 0x4
	s_load_dword s13, s[10:11], 0xc
	s_load_dword s16, s[8:9], 0x0
	s_add_u32 s10, s10, 12
	s_addc_u32 s11, s11, 0
	s_waitcnt lgkmcnt(0)
	v_mul_hi_u32 v1, s15, v2
	v_add_u32_e32 v1, v2, v1
	v_lshrrev_b32_e32 v1, s13, v1
	s_add_u32 s8, s8, 4
	v_mul_lo_u32 v3, v1, s14
	s_addc_u32 s9, s9, 0
	s_add_i32 s12, s12, -1
	v_sub_u32_e32 v3, v2, v3
	s_cmp_lg_u32 s12, 0
	v_mov_b32_e32 v2, v1
	v_mad_u64_u32 v[0:1], s[14:15], v3, s16, v[0:1]
	s_cbranch_scc1 .LBB125_158
.LBB125_159:
	s_cbranch_execnz .LBB125_162
.LBB125_160:
	s_waitcnt lgkmcnt(0)
	v_mul_hi_u32 v0, s1, v12
	v_add_u32_e32 v0, v12, v0
	v_lshrrev_b32_e32 v1, s2, v0
	v_mul_lo_u32 v0, v1, s0
	v_sub_u32_e32 v0, v12, v0
	s_andn2_b64 vcc, exec, s[34:35]
	v_mul_lo_u32 v0, v0, s28
	s_cbranch_vccnz .LBB125_162
; %bb.161:
	v_mul_hi_u32 v2, s30, v1
	v_add_u32_e32 v2, v1, v2
	v_lshrrev_b32_e32 v2, s31, v2
	v_mul_lo_u32 v2, v2, s3
	v_sub_u32_e32 v1, v1, v2
	v_mad_u64_u32 v[0:1], s[8:9], v1, s29, v[0:1]
.LBB125_162:
	s_waitcnt lgkmcnt(0)
	v_mov_b32_e32 v1, s47
	v_add_u32_e32 v12, 0x80, v12
	global_store_byte v0, v1, s[26:27]
	s_or_b64 exec, exec, s[40:41]
	v_cmp_gt_i32_e32 vcc, s48, v12
	s_and_saveexec_b64 s[40:41], vcc
	s_cbranch_execnz .LBB125_148
.LBB125_163:
	s_or_b64 exec, exec, s[40:41]
	v_cmp_gt_i32_e32 vcc, s48, v12
	s_and_saveexec_b64 s[40:41], vcc
	s_cbranch_execz .LBB125_179
.LBB125_164:
	s_andn2_b64 vcc, exec, s[6:7]
	s_cbranch_vccnz .LBB125_169
; %bb.165:
	s_andn2_b64 vcc, exec, s[38:39]
	s_cbranch_vccnz .LBB125_170
; %bb.166:
	s_add_i32 s51, s49, 1
	s_mov_b32 s50, 0
	s_cmp_eq_u32 s46, 2
	v_mov_b32_e32 v0, 0
	s_cbranch_scc1 .LBB125_187
; %bb.167:
	s_and_b32 s50, s51, 28
	s_mov_b32 s52, 0
	v_mov_b32_e32 v0, 0
	s_mov_b64 s[42:43], s[4:5]
	s_mov_b64 s[44:45], s[36:37]
	v_mov_b32_e32 v2, v12
.LBB125_168:                            ; =>This Inner Loop Header: Depth=1
	s_load_dwordx8 s[8:15], s[42:43], 0x4
	s_load_dwordx4 s[16:19], s[42:43], 0x24
	s_load_dwordx4 s[20:23], s[44:45], 0x0
	s_add_u32 s42, s42, 48
	s_addc_u32 s43, s43, 0
	s_waitcnt lgkmcnt(0)
	v_mul_hi_u32 v1, s9, v2
	v_add_u32_e32 v1, v2, v1
	v_lshrrev_b32_e32 v1, s10, v1
	v_mul_lo_u32 v3, v1, s8
	v_mul_hi_u32 v4, s12, v1
	v_sub_u32_e32 v2, v2, v3
	v_add_u32_e32 v3, v1, v4
	v_lshrrev_b32_e32 v3, s13, v3
	v_mul_lo_u32 v4, v3, s11
	v_mul_hi_u32 v5, s15, v3
	v_sub_u32_e32 v1, v1, v4
	v_add_u32_e32 v4, v3, v5
	v_mul_lo_u32 v2, v2, s20
	v_mul_lo_u32 v1, v1, s21
	v_lshrrev_b32_e32 v4, s16, v4
	v_add3_u32 v0, v2, v0, v1
	v_mul_hi_u32 v2, s18, v4
	v_add_u32_e32 v2, v4, v2
	v_mul_lo_u32 v1, v4, s14
	v_lshrrev_b32_e32 v2, s19, v2
	s_add_i32 s52, s52, 4
	v_sub_u32_e32 v1, v3, v1
	v_mul_lo_u32 v3, v2, s17
	s_add_u32 s44, s44, 16
	v_sub_u32_e32 v3, v4, v3
	s_addc_u32 s45, s45, 0
	v_mul_lo_u32 v1, v1, s22
	v_mul_lo_u32 v3, v3, s23
	s_cmp_eq_u32 s50, s52
	v_add3_u32 v0, v1, v0, v3
	s_cbranch_scc0 .LBB125_168
	s_branch .LBB125_188
.LBB125_169:
                                        ; implicit-def: $vgpr0
	s_branch .LBB125_192
.LBB125_170:
	v_mov_b32_e32 v0, 0
	s_branch .LBB125_191
.LBB125_171:
	v_mov_b32_e32 v2, v12
.LBB125_172:
	s_and_b32 s12, s51, 3
	s_cmp_eq_u32 s12, 0
	s_cbranch_scc1 .LBB125_175
; %bb.173:
	s_lshl_b32 s8, s50, 2
	s_add_u32 s8, s8, s4
	s_addc_u32 s9, s5, 0
	s_add_u32 s8, s8, 0xc4
	s_addc_u32 s9, s9, 0
	s_mul_i32 s10, s50, 12
	s_add_u32 s10, s4, s10
	s_addc_u32 s11, s5, 0
.LBB125_174:                            ; =>This Inner Loop Header: Depth=1
	s_load_dwordx2 s[14:15], s[10:11], 0x4
	s_load_dword s13, s[10:11], 0xc
	s_load_dword s16, s[8:9], 0x0
	s_add_u32 s10, s10, 12
	s_addc_u32 s11, s11, 0
	s_waitcnt lgkmcnt(0)
	v_mul_hi_u32 v1, s15, v2
	v_add_u32_e32 v1, v2, v1
	v_lshrrev_b32_e32 v1, s13, v1
	s_add_u32 s8, s8, 4
	v_mul_lo_u32 v3, v1, s14
	s_addc_u32 s9, s9, 0
	s_add_i32 s12, s12, -1
	v_sub_u32_e32 v3, v2, v3
	s_cmp_lg_u32 s12, 0
	v_mov_b32_e32 v2, v1
	v_mad_u64_u32 v[0:1], s[14:15], v3, s16, v[0:1]
	s_cbranch_scc1 .LBB125_174
.LBB125_175:
	s_cbranch_execnz .LBB125_178
.LBB125_176:
	s_waitcnt lgkmcnt(0)
	v_mul_hi_u32 v0, s1, v12
	v_add_u32_e32 v0, v12, v0
	v_lshrrev_b32_e32 v1, s2, v0
	v_mul_lo_u32 v0, v1, s0
	v_sub_u32_e32 v0, v12, v0
	s_andn2_b64 vcc, exec, s[34:35]
	v_mul_lo_u32 v0, v0, s28
	s_cbranch_vccnz .LBB125_178
; %bb.177:
	v_mul_hi_u32 v2, s30, v1
	v_add_u32_e32 v2, v1, v2
	v_lshrrev_b32_e32 v2, s31, v2
	v_mul_lo_u32 v2, v2, s3
	v_sub_u32_e32 v1, v1, v2
	v_mad_u64_u32 v[0:1], s[8:9], v1, s29, v[0:1]
.LBB125_178:
	s_waitcnt lgkmcnt(0)
	v_mov_b32_e32 v1, s47
	v_add_u32_e32 v12, 0x80, v12
	global_store_byte v0, v1, s[26:27]
	s_or_b64 exec, exec, s[40:41]
	v_cmp_gt_i32_e32 vcc, s48, v12
	s_and_saveexec_b64 s[40:41], vcc
	s_cbranch_execnz .LBB125_164
.LBB125_179:
	s_or_b64 exec, exec, s[40:41]
	v_cmp_gt_i32_e32 vcc, s48, v12
	s_and_saveexec_b64 s[40:41], vcc
	s_cbranch_execz .LBB125_195
.LBB125_180:
	s_andn2_b64 vcc, exec, s[6:7]
	s_cbranch_vccnz .LBB125_185
; %bb.181:
	s_andn2_b64 vcc, exec, s[38:39]
	s_cbranch_vccnz .LBB125_186
; %bb.182:
	s_add_i32 s51, s49, 1
	s_mov_b32 s50, 0
	s_cmp_eq_u32 s46, 2
	v_mov_b32_e32 v0, 0
	s_cbranch_scc1 .LBB125_203
; %bb.183:
	s_and_b32 s50, s51, 28
	s_mov_b32 s52, 0
	v_mov_b32_e32 v0, 0
	s_mov_b64 s[42:43], s[4:5]
	s_mov_b64 s[44:45], s[36:37]
	v_mov_b32_e32 v2, v12
.LBB125_184:                            ; =>This Inner Loop Header: Depth=1
	s_load_dwordx8 s[8:15], s[42:43], 0x4
	s_load_dwordx4 s[16:19], s[42:43], 0x24
	s_load_dwordx4 s[20:23], s[44:45], 0x0
	s_add_u32 s42, s42, 48
	s_addc_u32 s43, s43, 0
	s_waitcnt lgkmcnt(0)
	v_mul_hi_u32 v1, s9, v2
	v_add_u32_e32 v1, v2, v1
	v_lshrrev_b32_e32 v1, s10, v1
	v_mul_lo_u32 v3, v1, s8
	v_mul_hi_u32 v4, s12, v1
	v_sub_u32_e32 v2, v2, v3
	v_add_u32_e32 v3, v1, v4
	v_lshrrev_b32_e32 v3, s13, v3
	v_mul_lo_u32 v4, v3, s11
	v_mul_hi_u32 v5, s15, v3
	v_sub_u32_e32 v1, v1, v4
	v_add_u32_e32 v4, v3, v5
	v_mul_lo_u32 v2, v2, s20
	v_mul_lo_u32 v1, v1, s21
	v_lshrrev_b32_e32 v4, s16, v4
	v_add3_u32 v0, v2, v0, v1
	v_mul_hi_u32 v2, s18, v4
	v_add_u32_e32 v2, v4, v2
	v_mul_lo_u32 v1, v4, s14
	v_lshrrev_b32_e32 v2, s19, v2
	s_add_i32 s52, s52, 4
	v_sub_u32_e32 v1, v3, v1
	v_mul_lo_u32 v3, v2, s17
	s_add_u32 s44, s44, 16
	v_sub_u32_e32 v3, v4, v3
	s_addc_u32 s45, s45, 0
	v_mul_lo_u32 v1, v1, s22
	v_mul_lo_u32 v3, v3, s23
	s_cmp_eq_u32 s50, s52
	v_add3_u32 v0, v1, v0, v3
	s_cbranch_scc0 .LBB125_184
	s_branch .LBB125_204
.LBB125_185:
                                        ; implicit-def: $vgpr0
	s_branch .LBB125_208
.LBB125_186:
	v_mov_b32_e32 v0, 0
	s_branch .LBB125_207
.LBB125_187:
	v_mov_b32_e32 v2, v12
.LBB125_188:
	s_and_b32 s12, s51, 3
	s_cmp_eq_u32 s12, 0
	s_cbranch_scc1 .LBB125_191
; %bb.189:
	s_lshl_b32 s8, s50, 2
	s_add_u32 s8, s8, s4
	s_addc_u32 s9, s5, 0
	s_add_u32 s8, s8, 0xc4
	s_addc_u32 s9, s9, 0
	s_mul_i32 s10, s50, 12
	s_add_u32 s10, s4, s10
	s_addc_u32 s11, s5, 0
.LBB125_190:                            ; =>This Inner Loop Header: Depth=1
	s_load_dwordx2 s[14:15], s[10:11], 0x4
	s_load_dword s13, s[10:11], 0xc
	s_load_dword s16, s[8:9], 0x0
	s_add_u32 s10, s10, 12
	s_addc_u32 s11, s11, 0
	s_waitcnt lgkmcnt(0)
	v_mul_hi_u32 v1, s15, v2
	v_add_u32_e32 v1, v2, v1
	v_lshrrev_b32_e32 v1, s13, v1
	s_add_u32 s8, s8, 4
	v_mul_lo_u32 v3, v1, s14
	s_addc_u32 s9, s9, 0
	s_add_i32 s12, s12, -1
	v_sub_u32_e32 v3, v2, v3
	s_cmp_lg_u32 s12, 0
	v_mov_b32_e32 v2, v1
	v_mad_u64_u32 v[0:1], s[14:15], v3, s16, v[0:1]
	s_cbranch_scc1 .LBB125_190
.LBB125_191:
	s_cbranch_execnz .LBB125_194
.LBB125_192:
	s_waitcnt lgkmcnt(0)
	v_mul_hi_u32 v0, s1, v12
	v_add_u32_e32 v0, v12, v0
	v_lshrrev_b32_e32 v1, s2, v0
	v_mul_lo_u32 v0, v1, s0
	v_sub_u32_e32 v0, v12, v0
	s_andn2_b64 vcc, exec, s[34:35]
	v_mul_lo_u32 v0, v0, s28
	s_cbranch_vccnz .LBB125_194
; %bb.193:
	v_mul_hi_u32 v2, s30, v1
	v_add_u32_e32 v2, v1, v2
	v_lshrrev_b32_e32 v2, s31, v2
	v_mul_lo_u32 v2, v2, s3
	v_sub_u32_e32 v1, v1, v2
	v_mad_u64_u32 v[0:1], s[8:9], v1, s29, v[0:1]
.LBB125_194:
	s_waitcnt lgkmcnt(0)
	v_mov_b32_e32 v1, s47
	v_add_u32_e32 v12, 0x80, v12
	global_store_byte v0, v1, s[26:27]
	s_or_b64 exec, exec, s[40:41]
	v_cmp_gt_i32_e32 vcc, s48, v12
	s_and_saveexec_b64 s[40:41], vcc
	s_cbranch_execnz .LBB125_180
.LBB125_195:
	s_or_b64 exec, exec, s[40:41]
	v_cmp_gt_i32_e32 vcc, s48, v12
	s_and_saveexec_b64 s[40:41], vcc
	s_cbranch_execz .LBB125_211
.LBB125_196:
	s_andn2_b64 vcc, exec, s[6:7]
	s_cbranch_vccnz .LBB125_201
; %bb.197:
	s_andn2_b64 vcc, exec, s[38:39]
	s_cbranch_vccnz .LBB125_202
; %bb.198:
	s_add_i32 s51, s49, 1
	s_mov_b32 s50, 0
	s_cmp_eq_u32 s46, 2
	v_mov_b32_e32 v0, 0
	s_cbranch_scc1 .LBB125_214
; %bb.199:
	s_and_b32 s50, s51, 28
	s_mov_b32 s52, 0
	v_mov_b32_e32 v0, 0
	s_mov_b64 s[42:43], s[4:5]
	s_mov_b64 s[44:45], s[36:37]
	v_mov_b32_e32 v2, v12
.LBB125_200:                            ; =>This Inner Loop Header: Depth=1
	s_load_dwordx8 s[8:15], s[42:43], 0x4
	s_load_dwordx4 s[16:19], s[42:43], 0x24
	s_load_dwordx4 s[20:23], s[44:45], 0x0
	s_add_u32 s42, s42, 48
	s_addc_u32 s43, s43, 0
	s_waitcnt lgkmcnt(0)
	v_mul_hi_u32 v1, s9, v2
	v_add_u32_e32 v1, v2, v1
	v_lshrrev_b32_e32 v1, s10, v1
	v_mul_lo_u32 v3, v1, s8
	v_mul_hi_u32 v4, s12, v1
	v_sub_u32_e32 v2, v2, v3
	v_add_u32_e32 v3, v1, v4
	v_lshrrev_b32_e32 v3, s13, v3
	v_mul_lo_u32 v4, v3, s11
	v_mul_hi_u32 v5, s15, v3
	v_sub_u32_e32 v1, v1, v4
	v_add_u32_e32 v4, v3, v5
	v_mul_lo_u32 v2, v2, s20
	v_mul_lo_u32 v1, v1, s21
	v_lshrrev_b32_e32 v4, s16, v4
	v_add3_u32 v0, v2, v0, v1
	v_mul_hi_u32 v2, s18, v4
	v_add_u32_e32 v2, v4, v2
	v_mul_lo_u32 v1, v4, s14
	v_lshrrev_b32_e32 v2, s19, v2
	s_add_i32 s52, s52, 4
	v_sub_u32_e32 v1, v3, v1
	v_mul_lo_u32 v3, v2, s17
	s_add_u32 s44, s44, 16
	v_sub_u32_e32 v3, v4, v3
	s_addc_u32 s45, s45, 0
	v_mul_lo_u32 v1, v1, s22
	v_mul_lo_u32 v3, v3, s23
	s_cmp_eq_u32 s50, s52
	v_add3_u32 v0, v1, v0, v3
	s_cbranch_scc0 .LBB125_200
	s_branch .LBB125_215
.LBB125_201:
                                        ; implicit-def: $vgpr0
	s_branch .LBB125_219
.LBB125_202:
	v_mov_b32_e32 v0, 0
	s_branch .LBB125_218
.LBB125_203:
	v_mov_b32_e32 v2, v12
.LBB125_204:
	s_and_b32 s12, s51, 3
	s_cmp_eq_u32 s12, 0
	s_cbranch_scc1 .LBB125_207
; %bb.205:
	s_lshl_b32 s8, s50, 2
	s_add_u32 s8, s8, s4
	s_addc_u32 s9, s5, 0
	s_add_u32 s8, s8, 0xc4
	s_addc_u32 s9, s9, 0
	s_mul_i32 s10, s50, 12
	s_add_u32 s10, s4, s10
	s_addc_u32 s11, s5, 0
.LBB125_206:                            ; =>This Inner Loop Header: Depth=1
	s_load_dwordx2 s[14:15], s[10:11], 0x4
	s_load_dword s13, s[10:11], 0xc
	s_load_dword s16, s[8:9], 0x0
	s_add_u32 s10, s10, 12
	s_addc_u32 s11, s11, 0
	s_waitcnt lgkmcnt(0)
	v_mul_hi_u32 v1, s15, v2
	v_add_u32_e32 v1, v2, v1
	v_lshrrev_b32_e32 v1, s13, v1
	s_add_u32 s8, s8, 4
	v_mul_lo_u32 v3, v1, s14
	s_addc_u32 s9, s9, 0
	s_add_i32 s12, s12, -1
	v_sub_u32_e32 v3, v2, v3
	s_cmp_lg_u32 s12, 0
	v_mov_b32_e32 v2, v1
	v_mad_u64_u32 v[0:1], s[14:15], v3, s16, v[0:1]
	s_cbranch_scc1 .LBB125_206
.LBB125_207:
	s_cbranch_execnz .LBB125_210
.LBB125_208:
	s_waitcnt lgkmcnt(0)
	v_mul_hi_u32 v0, s1, v12
	v_add_u32_e32 v0, v12, v0
	v_lshrrev_b32_e32 v1, s2, v0
	v_mul_lo_u32 v0, v1, s0
	v_sub_u32_e32 v0, v12, v0
	s_andn2_b64 vcc, exec, s[34:35]
	v_mul_lo_u32 v0, v0, s28
	s_cbranch_vccnz .LBB125_210
; %bb.209:
	v_mul_hi_u32 v2, s30, v1
	v_add_u32_e32 v2, v1, v2
	v_lshrrev_b32_e32 v2, s31, v2
	v_mul_lo_u32 v2, v2, s3
	v_sub_u32_e32 v1, v1, v2
	v_mad_u64_u32 v[0:1], s[8:9], v1, s29, v[0:1]
.LBB125_210:
	s_waitcnt lgkmcnt(0)
	v_mov_b32_e32 v1, s47
	v_add_u32_e32 v12, 0x80, v12
	global_store_byte v0, v1, s[26:27]
	s_or_b64 exec, exec, s[40:41]
	v_cmp_gt_i32_e32 vcc, s48, v12
	s_and_saveexec_b64 s[40:41], vcc
	s_cbranch_execnz .LBB125_196
.LBB125_211:
	s_or_b64 exec, exec, s[40:41]
	v_cmp_gt_i32_e32 vcc, s48, v12
	s_and_saveexec_b64 s[40:41], vcc
	s_cbranch_execnz .LBB125_222
.LBB125_212:
	s_or_b64 exec, exec, s[40:41]
                                        ; implicit-def: $vgpr16
                                        ; implicit-def: $vgpr12
	s_waitcnt lgkmcnt(0)
	s_andn2_saveexec_b64 s[0:1], s[24:25]
	s_cbranch_execnz .LBB125_8
.LBB125_213:
	s_endpgm
.LBB125_214:
	v_mov_b32_e32 v2, v12
.LBB125_215:
	s_and_b32 s12, s51, 3
	s_cmp_eq_u32 s12, 0
	s_cbranch_scc1 .LBB125_218
; %bb.216:
	s_lshl_b32 s8, s50, 2
	s_add_u32 s8, s8, s4
	s_addc_u32 s9, s5, 0
	s_add_u32 s8, s8, 0xc4
	s_addc_u32 s9, s9, 0
	s_mul_i32 s10, s50, 12
	s_add_u32 s10, s4, s10
	s_addc_u32 s11, s5, 0
.LBB125_217:                            ; =>This Inner Loop Header: Depth=1
	s_load_dwordx2 s[14:15], s[10:11], 0x4
	s_load_dword s13, s[10:11], 0xc
	s_load_dword s16, s[8:9], 0x0
	s_add_u32 s10, s10, 12
	s_addc_u32 s11, s11, 0
	s_waitcnt lgkmcnt(0)
	v_mul_hi_u32 v1, s15, v2
	v_add_u32_e32 v1, v2, v1
	v_lshrrev_b32_e32 v1, s13, v1
	s_add_u32 s8, s8, 4
	v_mul_lo_u32 v3, v1, s14
	s_addc_u32 s9, s9, 0
	s_add_i32 s12, s12, -1
	v_sub_u32_e32 v3, v2, v3
	s_cmp_lg_u32 s12, 0
	v_mov_b32_e32 v2, v1
	v_mad_u64_u32 v[0:1], s[14:15], v3, s16, v[0:1]
	s_cbranch_scc1 .LBB125_217
.LBB125_218:
	s_cbranch_execnz .LBB125_221
.LBB125_219:
	s_waitcnt lgkmcnt(0)
	v_mul_hi_u32 v0, s1, v12
	v_add_u32_e32 v0, v12, v0
	v_lshrrev_b32_e32 v1, s2, v0
	v_mul_lo_u32 v0, v1, s0
	v_sub_u32_e32 v0, v12, v0
	s_andn2_b64 vcc, exec, s[34:35]
	v_mul_lo_u32 v0, v0, s28
	s_cbranch_vccnz .LBB125_221
; %bb.220:
	v_mul_hi_u32 v2, s30, v1
	v_add_u32_e32 v2, v1, v2
	v_lshrrev_b32_e32 v2, s31, v2
	v_mul_lo_u32 v2, v2, s3
	v_sub_u32_e32 v1, v1, v2
	v_mad_u64_u32 v[0:1], s[8:9], v1, s29, v[0:1]
.LBB125_221:
	s_waitcnt lgkmcnt(0)
	v_mov_b32_e32 v1, s47
	v_add_u32_e32 v12, 0x80, v12
	global_store_byte v0, v1, s[26:27]
	s_or_b64 exec, exec, s[40:41]
	v_cmp_gt_i32_e32 vcc, s48, v12
	s_and_saveexec_b64 s[40:41], vcc
	s_cbranch_execz .LBB125_212
.LBB125_222:
	s_andn2_b64 vcc, exec, s[6:7]
	s_cbranch_vccnz .LBB125_227
; %bb.223:
	s_andn2_b64 vcc, exec, s[38:39]
	s_cbranch_vccnz .LBB125_228
; %bb.224:
	s_add_i32 s49, s49, 1
	s_mov_b32 s42, 0
	s_cmp_eq_u32 s46, 2
	v_mov_b32_e32 v0, 0
	s_cbranch_scc1 .LBB125_229
; %bb.225:
	s_and_b32 s42, s49, 28
	s_mov_b32 s43, 0
	v_mov_b32_e32 v0, 0
	s_mov_b64 s[38:39], s[4:5]
	v_mov_b32_e32 v2, v12
.LBB125_226:                            ; =>This Inner Loop Header: Depth=1
	s_load_dwordx8 s[8:15], s[38:39], 0x4
	s_load_dwordx4 s[16:19], s[38:39], 0x24
	s_load_dwordx4 s[20:23], s[36:37], 0x0
	s_add_u32 s38, s38, 48
	s_addc_u32 s39, s39, 0
	s_waitcnt lgkmcnt(0)
	v_mul_hi_u32 v1, s9, v2
	v_add_u32_e32 v1, v2, v1
	v_lshrrev_b32_e32 v1, s10, v1
	v_mul_lo_u32 v3, v1, s8
	v_mul_hi_u32 v4, s12, v1
	v_sub_u32_e32 v2, v2, v3
	v_add_u32_e32 v3, v1, v4
	v_lshrrev_b32_e32 v3, s13, v3
	v_mul_lo_u32 v4, v3, s11
	v_mul_hi_u32 v5, s15, v3
	v_sub_u32_e32 v1, v1, v4
	v_add_u32_e32 v4, v3, v5
	v_mul_lo_u32 v2, v2, s20
	v_mul_lo_u32 v1, v1, s21
	v_lshrrev_b32_e32 v4, s16, v4
	v_add3_u32 v0, v2, v0, v1
	v_mul_hi_u32 v2, s18, v4
	v_add_u32_e32 v2, v4, v2
	v_mul_lo_u32 v1, v4, s14
	v_lshrrev_b32_e32 v2, s19, v2
	s_add_i32 s43, s43, 4
	v_sub_u32_e32 v1, v3, v1
	v_mul_lo_u32 v3, v2, s17
	s_add_u32 s36, s36, 16
	v_sub_u32_e32 v3, v4, v3
	s_addc_u32 s37, s37, 0
	v_mul_lo_u32 v1, v1, s22
	v_mul_lo_u32 v3, v3, s23
	s_cmp_eq_u32 s42, s43
	v_add3_u32 v0, v1, v0, v3
	s_cbranch_scc0 .LBB125_226
	s_branch .LBB125_230
.LBB125_227:
                                        ; implicit-def: $vgpr0
	s_branch .LBB125_234
.LBB125_228:
	v_mov_b32_e32 v0, 0
	s_branch .LBB125_233
.LBB125_229:
	v_mov_b32_e32 v2, v12
.LBB125_230:
	s_and_b32 s12, s49, 3
	s_cmp_eq_u32 s12, 0
	s_cbranch_scc1 .LBB125_233
; %bb.231:
	s_lshl_b32 s8, s42, 2
	s_add_u32 s8, s8, s4
	s_addc_u32 s9, s5, 0
	s_add_u32 s8, s8, 0xc4
	s_addc_u32 s9, s9, 0
	s_mul_i32 s10, s42, 12
	s_add_u32 s10, s4, s10
	s_addc_u32 s11, s5, 0
.LBB125_232:                            ; =>This Inner Loop Header: Depth=1
	s_load_dwordx2 s[14:15], s[10:11], 0x4
	s_load_dword s13, s[10:11], 0xc
	s_load_dword s16, s[8:9], 0x0
	s_add_u32 s10, s10, 12
	s_addc_u32 s11, s11, 0
	s_waitcnt lgkmcnt(0)
	v_mul_hi_u32 v1, s15, v2
	v_add_u32_e32 v1, v2, v1
	v_lshrrev_b32_e32 v1, s13, v1
	s_add_u32 s8, s8, 4
	v_mul_lo_u32 v3, v1, s14
	s_addc_u32 s9, s9, 0
	s_add_i32 s12, s12, -1
	v_sub_u32_e32 v3, v2, v3
	s_cmp_lg_u32 s12, 0
	v_mov_b32_e32 v2, v1
	v_mad_u64_u32 v[0:1], s[14:15], v3, s16, v[0:1]
	s_cbranch_scc1 .LBB125_232
.LBB125_233:
	s_cbranch_execnz .LBB125_236
.LBB125_234:
	s_waitcnt lgkmcnt(0)
	v_mul_hi_u32 v0, s1, v12
	v_add_u32_e32 v0, v12, v0
	v_lshrrev_b32_e32 v1, s2, v0
	v_mul_lo_u32 v0, v1, s0
	v_sub_u32_e32 v0, v12, v0
	s_andn2_b64 vcc, exec, s[34:35]
	v_mul_lo_u32 v0, v0, s28
	s_cbranch_vccnz .LBB125_236
; %bb.235:
	v_mul_hi_u32 v2, s30, v1
	v_add_u32_e32 v2, v1, v2
	v_lshrrev_b32_e32 v2, s31, v2
	v_mul_lo_u32 v2, v2, s3
	v_sub_u32_e32 v1, v1, v2
	v_mad_u64_u32 v[0:1], s[0:1], v1, s29, v[0:1]
.LBB125_236:
	s_waitcnt lgkmcnt(0)
	v_mov_b32_e32 v1, s47
	global_store_byte v0, v1, s[26:27]
	s_or_b64 exec, exec, s[40:41]
                                        ; implicit-def: $vgpr16
                                        ; implicit-def: $vgpr12
	s_andn2_saveexec_b64 s[0:1], s[24:25]
	s_cbranch_execz .LBB125_213
	s_branch .LBB125_8
	.section	.rodata,"a",@progbits
	.p2align	6, 0x0
	.amdhsa_kernel _ZN2at6native32elementwise_kernel_manual_unrollILi128ELi8EZNS0_22gpu_kernel_impl_nocastINS0_11FillFunctorIN3c1015Float8_e5m2fnuzEEEEEvRNS_18TensorIteratorBaseERKT_EUlibE_EEviT1_
		.amdhsa_group_segment_fixed_size 0
		.amdhsa_private_segment_fixed_size 0
		.amdhsa_kernarg_size 288
		.amdhsa_user_sgpr_count 6
		.amdhsa_user_sgpr_private_segment_buffer 1
		.amdhsa_user_sgpr_dispatch_ptr 0
		.amdhsa_user_sgpr_queue_ptr 0
		.amdhsa_user_sgpr_kernarg_segment_ptr 1
		.amdhsa_user_sgpr_dispatch_id 0
		.amdhsa_user_sgpr_flat_scratch_init 0
		.amdhsa_user_sgpr_kernarg_preload_length 0
		.amdhsa_user_sgpr_kernarg_preload_offset 0
		.amdhsa_user_sgpr_private_segment_size 0
		.amdhsa_uses_dynamic_stack 0
		.amdhsa_system_sgpr_private_segment_wavefront_offset 0
		.amdhsa_system_sgpr_workgroup_id_x 1
		.amdhsa_system_sgpr_workgroup_id_y 0
		.amdhsa_system_sgpr_workgroup_id_z 0
		.amdhsa_system_sgpr_workgroup_info 0
		.amdhsa_system_vgpr_workitem_id 0
		.amdhsa_next_free_vgpr 17
		.amdhsa_next_free_sgpr 53
		.amdhsa_accum_offset 20
		.amdhsa_reserve_vcc 1
		.amdhsa_reserve_flat_scratch 0
		.amdhsa_float_round_mode_32 0
		.amdhsa_float_round_mode_16_64 0
		.amdhsa_float_denorm_mode_32 3
		.amdhsa_float_denorm_mode_16_64 3
		.amdhsa_dx10_clamp 1
		.amdhsa_ieee_mode 1
		.amdhsa_fp16_overflow 0
		.amdhsa_tg_split 0
		.amdhsa_exception_fp_ieee_invalid_op 0
		.amdhsa_exception_fp_denorm_src 0
		.amdhsa_exception_fp_ieee_div_zero 0
		.amdhsa_exception_fp_ieee_overflow 0
		.amdhsa_exception_fp_ieee_underflow 0
		.amdhsa_exception_fp_ieee_inexact 0
		.amdhsa_exception_int_div_zero 0
	.end_amdhsa_kernel
	.section	.text._ZN2at6native32elementwise_kernel_manual_unrollILi128ELi8EZNS0_22gpu_kernel_impl_nocastINS0_11FillFunctorIN3c1015Float8_e5m2fnuzEEEEEvRNS_18TensorIteratorBaseERKT_EUlibE_EEviT1_,"axG",@progbits,_ZN2at6native32elementwise_kernel_manual_unrollILi128ELi8EZNS0_22gpu_kernel_impl_nocastINS0_11FillFunctorIN3c1015Float8_e5m2fnuzEEEEEvRNS_18TensorIteratorBaseERKT_EUlibE_EEviT1_,comdat
.Lfunc_end125:
	.size	_ZN2at6native32elementwise_kernel_manual_unrollILi128ELi8EZNS0_22gpu_kernel_impl_nocastINS0_11FillFunctorIN3c1015Float8_e5m2fnuzEEEEEvRNS_18TensorIteratorBaseERKT_EUlibE_EEviT1_, .Lfunc_end125-_ZN2at6native32elementwise_kernel_manual_unrollILi128ELi8EZNS0_22gpu_kernel_impl_nocastINS0_11FillFunctorIN3c1015Float8_e5m2fnuzEEEEEvRNS_18TensorIteratorBaseERKT_EUlibE_EEviT1_
                                        ; -- End function
	.section	.AMDGPU.csdata,"",@progbits
; Kernel info:
; codeLenInByte = 9664
; NumSgprs: 57
; NumVgprs: 17
; NumAgprs: 0
; TotalNumVgprs: 17
; ScratchSize: 0
; MemoryBound: 0
; FloatMode: 240
; IeeeMode: 1
; LDSByteSize: 0 bytes/workgroup (compile time only)
; SGPRBlocks: 7
; VGPRBlocks: 2
; NumSGPRsForWavesPerEU: 57
; NumVGPRsForWavesPerEU: 17
; AccumOffset: 20
; Occupancy: 8
; WaveLimiterHint : 1
; COMPUTE_PGM_RSRC2:SCRATCH_EN: 0
; COMPUTE_PGM_RSRC2:USER_SGPR: 6
; COMPUTE_PGM_RSRC2:TRAP_HANDLER: 0
; COMPUTE_PGM_RSRC2:TGID_X_EN: 1
; COMPUTE_PGM_RSRC2:TGID_Y_EN: 0
; COMPUTE_PGM_RSRC2:TGID_Z_EN: 0
; COMPUTE_PGM_RSRC2:TIDIG_COMP_CNT: 0
; COMPUTE_PGM_RSRC3_GFX90A:ACCUM_OFFSET: 4
; COMPUTE_PGM_RSRC3_GFX90A:TG_SPLIT: 0
	.section	.text._ZN2at6native32elementwise_kernel_manual_unrollILi128ELi4EZNS0_15gpu_kernel_implINS0_11FillFunctorIN3c1015Float8_e5m2fnuzEEEEEvRNS_18TensorIteratorBaseERKT_EUlibE_EEviT1_,"axG",@progbits,_ZN2at6native32elementwise_kernel_manual_unrollILi128ELi4EZNS0_15gpu_kernel_implINS0_11FillFunctorIN3c1015Float8_e5m2fnuzEEEEEvRNS_18TensorIteratorBaseERKT_EUlibE_EEviT1_,comdat
	.protected	_ZN2at6native32elementwise_kernel_manual_unrollILi128ELi4EZNS0_15gpu_kernel_implINS0_11FillFunctorIN3c1015Float8_e5m2fnuzEEEEEvRNS_18TensorIteratorBaseERKT_EUlibE_EEviT1_ ; -- Begin function _ZN2at6native32elementwise_kernel_manual_unrollILi128ELi4EZNS0_15gpu_kernel_implINS0_11FillFunctorIN3c1015Float8_e5m2fnuzEEEEEvRNS_18TensorIteratorBaseERKT_EUlibE_EEviT1_
	.globl	_ZN2at6native32elementwise_kernel_manual_unrollILi128ELi4EZNS0_15gpu_kernel_implINS0_11FillFunctorIN3c1015Float8_e5m2fnuzEEEEEvRNS_18TensorIteratorBaseERKT_EUlibE_EEviT1_
	.p2align	8
	.type	_ZN2at6native32elementwise_kernel_manual_unrollILi128ELi4EZNS0_15gpu_kernel_implINS0_11FillFunctorIN3c1015Float8_e5m2fnuzEEEEEvRNS_18TensorIteratorBaseERKT_EUlibE_EEviT1_,@function
_ZN2at6native32elementwise_kernel_manual_unrollILi128ELi4EZNS0_15gpu_kernel_implINS0_11FillFunctorIN3c1015Float8_e5m2fnuzEEEEEvRNS_18TensorIteratorBaseERKT_EUlibE_EEviT1_: ; @_ZN2at6native32elementwise_kernel_manual_unrollILi128ELi4EZNS0_15gpu_kernel_implINS0_11FillFunctorIN3c1015Float8_e5m2fnuzEEEEEvRNS_18TensorIteratorBaseERKT_EUlibE_EEviT1_
; %bb.0:
	s_load_dwordx4 s[8:11], s[4:5], 0x8
	s_load_dword s30, s[4:5], 0x0
	v_lshl_or_b32 v16, s6, 9, v0
	v_or_b32_e32 v0, 0x180, v16
	s_mov_b64 s[0:1], 0
	s_waitcnt lgkmcnt(0)
	v_lshrrev_b16_e64 v12, 8, s11
	v_cmp_le_i32_e32 vcc, s30, v0
	s_mov_b64 s[2:3], 0
	s_and_saveexec_b64 s[4:5], vcc
	s_xor_b64 s[4:5], exec, s[4:5]
	s_cbranch_execz .LBB126_1242
; %bb.1:
	s_and_b32 s3, s11, 3
	s_flbit_i32_b32 s7, s3
	s_min_u32 s7, s7, 32
	v_lshrrev_b16_e64 v0, 2, s11
	s_sub_i32 s12, s7, 29
	v_readfirstlane_b32 s6, v0
	s_lshl_b32 s12, s11, s12
	s_lshl_b32 s2, s11, 24
	s_and_b32 s6, s6, 31
	s_sub_i32 s7, 30, s7
	s_and_b32 s12, s12, 3
	s_cmp_eq_u32 s6, 0
	s_cselect_b32 s6, s7, s6
	s_cselect_b32 s3, s12, s3
	s_lshl_b32 s6, s6, 23
	s_and_b32 s2, s2, 0x80000000
	s_add_i32 s6, s6, 0x37800000
	s_lshl_b32 s3, s3, 21
	s_or_b32 s2, s2, s6
	s_or_b32 s33, s2, s3
	v_trunc_f32_e32 v0, s33
	v_mul_f32_e32 v1, 0x2f800000, v0
	s_mov_b32 s7, 0x2f800000
	v_floor_f32_e32 v1, v1
	v_mov_b32_e32 v2, v0
	v_fmac_f32_e32 v2, 0xcf800000, v1
	v_cvt_u32_f32_e32 v9, v1
	v_mul_f32_e64 v1, |v0|, s7
	s_mov_b32 s12, 0xcf800000
	v_floor_f32_e32 v1, v1
	v_cvt_u32_f32_e32 v8, v2
	v_fma_f32 v2, v1, s12, |v0|
	v_cvt_u32_f32_e32 v2, v2
	v_cvt_u32_f32_e32 v1, v1
	v_ashrrev_i32_e32 v0, 31, v0
	v_cvt_u32_f32_e32 v15, s33
	s_and_b32 s2, s6, 0x7f800000
	v_cvt_f16_f32_e32 v14, s33
	v_xor_b32_e32 v2, v2, v0
	v_cvt_i32_f32_e32 v13, s33
	s_or_b32 s34, s3, s6
	s_or_b32 s2, s2, s3
	v_xor_b32_e32 v1, v1, v0
	v_sub_co_u32_e32 v4, vcc, v2, v0
	s_cmp_lg_u32 s2, 0
	v_subb_co_u32_e32 v5, vcc, v1, v0, vcc
	s_cselect_b64 s[2:3], -1, 0
	v_cvt_f64_f32_e32 v[6:7], s33
	v_cmp_gt_i32_e32 vcc, s30, v16
	s_mov_b64 s[14:15], -1
	s_mov_b64 s[16:17], 0
	s_mov_b64 s[6:7], 0
	s_and_saveexec_b64 s[12:13], vcc
	s_cbranch_execz .LBB126_310
; %bb.2:
	v_mul_lo_u32 v0, v16, s10
	v_ashrrev_i32_e32 v1, 31, v0
	v_mov_b32_e32 v2, s9
	v_add_co_u32_e32 v10, vcc, s8, v0
	v_addc_co_u32_e32 v11, vcc, v2, v1, vcc
	v_cmp_gt_i16_e32 vcc, 11, v12
	s_cbranch_vccnz .LBB126_11
; %bb.3:
	v_cmp_lt_i16_e32 vcc, 25, v12
	s_cbranch_vccz .LBB126_14
; %bb.4:
	v_cmp_lt_i16_e32 vcc, 28, v12
	s_cbranch_vccz .LBB126_15
	;; [unrolled: 3-line block ×4, first 2 shown]
; %bb.7:
	v_cmp_eq_u16_e32 vcc, 46, v12
	s_mov_b64 s[18:19], 0
	s_mov_b64 s[6:7], -1
	s_mov_b64 s[14:15], 0
	s_cbranch_vccz .LBB126_26
; %bb.8:
	v_mov_b32_e32 v0, 0x80
	v_cmp_lt_i16_sdwa s[6:7], s11, v0 src0_sel:BYTE_0 src1_sel:DWORD
	s_and_b64 vcc, exec, s[6:7]
	s_cbranch_vccnz .LBB126_18
; %bb.9:
	v_cmp_eq_u16_sdwa s[6:7], s11, v0 src0_sel:BYTE_0 src1_sel:DWORD
	s_and_b64 vcc, exec, s[6:7]
	s_cbranch_vccz .LBB126_19
; %bb.10:
	s_mov_b64 s[6:7], 0
	s_mov_b32 s20, 0x7f800001
	s_branch .LBB126_21
.LBB126_11:
	s_mov_b64 s[14:15], 0
	s_cbranch_execnz .LBB126_175
.LBB126_12:
	s_andn2_b64 vcc, exec, s[14:15]
	s_cbranch_vccnz .LBB126_308
.LBB126_13:
	v_add_u32_e32 v16, 0x80, v16
	s_mov_b64 s[14:15], -1
	s_branch .LBB126_309
.LBB126_14:
	s_mov_b64 s[14:15], 0
	s_cbranch_execnz .LBB126_96
	s_branch .LBB126_174
.LBB126_15:
	s_mov_b64 s[18:19], -1
	s_mov_b64 s[14:15], 0
	s_branch .LBB126_53
.LBB126_16:
	s_mov_b64 s[18:19], -1
	s_mov_b64 s[14:15], 0
	s_branch .LBB126_40
.LBB126_17:
	s_mov_b64 s[18:19], -1
	s_mov_b64 s[14:15], 0
	s_branch .LBB126_26
.LBB126_18:
	s_mov_b64 s[14:15], -1
	s_mov_b64 s[6:7], 0
	s_branch .LBB126_20
.LBB126_19:
	s_mov_b64 s[6:7], -1
.LBB126_20:
                                        ; implicit-def: $sgpr20
.LBB126_21:
	s_and_b64 vcc, exec, s[14:15]
	s_cbranch_vccz .LBB126_23
; %bb.22:
	v_mov_b32_e32 v0, 0
	s_mov_b32 s20, 0
	v_cmp_ne_u16_sdwa s[6:7], s11, v0 src0_sel:BYTE_0 src1_sel:DWORD
.LBB126_23:
	s_andn2_b64 vcc, exec, s[6:7]
	s_cbranch_vccnz .LBB126_25
; %bb.24:
	s_mov_b32 s20, s33
.LBB126_25:
	s_bfe_u32 s6, s20, 0x10010
	s_add_i32 s6, s20, s6
	s_addk_i32 s6, 0x7fff
	s_lshr_b32 s14, s6, 16
	v_cmp_o_f32_e64 s[6:7], s20, s20
	s_and_b64 s[6:7], s[6:7], exec
	s_cselect_b32 s6, s14, 0x7fc0
	v_mov_b32_e32 v0, s6
	global_store_dword v[10:11], v0, off
	s_mov_b64 s[14:15], -1
	s_mov_b64 s[6:7], 0
.LBB126_26:
	s_and_b64 vcc, exec, s[18:19]
	s_cbranch_vccz .LBB126_39
; %bb.27:
	v_cmp_eq_u16_e32 vcc, 44, v12
	s_mov_b64 s[6:7], -1
	s_cbranch_vccz .LBB126_39
; %bb.28:
	v_mov_b32_e32 v0, 0xff
	v_and_b32_e32 v0, s11, v0
	s_movk_i32 s6, 0x80
	v_cmp_gt_i16_e32 vcc, s6, v0
	v_readfirstlane_b32 s19, v0
	s_cbranch_vccnz .LBB126_31
; %bb.29:
	v_mov_b32_e32 v0, 0x80
	v_cmp_eq_u16_e32 vcc, s19, v0
	s_cbranch_vccz .LBB126_32
; %bb.30:
	s_mov_b64 s[6:7], 0
	s_mov_b32 s18, 0x7f800001
	s_branch .LBB126_33
.LBB126_31:
	s_mov_b64 s[14:15], -1
	s_mov_b64 s[6:7], 0
                                        ; implicit-def: $sgpr18
	s_branch .LBB126_34
.LBB126_32:
	s_mov_b64 s[6:7], -1
                                        ; implicit-def: $sgpr18
.LBB126_33:
	s_mov_b64 s[14:15], 0
.LBB126_34:
	s_and_b64 vcc, exec, s[14:15]
	s_cbranch_vccz .LBB126_44
; %bb.35:
	s_and_b32 s18, 0xffff, s19
	v_cmp_ne_u16_e64 s[6:7], s19, 0
	s_andn2_b64 vcc, exec, s[6:7]
	s_cbranch_vccz .LBB126_45
.LBB126_36:
	s_bfe_u32 s6, s18, 0x80017
	s_cmpk_eq_i32 s6, 0xff
	v_mov_b32_e32 v0, 0xff
	s_cbranch_scc1 .LBB126_38
.LBB126_37:
	s_lshr_b32 s19, s18, 23
	s_bitcmp1_b32 s18, 22
	s_cselect_b64 s[14:15], -1, 0
	s_and_b32 s7, s18, 0x3fffff
	s_or_b32 s6, s6, s7
	s_cmp_lg_u32 s6, 0
	s_cselect_b64 s[6:7], -1, 0
	s_and_b64 s[6:7], s[14:15], s[6:7]
	v_cndmask_b32_e64 v0, 0, 1, s[6:7]
	v_add_u32_e32 v0, s19, v0
.LBB126_38:
	s_mov_b64 s[14:15], -1
	s_mov_b64 s[6:7], 0
	global_store_byte v[10:11], v0, off
.LBB126_39:
	s_mov_b64 s[18:19], 0
.LBB126_40:
	s_and_b64 vcc, exec, s[18:19]
	s_cbranch_vccz .LBB126_52
; %bb.41:
	v_cmp_eq_u16_e32 vcc, 29, v12
	s_mov_b64 s[6:7], -1
	s_cbranch_vccz .LBB126_52
; %bb.42:
	v_mov_b32_e32 v0, 0x80
	v_cmp_lt_i16_sdwa s[6:7], s11, v0 src0_sel:BYTE_0 src1_sel:DWORD
	s_and_b64 vcc, exec, s[6:7]
	s_cbranch_vccnz .LBB126_46
; %bb.43:
	v_cmp_ne_u16_sdwa s[6:7], s11, v0 src0_sel:BYTE_0 src1_sel:DWORD
	s_mov_b64 s[18:19], 0
	s_mov_b64 s[14:15], 0
	s_branch .LBB126_47
.LBB126_44:
	s_andn2_b64 vcc, exec, s[6:7]
	s_cbranch_vccnz .LBB126_36
.LBB126_45:
	s_mov_b32 s18, s34
	s_bfe_u32 s6, s18, 0x80017
	s_cmpk_eq_i32 s6, 0xff
	v_mov_b32_e32 v0, 0xff
	s_cbranch_scc0 .LBB126_37
	s_branch .LBB126_38
.LBB126_46:
	s_mov_b64 s[18:19], -1
	s_mov_b64 s[6:7], 0
                                        ; implicit-def: $sgpr14_sgpr15
.LBB126_47:
	s_andn2_b64 vcc, exec, s[18:19]
	s_cbranch_vccnz .LBB126_49
; %bb.48:
	v_mov_b32_e32 v0, 0
	v_cmp_ne_u16_sdwa s[6:7], s11, v0 src0_sel:BYTE_0 src1_sel:DWORD
	s_mov_b64 s[14:15], 0
.LBB126_49:
	s_andn2_b64 vcc, exec, s[6:7]
	v_pk_mov_b32 v[0:1], s[14:15], s[14:15] op_sel:[0,1]
	s_cbranch_vccnz .LBB126_51
; %bb.50:
	v_pk_mov_b32 v[0:1], v[8:9], v[8:9] op_sel:[0,1]
.LBB126_51:
	global_store_dwordx2 v[10:11], v[0:1], off
	s_mov_b64 s[14:15], -1
	s_mov_b64 s[6:7], 0
.LBB126_52:
	s_mov_b64 s[18:19], 0
.LBB126_53:
	s_and_b64 vcc, exec, s[18:19]
	s_cbranch_vccz .LBB126_95
; %bb.54:
	v_cmp_gt_i16_e32 vcc, 27, v12
	s_mov_b64 s[14:15], -1
	s_cbranch_vccnz .LBB126_74
; %bb.55:
	v_cmp_lt_i16_e32 vcc, 27, v12
	s_cbranch_vccz .LBB126_64
; %bb.56:
	v_mov_b32_e32 v0, 0x80
	v_cmp_lt_i16_sdwa s[14:15], s11, v0 src0_sel:BYTE_0 src1_sel:DWORD
	s_and_b64 vcc, exec, s[14:15]
	s_cbranch_vccnz .LBB126_58
; %bb.57:
	v_cmp_ne_u16_sdwa s[14:15], s11, v0 src0_sel:BYTE_0 src1_sel:DWORD
	s_mov_b64 s[18:19], 0
	s_mov_b32 s20, 0
	s_branch .LBB126_59
.LBB126_58:
	s_mov_b64 s[18:19], -1
	s_mov_b64 s[14:15], 0
                                        ; implicit-def: $sgpr20
.LBB126_59:
	s_andn2_b64 vcc, exec, s[18:19]
	s_cbranch_vccnz .LBB126_61
; %bb.60:
	v_mov_b32_e32 v0, 0
	s_mov_b32 s20, 0
	v_cmp_ne_u16_sdwa s[14:15], s11, v0 src0_sel:BYTE_0 src1_sel:DWORD
.LBB126_61:
	s_andn2_b64 vcc, exec, s[14:15]
	v_mov_b32_e32 v0, s20
	s_cbranch_vccnz .LBB126_63
; %bb.62:
	v_mov_b32_e32 v0, v15
.LBB126_63:
	global_store_dword v[10:11], v0, off
	s_mov_b64 s[14:15], 0
.LBB126_64:
	s_and_b64 vcc, exec, s[14:15]
	s_cbranch_vccz .LBB126_73
; %bb.65:
	v_mov_b32_e32 v0, 0x80
	v_cmp_lt_i16_sdwa s[14:15], s11, v0 src0_sel:BYTE_0 src1_sel:DWORD
	s_and_b64 vcc, exec, s[14:15]
	s_cbranch_vccnz .LBB126_67
; %bb.66:
	v_cmp_ne_u16_sdwa s[14:15], s11, v0 src0_sel:BYTE_0 src1_sel:DWORD
	s_mov_b64 s[18:19], 0
	s_mov_b32 s20, 0
	s_branch .LBB126_68
.LBB126_67:
	s_mov_b64 s[18:19], -1
	s_mov_b64 s[14:15], 0
                                        ; implicit-def: $sgpr20
.LBB126_68:
	s_andn2_b64 vcc, exec, s[18:19]
	s_cbranch_vccnz .LBB126_70
; %bb.69:
	v_mov_b32_e32 v0, 0
	s_mov_b32 s20, 0
	v_cmp_ne_u16_sdwa s[14:15], s11, v0 src0_sel:BYTE_0 src1_sel:DWORD
.LBB126_70:
	s_andn2_b64 vcc, exec, s[14:15]
	v_mov_b32_e32 v0, s20
	s_cbranch_vccnz .LBB126_72
; %bb.71:
	v_mov_b32_e32 v0, v15
.LBB126_72:
	global_store_short v[10:11], v0, off
.LBB126_73:
	s_mov_b64 s[14:15], 0
.LBB126_74:
	s_andn2_b64 vcc, exec, s[14:15]
	s_cbranch_vccnz .LBB126_94
; %bb.75:
	v_mov_b32_e32 v0, 0x80
	v_cmp_lt_i16_sdwa s[14:15], s11, v0 src0_sel:BYTE_0 src1_sel:DWORD
	s_and_b64 vcc, exec, s[14:15]
	s_cbranch_vccnz .LBB126_78
; %bb.76:
	v_cmp_eq_u16_sdwa s[14:15], s11, v0 src0_sel:BYTE_0 src1_sel:DWORD
	s_and_b64 vcc, exec, s[14:15]
	s_cbranch_vccz .LBB126_79
; %bb.77:
	s_mov_b64 s[14:15], 0
	s_mov_b32 s20, 0x7f800001
	s_branch .LBB126_80
.LBB126_78:
	s_mov_b64 s[18:19], -1
	s_mov_b64 s[14:15], 0
                                        ; implicit-def: $sgpr20
	s_branch .LBB126_81
.LBB126_79:
	s_mov_b64 s[14:15], -1
                                        ; implicit-def: $sgpr20
.LBB126_80:
	s_mov_b64 s[18:19], 0
.LBB126_81:
	s_and_b64 vcc, exec, s[18:19]
	s_cbranch_vccz .LBB126_84
; %bb.82:
	v_mov_b32_e32 v0, 0
	s_mov_b32 s20, 0
	v_cmp_ne_u16_sdwa s[14:15], s11, v0 src0_sel:BYTE_0 src1_sel:DWORD
	s_andn2_b64 vcc, exec, s[14:15]
	s_cbranch_vccz .LBB126_85
.LBB126_83:
	s_and_b32 s14, s20, 0x7fffffff
	s_cmp_gt_u32 s14, 0x437fffff
	v_mov_b32_e32 v1, 0x80
	s_cbranch_scc0 .LBB126_86
	s_branch .LBB126_93
.LBB126_84:
	s_andn2_b64 vcc, exec, s[14:15]
	s_cbranch_vccnz .LBB126_83
.LBB126_85:
	s_mov_b32 s20, s33
	s_and_b32 s14, s20, 0x7fffffff
	s_cmp_gt_u32 s14, 0x437fffff
	v_mov_b32_e32 v1, 0x80
	s_cbranch_scc1 .LBB126_93
.LBB126_86:
	s_cmp_gt_u32 s14, 0x3bffffff
	s_cbranch_scc0 .LBB126_88
; %bb.87:
	s_bfe_u32 s14, s20, 0x10014
	s_add_i32 s14, s20, s14
	s_add_i32 s14, s14, 0x487ffff
	s_lshr_b32 s21, s14, 20
	s_mov_b64 s[18:19], 0
	s_mov_b64 s[14:15], -1
	s_branch .LBB126_89
.LBB126_88:
	s_mov_b64 s[18:19], -1
	s_mov_b64 s[14:15], 0
                                        ; implicit-def: $sgpr21
.LBB126_89:
	s_andn2_b64 vcc, exec, s[18:19]
	v_mov_b32_e32 v0, s21
                                        ; implicit-def: $sgpr18
	s_cbranch_vccnz .LBB126_91
; %bb.90:
	v_mov_b32_e32 v0, 0x46000000
	v_add_f32_e64 v0, |s20|, v0
	v_and_b32_e32 v0, 0xff, v0
	s_mov_b32 s18, 0
	v_cmp_ne_u32_e64 s[14:15], 0, v0
.LBB126_91:
	s_andn2_b64 vcc, exec, s[14:15]
	v_mov_b32_e32 v1, s18
	s_cbranch_vccnz .LBB126_93
; %bb.92:
	s_lshr_b32 s14, s20, 24
	s_and_b32 s14, s14, 0x80
	v_or_b32_e32 v1, s14, v0
.LBB126_93:
	global_store_byte v[10:11], v1, off
.LBB126_94:
	s_mov_b64 s[14:15], -1
.LBB126_95:
	s_branch .LBB126_174
.LBB126_96:
	v_cmp_lt_i16_e32 vcc, 22, v12
	s_mov_b64 s[18:19], -1
	s_cbranch_vccz .LBB126_146
; %bb.97:
	v_cmp_gt_i16_e32 vcc, 24, v12
	s_mov_b64 s[14:15], -1
	s_cbranch_vccnz .LBB126_123
; %bb.98:
	v_cmp_lt_i16_e32 vcc, 24, v12
	s_cbranch_vccz .LBB126_100
; %bb.99:
	v_mov_b32_e32 v0, s11
	global_store_byte v[10:11], v0, off
	s_mov_b64 s[14:15], 0
.LBB126_100:
	s_andn2_b64 vcc, exec, s[14:15]
	s_cbranch_vccnz .LBB126_122
; %bb.101:
	v_mov_b32_e32 v0, 0x80
	v_cmp_lt_i16_sdwa s[14:15], s11, v0 src0_sel:BYTE_0 src1_sel:DWORD
	s_and_b64 vcc, exec, s[14:15]
	s_cbranch_vccnz .LBB126_104
; %bb.102:
	v_cmp_eq_u16_sdwa s[14:15], s11, v0 src0_sel:BYTE_0 src1_sel:DWORD
	s_and_b64 vcc, exec, s[14:15]
	s_cbranch_vccz .LBB126_105
; %bb.103:
	s_mov_b64 s[14:15], 0
	s_mov_b32 s20, 0x7f800001
	s_branch .LBB126_106
.LBB126_104:
	s_mov_b64 s[14:15], 0
                                        ; implicit-def: $sgpr20
	s_branch .LBB126_107
.LBB126_105:
	s_mov_b64 s[14:15], -1
                                        ; implicit-def: $sgpr20
.LBB126_106:
	s_mov_b64 s[18:19], 0
.LBB126_107:
	s_and_b64 vcc, exec, s[18:19]
	s_cbranch_vccz .LBB126_112
; %bb.108:
	v_mov_b32_e32 v0, 0
	s_mov_b32 s20, 0
	v_cmp_ne_u16_sdwa s[14:15], s11, v0 src0_sel:BYTE_0 src1_sel:DWORD
	s_andn2_b64 vcc, exec, s[14:15]
	s_cbranch_vccz .LBB126_113
.LBB126_109:
	s_and_b32 s18, s20, 0x7fffffff
	s_cmp_lt_u32 s18, 0x43f00000
	s_cbranch_scc0 .LBB126_114
.LBB126_110:
	s_cmp_gt_u32 s18, 0x3c7fffff
	s_cbranch_scc0 .LBB126_115
; %bb.111:
	s_bfe_u32 s14, s20, 0x10014
	s_add_i32 s14, s20, s14
	s_add_i32 s14, s14, 0x407ffff
	s_lshr_b32 s15, s14, 20
	s_and_b32 s14, s14, 0xff00000
	s_cmp_lg_u32 s14, 0x7f00000
	s_cselect_b32 s19, s15, 0x7e
	s_mov_b64 s[14:15], 0
	s_branch .LBB126_116
.LBB126_112:
	s_andn2_b64 vcc, exec, s[14:15]
	s_cbranch_vccnz .LBB126_109
.LBB126_113:
	s_mov_b32 s20, s33
	s_and_b32 s18, s20, 0x7fffffff
	s_cmp_lt_u32 s18, 0x43f00000
	s_cbranch_scc1 .LBB126_110
.LBB126_114:
	s_mov_b64 s[14:15], -1
                                        ; implicit-def: $vgpr0
	s_branch .LBB126_119
.LBB126_115:
	s_mov_b64 s[14:15], -1
                                        ; implicit-def: $sgpr19
.LBB126_116:
	s_andn2_b64 vcc, exec, s[14:15]
	v_mov_b32_e32 v0, s19
	s_cbranch_vccnz .LBB126_118
; %bb.117:
	v_mov_b32_e32 v0, 0x46800000
	v_add_f32_e64 v0, |s20|, v0
.LBB126_118:
	s_mov_b64 s[14:15], 0
.LBB126_119:
	s_andn2_b64 vcc, exec, s[14:15]
	s_cbranch_vccnz .LBB126_121
; %bb.120:
	s_cmp_gt_u32 s18, 0x7f800000
	s_movk_i32 s14, 0x7f
	s_cselect_b32 s14, s14, 0x7e
	v_mov_b32_e32 v0, s14
.LBB126_121:
	s_lshr_b32 s14, s20, 24
	s_and_b32 s14, s14, 0x80
	v_or_b32_e32 v0, s14, v0
	global_store_byte v[10:11], v0, off
.LBB126_122:
	s_mov_b64 s[14:15], 0
.LBB126_123:
	s_andn2_b64 vcc, exec, s[14:15]
	s_cbranch_vccnz .LBB126_145
; %bb.124:
	v_mov_b32_e32 v0, 0x80
	v_cmp_lt_i16_sdwa s[14:15], s11, v0 src0_sel:BYTE_0 src1_sel:DWORD
	s_and_b64 vcc, exec, s[14:15]
	s_cbranch_vccnz .LBB126_127
; %bb.125:
	v_cmp_eq_u16_sdwa s[14:15], s11, v0 src0_sel:BYTE_0 src1_sel:DWORD
	s_and_b64 vcc, exec, s[14:15]
	s_cbranch_vccz .LBB126_128
; %bb.126:
	s_mov_b64 s[14:15], 0
	s_mov_b32 s20, 0x7f800001
	s_branch .LBB126_129
.LBB126_127:
	s_mov_b64 s[18:19], -1
	s_mov_b64 s[14:15], 0
                                        ; implicit-def: $sgpr20
	s_branch .LBB126_130
.LBB126_128:
	s_mov_b64 s[14:15], -1
                                        ; implicit-def: $sgpr20
.LBB126_129:
	s_mov_b64 s[18:19], 0
.LBB126_130:
	s_and_b64 vcc, exec, s[18:19]
	s_cbranch_vccz .LBB126_135
; %bb.131:
	v_mov_b32_e32 v0, 0
	s_mov_b32 s20, 0
	v_cmp_ne_u16_sdwa s[14:15], s11, v0 src0_sel:BYTE_0 src1_sel:DWORD
	s_andn2_b64 vcc, exec, s[14:15]
	s_cbranch_vccz .LBB126_136
.LBB126_132:
	s_and_b32 s18, s20, 0x7fffffff
	s_cmp_lt_u32 s18, 0x47800000
	s_cbranch_scc0 .LBB126_137
.LBB126_133:
	s_cmp_gt_u32 s18, 0x387fffff
	s_cbranch_scc0 .LBB126_138
; %bb.134:
	s_bfe_u32 s14, s20, 0x10015
	s_add_i32 s14, s20, s14
	s_add_i32 s14, s14, 0x80fffff
	s_lshr_b32 s19, s14, 21
	s_mov_b64 s[14:15], 0
	s_branch .LBB126_139
.LBB126_135:
	s_andn2_b64 vcc, exec, s[14:15]
	s_cbranch_vccnz .LBB126_132
.LBB126_136:
	s_mov_b32 s20, s33
	s_and_b32 s18, s20, 0x7fffffff
	s_cmp_lt_u32 s18, 0x47800000
	s_cbranch_scc1 .LBB126_133
.LBB126_137:
	s_mov_b64 s[14:15], -1
                                        ; implicit-def: $vgpr0
	s_branch .LBB126_142
.LBB126_138:
	s_mov_b64 s[14:15], -1
                                        ; implicit-def: $sgpr19
.LBB126_139:
	s_andn2_b64 vcc, exec, s[14:15]
	v_mov_b32_e32 v0, s19
	s_cbranch_vccnz .LBB126_141
; %bb.140:
	v_mov_b32_e32 v0, 0x43000000
	v_add_f32_e64 v0, |s20|, v0
.LBB126_141:
	s_mov_b64 s[14:15], 0
.LBB126_142:
	s_andn2_b64 vcc, exec, s[14:15]
	s_cbranch_vccnz .LBB126_144
; %bb.143:
	s_cmp_gt_u32 s18, 0x7f800000
	s_movk_i32 s14, 0x7f
	s_cselect_b32 s14, s14, 0x7c
	v_mov_b32_e32 v0, s14
.LBB126_144:
	s_lshr_b32 s14, s20, 24
	s_and_b32 s14, s14, 0x80
	v_or_b32_e32 v0, s14, v0
	global_store_byte v[10:11], v0, off
.LBB126_145:
	s_mov_b64 s[18:19], 0
	s_mov_b64 s[14:15], -1
.LBB126_146:
	s_andn2_b64 vcc, exec, s[18:19]
	s_cbranch_vccnz .LBB126_174
; %bb.147:
	v_cmp_lt_i16_e32 vcc, 14, v12
	s_mov_b64 s[18:19], -1
	s_cbranch_vccz .LBB126_161
; %bb.148:
	v_cmp_eq_u16_e32 vcc, 15, v12
	s_mov_b64 s[6:7], -1
	s_cbranch_vccz .LBB126_160
; %bb.149:
	v_mov_b32_e32 v0, 0x80
	v_cmp_lt_i16_sdwa s[6:7], s11, v0 src0_sel:BYTE_0 src1_sel:DWORD
	s_and_b64 vcc, exec, s[6:7]
	s_cbranch_vccnz .LBB126_152
; %bb.150:
	v_cmp_eq_u16_sdwa s[6:7], s11, v0 src0_sel:BYTE_0 src1_sel:DWORD
	s_and_b64 vcc, exec, s[6:7]
	s_cbranch_vccz .LBB126_153
; %bb.151:
	s_mov_b64 s[6:7], 0
	s_mov_b32 s18, 0x7f800001
	s_branch .LBB126_154
.LBB126_152:
	s_mov_b64 s[14:15], -1
	s_mov_b64 s[6:7], 0
                                        ; implicit-def: $sgpr18
	s_branch .LBB126_155
.LBB126_153:
	s_mov_b64 s[6:7], -1
                                        ; implicit-def: $sgpr18
.LBB126_154:
	s_mov_b64 s[14:15], 0
.LBB126_155:
	s_and_b64 vcc, exec, s[14:15]
	s_cbranch_vccz .LBB126_157
; %bb.156:
	v_mov_b32_e32 v0, 0
	s_mov_b32 s18, 0
	v_cmp_ne_u16_sdwa s[6:7], s11, v0 src0_sel:BYTE_0 src1_sel:DWORD
.LBB126_157:
	s_andn2_b64 vcc, exec, s[6:7]
	s_cbranch_vccnz .LBB126_159
; %bb.158:
	s_mov_b32 s18, s33
.LBB126_159:
	s_bfe_u32 s6, s18, 0x10010
	s_add_i32 s6, s18, s6
	s_addk_i32 s6, 0x7fff
	s_lshr_b32 s14, s6, 16
	v_cmp_o_f32_e64 s[6:7], s18, s18
	s_and_b64 s[6:7], s[6:7], exec
	s_cselect_b32 s6, s14, 0x7fc0
	v_mov_b32_e32 v0, s6
	global_store_short v[10:11], v0, off
	s_mov_b64 s[14:15], -1
	s_mov_b64 s[6:7], 0
.LBB126_160:
	s_mov_b64 s[18:19], 0
.LBB126_161:
	s_and_b64 vcc, exec, s[18:19]
	s_cbranch_vccz .LBB126_174
; %bb.162:
	v_cmp_eq_u16_e32 vcc, 11, v12
	s_mov_b64 s[6:7], -1
	s_cbranch_vccz .LBB126_174
; %bb.163:
	v_mov_b32_e32 v0, 0x80
	v_cmp_lt_i16_sdwa s[6:7], s11, v0 src0_sel:BYTE_0 src1_sel:DWORD
	s_and_b64 vcc, exec, s[6:7]
	s_cbranch_vccnz .LBB126_166
; %bb.164:
	v_cmp_eq_u16_sdwa s[6:7], s11, v0 src0_sel:BYTE_0 src1_sel:DWORD
	s_and_b64 vcc, exec, s[6:7]
	s_cbranch_vccz .LBB126_167
; %bb.165:
	s_mov_b64 s[14:15], 0
	s_mov_b64 s[6:7], -1
	s_branch .LBB126_168
.LBB126_166:
	s_mov_b64 s[18:19], -1
	s_mov_b64 s[14:15], 0
                                        ; implicit-def: $sgpr6_sgpr7
	s_branch .LBB126_169
.LBB126_167:
	s_mov_b64 s[14:15], -1
                                        ; implicit-def: $sgpr6_sgpr7
.LBB126_168:
	s_mov_b64 s[18:19], 0
.LBB126_169:
	s_and_b64 vcc, exec, s[18:19]
	s_cbranch_vccz .LBB126_171
; %bb.170:
	v_mov_b32_e32 v0, 0
	v_cmp_ne_u16_sdwa s[14:15], s11, v0 src0_sel:BYTE_0 src1_sel:DWORD
	s_mov_b64 s[6:7], 0
.LBB126_171:
	s_andn2_b64 vcc, exec, s[14:15]
	s_cbranch_vccnz .LBB126_173
; %bb.172:
	s_mov_b64 s[6:7], s[2:3]
.LBB126_173:
	v_cndmask_b32_e64 v0, 0, 1, s[6:7]
	global_store_byte v[10:11], v0, off
	s_mov_b64 s[14:15], -1
	s_mov_b64 s[6:7], 0
.LBB126_174:
	s_branch .LBB126_12
.LBB126_175:
	v_cmp_gt_i16_e32 vcc, 5, v12
	s_mov_b64 s[14:15], -1
	s_cbranch_vccnz .LBB126_256
; %bb.176:
	v_cmp_gt_i16_e32 vcc, 8, v12
	s_cbranch_vccnz .LBB126_216
; %bb.177:
	v_cmp_gt_i16_e32 vcc, 9, v12
	s_cbranch_vccnz .LBB126_203
; %bb.178:
	v_cmp_lt_i16_e32 vcc, 9, v12
	s_cbranch_vccz .LBB126_190
; %bb.179:
	v_mov_b32_e32 v0, 0x80
	v_cmp_lt_i16_sdwa s[14:15], s11, v0 src0_sel:BYTE_0 src1_sel:DWORD
	s_and_b64 vcc, exec, s[14:15]
	s_cbranch_vccnz .LBB126_182
; %bb.180:
	v_cmp_eq_u16_sdwa s[14:15], s11, v0 src0_sel:BYTE_0 src1_sel:DWORD
	s_and_b64 vcc, exec, s[14:15]
	s_cbranch_vccz .LBB126_183
; %bb.181:
	s_mov_b64 s[14:15], 0
	s_mov_b32 s19, 0x7ff80000
	s_brev_b32 s18, 4
	s_branch .LBB126_184
.LBB126_182:
	s_mov_b64 s[20:21], -1
	s_mov_b64 s[14:15], 0
                                        ; implicit-def: $sgpr18_sgpr19
	s_branch .LBB126_185
.LBB126_183:
	s_mov_b64 s[14:15], -1
                                        ; implicit-def: $sgpr18_sgpr19
.LBB126_184:
	s_mov_b64 s[20:21], 0
.LBB126_185:
	s_and_b64 vcc, exec, s[20:21]
	s_cbranch_vccz .LBB126_187
; %bb.186:
	v_mov_b32_e32 v0, 0
	v_cmp_ne_u16_sdwa s[14:15], s11, v0 src0_sel:BYTE_0 src1_sel:DWORD
	s_mov_b64 s[18:19], 0
.LBB126_187:
	s_andn2_b64 vcc, exec, s[14:15]
	v_pk_mov_b32 v[0:1], s[18:19], s[18:19] op_sel:[0,1]
	s_cbranch_vccnz .LBB126_189
; %bb.188:
	v_pk_mov_b32 v[0:1], v[6:7], v[6:7] op_sel:[0,1]
.LBB126_189:
	v_mov_b32_e32 v2, 0
	v_mov_b32_e32 v3, v2
	global_store_dwordx4 v[10:11], v[0:3], off
	s_mov_b64 s[14:15], 0
.LBB126_190:
	s_and_b64 vcc, exec, s[14:15]
	s_cbranch_vccz .LBB126_202
; %bb.191:
	v_mov_b32_e32 v0, 0x80
	v_cmp_lt_i16_sdwa s[14:15], s11, v0 src0_sel:BYTE_0 src1_sel:DWORD
	s_and_b64 vcc, exec, s[14:15]
	s_cbranch_vccnz .LBB126_194
; %bb.192:
	v_cmp_eq_u16_sdwa s[14:15], s11, v0 src0_sel:BYTE_0 src1_sel:DWORD
	s_and_b64 vcc, exec, s[14:15]
	s_cbranch_vccz .LBB126_195
; %bb.193:
	s_mov_b64 s[14:15], 0
	s_mov_b32 s20, 0x7f800001
	s_branch .LBB126_196
.LBB126_194:
	s_mov_b64 s[18:19], -1
	s_mov_b64 s[14:15], 0
                                        ; implicit-def: $sgpr20
	s_branch .LBB126_197
.LBB126_195:
	s_mov_b64 s[14:15], -1
                                        ; implicit-def: $sgpr20
.LBB126_196:
	s_mov_b64 s[18:19], 0
.LBB126_197:
	s_and_b64 vcc, exec, s[18:19]
	v_mov_b32_e32 v0, s20
	s_cbranch_vccz .LBB126_199
; %bb.198:
	s_mov_b32 s14, 0xffff
	v_mov_b32_e32 v0, s11
	v_mov_b32_e32 v1, 0
	v_and_b32_sdwa v0, s14, v0 dst_sel:DWORD dst_unused:UNUSED_PAD src0_sel:DWORD src1_sel:BYTE_0
	v_cmp_ne_u16_sdwa s[14:15], s11, v1 src0_sel:BYTE_0 src1_sel:DWORD
.LBB126_199:
	s_andn2_b64 vcc, exec, s[14:15]
	s_cbranch_vccnz .LBB126_201
; %bb.200:
	v_mov_b32_e32 v0, s33
.LBB126_201:
	v_mov_b32_e32 v1, 0
	global_store_dwordx2 v[10:11], v[0:1], off
.LBB126_202:
	s_mov_b64 s[14:15], 0
.LBB126_203:
	s_andn2_b64 vcc, exec, s[14:15]
	s_cbranch_vccnz .LBB126_215
; %bb.204:
	v_mov_b32_e32 v0, 0x80
	v_cmp_lt_i16_sdwa s[14:15], s11, v0 src0_sel:BYTE_0 src1_sel:DWORD
	s_and_b64 vcc, exec, s[14:15]
	s_cbranch_vccnz .LBB126_207
; %bb.205:
	v_cmp_eq_u16_sdwa s[14:15], s11, v0 src0_sel:BYTE_0 src1_sel:DWORD
	s_and_b64 vcc, exec, s[14:15]
	s_cbranch_vccz .LBB126_208
; %bb.206:
	s_mov_b64 s[14:15], 0
	s_movk_i32 s20, 0x7e00
	s_branch .LBB126_209
.LBB126_207:
	s_mov_b64 s[18:19], -1
	s_mov_b64 s[14:15], 0
                                        ; implicit-def: $sgpr20
	s_branch .LBB126_210
.LBB126_208:
	s_mov_b64 s[14:15], -1
                                        ; implicit-def: $sgpr20
.LBB126_209:
	s_mov_b64 s[18:19], 0
.LBB126_210:
	s_and_b64 vcc, exec, s[18:19]
	v_mov_b32_e32 v0, s20
	s_cbranch_vccz .LBB126_212
; %bb.211:
	s_mov_b32 s14, 0xffff
	v_mov_b32_e32 v0, s11
	v_mov_b32_e32 v1, 0
	v_and_b32_sdwa v0, s14, v0 dst_sel:DWORD dst_unused:UNUSED_PAD src0_sel:DWORD src1_sel:BYTE_0
	v_cmp_ne_u16_sdwa s[14:15], s11, v1 src0_sel:BYTE_0 src1_sel:DWORD
.LBB126_212:
	s_andn2_b64 vcc, exec, s[14:15]
	s_cbranch_vccnz .LBB126_214
; %bb.213:
	v_mov_b32_e32 v0, v14
.LBB126_214:
	global_store_dword v[10:11], v0, off
.LBB126_215:
	s_mov_b64 s[14:15], 0
.LBB126_216:
	s_andn2_b64 vcc, exec, s[14:15]
	s_cbranch_vccnz .LBB126_255
; %bb.217:
	v_cmp_gt_i16_e32 vcc, 6, v12
	s_mov_b64 s[14:15], -1
	s_cbranch_vccnz .LBB126_243
; %bb.218:
	v_cmp_lt_i16_e32 vcc, 6, v12
	s_cbranch_vccz .LBB126_230
; %bb.219:
	v_mov_b32_e32 v0, 0x80
	v_cmp_lt_i16_sdwa s[14:15], s11, v0 src0_sel:BYTE_0 src1_sel:DWORD
	s_and_b64 vcc, exec, s[14:15]
	s_cbranch_vccnz .LBB126_222
; %bb.220:
	v_cmp_eq_u16_sdwa s[14:15], s11, v0 src0_sel:BYTE_0 src1_sel:DWORD
	s_and_b64 vcc, exec, s[14:15]
	s_cbranch_vccz .LBB126_223
; %bb.221:
	s_mov_b64 s[14:15], 0
	s_mov_b32 s19, 0x7ff80000
	s_brev_b32 s18, 4
	s_branch .LBB126_224
.LBB126_222:
	s_mov_b64 s[20:21], -1
	s_mov_b64 s[14:15], 0
                                        ; implicit-def: $sgpr18_sgpr19
	s_branch .LBB126_225
.LBB126_223:
	s_mov_b64 s[14:15], -1
                                        ; implicit-def: $sgpr18_sgpr19
.LBB126_224:
	s_mov_b64 s[20:21], 0
.LBB126_225:
	s_and_b64 vcc, exec, s[20:21]
	s_cbranch_vccz .LBB126_227
; %bb.226:
	v_mov_b32_e32 v0, 0
	v_cmp_ne_u16_sdwa s[14:15], s11, v0 src0_sel:BYTE_0 src1_sel:DWORD
	s_mov_b64 s[18:19], 0
.LBB126_227:
	s_andn2_b64 vcc, exec, s[14:15]
	v_pk_mov_b32 v[0:1], s[18:19], s[18:19] op_sel:[0,1]
	s_cbranch_vccnz .LBB126_229
; %bb.228:
	v_pk_mov_b32 v[0:1], v[6:7], v[6:7] op_sel:[0,1]
.LBB126_229:
	global_store_dwordx2 v[10:11], v[0:1], off
	s_mov_b64 s[14:15], 0
.LBB126_230:
	s_and_b64 vcc, exec, s[14:15]
	s_cbranch_vccz .LBB126_242
; %bb.231:
	v_mov_b32_e32 v0, 0x80
	v_cmp_lt_i16_sdwa s[14:15], s11, v0 src0_sel:BYTE_0 src1_sel:DWORD
	s_and_b64 vcc, exec, s[14:15]
	s_cbranch_vccnz .LBB126_234
; %bb.232:
	v_cmp_eq_u16_sdwa s[14:15], s11, v0 src0_sel:BYTE_0 src1_sel:DWORD
	s_and_b64 vcc, exec, s[14:15]
	s_cbranch_vccz .LBB126_235
; %bb.233:
	s_mov_b64 s[14:15], 0
	s_mov_b32 s20, 0x7f800001
	s_branch .LBB126_236
.LBB126_234:
	s_mov_b64 s[18:19], -1
	s_mov_b64 s[14:15], 0
                                        ; implicit-def: $sgpr20
	s_branch .LBB126_237
.LBB126_235:
	s_mov_b64 s[14:15], -1
                                        ; implicit-def: $sgpr20
.LBB126_236:
	s_mov_b64 s[18:19], 0
.LBB126_237:
	s_and_b64 vcc, exec, s[18:19]
	s_cbranch_vccz .LBB126_239
; %bb.238:
	v_mov_b32_e32 v0, 0
	s_mov_b32 s20, 0
	v_cmp_ne_u16_sdwa s[14:15], s11, v0 src0_sel:BYTE_0 src1_sel:DWORD
.LBB126_239:
	s_andn2_b64 vcc, exec, s[14:15]
	s_cbranch_vccnz .LBB126_241
; %bb.240:
	s_mov_b32 s20, s33
.LBB126_241:
	v_mov_b32_e32 v0, s20
	global_store_dword v[10:11], v0, off
.LBB126_242:
	s_mov_b64 s[14:15], 0
.LBB126_243:
	s_andn2_b64 vcc, exec, s[14:15]
	s_cbranch_vccnz .LBB126_255
; %bb.244:
	v_mov_b32_e32 v0, 0xff
	v_and_b32_e32 v0, s11, v0
	s_movk_i32 s14, 0x80
	v_cmp_gt_i16_e32 vcc, s14, v0
	s_cbranch_vccnz .LBB126_247
; %bb.245:
	v_cmp_eq_u16_e32 vcc, s14, v0
	s_cbranch_vccz .LBB126_248
; %bb.246:
	s_mov_b64 s[14:15], 0
	s_movk_i32 s20, 0x7e00
	s_branch .LBB126_249
.LBB126_247:
	s_mov_b64 s[18:19], -1
	s_mov_b64 s[14:15], 0
                                        ; implicit-def: $sgpr20
	s_branch .LBB126_250
.LBB126_248:
	s_mov_b64 s[14:15], -1
                                        ; implicit-def: $sgpr20
.LBB126_249:
	s_mov_b64 s[18:19], 0
.LBB126_250:
	s_and_b64 vcc, exec, s[18:19]
	v_mov_b32_e32 v1, s20
	s_cbranch_vccz .LBB126_252
; %bb.251:
	v_cmp_ne_u16_e64 s[14:15], 0, v0
	v_mov_b32_e32 v1, v0
.LBB126_252:
	s_andn2_b64 vcc, exec, s[14:15]
	s_cbranch_vccnz .LBB126_254
; %bb.253:
	v_mov_b32_e32 v1, v14
.LBB126_254:
	global_store_short v[10:11], v1, off
.LBB126_255:
	s_mov_b64 s[14:15], 0
.LBB126_256:
	s_andn2_b64 vcc, exec, s[14:15]
	s_cbranch_vccnz .LBB126_307
; %bb.257:
	v_cmp_gt_i16_e32 vcc, 2, v12
	s_mov_b64 s[14:15], -1
	s_cbranch_vccnz .LBB126_288
; %bb.258:
	v_cmp_gt_i16_e32 vcc, 3, v12
	s_cbranch_vccnz .LBB126_278
; %bb.259:
	v_cmp_lt_i16_e32 vcc, 3, v12
	s_cbranch_vccz .LBB126_268
; %bb.260:
	v_mov_b32_e32 v0, 0x80
	v_cmp_lt_i16_sdwa s[14:15], s11, v0 src0_sel:BYTE_0 src1_sel:DWORD
	s_and_b64 vcc, exec, s[14:15]
	s_cbranch_vccnz .LBB126_262
; %bb.261:
	v_cmp_ne_u16_sdwa s[14:15], s11, v0 src0_sel:BYTE_0 src1_sel:DWORD
	s_mov_b64 s[20:21], 0
	s_mov_b64 s[18:19], 0
	s_branch .LBB126_263
.LBB126_262:
	s_mov_b64 s[20:21], -1
	s_mov_b64 s[14:15], 0
                                        ; implicit-def: $sgpr18_sgpr19
.LBB126_263:
	s_andn2_b64 vcc, exec, s[20:21]
	s_cbranch_vccnz .LBB126_265
; %bb.264:
	v_mov_b32_e32 v0, 0
	v_cmp_ne_u16_sdwa s[14:15], s11, v0 src0_sel:BYTE_0 src1_sel:DWORD
	s_mov_b64 s[18:19], 0
.LBB126_265:
	s_andn2_b64 vcc, exec, s[14:15]
	v_pk_mov_b32 v[0:1], s[18:19], s[18:19] op_sel:[0,1]
	s_cbranch_vccnz .LBB126_267
; %bb.266:
	v_pk_mov_b32 v[0:1], v[4:5], v[4:5] op_sel:[0,1]
.LBB126_267:
	global_store_dwordx2 v[10:11], v[0:1], off
	s_mov_b64 s[14:15], 0
.LBB126_268:
	s_and_b64 vcc, exec, s[14:15]
	s_cbranch_vccz .LBB126_277
; %bb.269:
	v_mov_b32_e32 v0, 0x80
	v_cmp_lt_i16_sdwa s[14:15], s11, v0 src0_sel:BYTE_0 src1_sel:DWORD
	s_and_b64 vcc, exec, s[14:15]
	s_cbranch_vccnz .LBB126_271
; %bb.270:
	v_cmp_ne_u16_sdwa s[14:15], s11, v0 src0_sel:BYTE_0 src1_sel:DWORD
	s_mov_b64 s[18:19], 0
	s_mov_b32 s20, 0
	s_branch .LBB126_272
.LBB126_271:
	s_mov_b64 s[18:19], -1
	s_mov_b64 s[14:15], 0
                                        ; implicit-def: $sgpr20
.LBB126_272:
	s_andn2_b64 vcc, exec, s[18:19]
	s_cbranch_vccnz .LBB126_274
; %bb.273:
	v_mov_b32_e32 v0, 0
	s_mov_b32 s20, 0
	v_cmp_ne_u16_sdwa s[14:15], s11, v0 src0_sel:BYTE_0 src1_sel:DWORD
.LBB126_274:
	s_andn2_b64 vcc, exec, s[14:15]
	v_mov_b32_e32 v0, s20
	s_cbranch_vccnz .LBB126_276
; %bb.275:
	v_mov_b32_e32 v0, v13
.LBB126_276:
	global_store_dword v[10:11], v0, off
.LBB126_277:
	s_mov_b64 s[14:15], 0
.LBB126_278:
	s_andn2_b64 vcc, exec, s[14:15]
	s_cbranch_vccnz .LBB126_287
; %bb.279:
	v_mov_b32_e32 v0, 0x80
	v_cmp_lt_i16_sdwa s[14:15], s11, v0 src0_sel:BYTE_0 src1_sel:DWORD
	s_and_b64 vcc, exec, s[14:15]
	s_cbranch_vccnz .LBB126_281
; %bb.280:
	v_cmp_ne_u16_sdwa s[14:15], s11, v0 src0_sel:BYTE_0 src1_sel:DWORD
	s_mov_b64 s[18:19], 0
	s_mov_b32 s20, 0
	s_branch .LBB126_282
.LBB126_281:
	s_mov_b64 s[18:19], -1
	s_mov_b64 s[14:15], 0
                                        ; implicit-def: $sgpr20
.LBB126_282:
	s_andn2_b64 vcc, exec, s[18:19]
	s_cbranch_vccnz .LBB126_284
; %bb.283:
	v_mov_b32_e32 v0, 0
	s_mov_b32 s20, 0
	v_cmp_ne_u16_sdwa s[14:15], s11, v0 src0_sel:BYTE_0 src1_sel:DWORD
.LBB126_284:
	s_andn2_b64 vcc, exec, s[14:15]
	v_mov_b32_e32 v0, s20
	s_cbranch_vccnz .LBB126_286
; %bb.285:
	v_mov_b32_e32 v0, v13
.LBB126_286:
	global_store_short v[10:11], v0, off
.LBB126_287:
	s_mov_b64 s[14:15], 0
.LBB126_288:
	s_andn2_b64 vcc, exec, s[14:15]
	s_cbranch_vccnz .LBB126_307
; %bb.289:
	v_cmp_lt_i16_e32 vcc, 0, v12
	s_mov_b64 s[14:15], -1
	s_cbranch_vccz .LBB126_298
; %bb.290:
	v_mov_b32_e32 v0, 0x80
	v_cmp_lt_i16_sdwa s[14:15], s11, v0 src0_sel:BYTE_0 src1_sel:DWORD
	s_and_b64 vcc, exec, s[14:15]
	s_cbranch_vccnz .LBB126_292
; %bb.291:
	v_cmp_ne_u16_sdwa s[14:15], s11, v0 src0_sel:BYTE_0 src1_sel:DWORD
	s_mov_b64 s[18:19], 0
	s_mov_b32 s20, 0
	s_branch .LBB126_293
.LBB126_292:
	s_mov_b64 s[18:19], -1
	s_mov_b64 s[14:15], 0
                                        ; implicit-def: $sgpr20
.LBB126_293:
	s_andn2_b64 vcc, exec, s[18:19]
	s_cbranch_vccnz .LBB126_295
; %bb.294:
	v_mov_b32_e32 v0, 0
	s_mov_b32 s20, 0
	v_cmp_ne_u16_sdwa s[14:15], s11, v0 src0_sel:BYTE_0 src1_sel:DWORD
.LBB126_295:
	s_andn2_b64 vcc, exec, s[14:15]
	v_mov_b32_e32 v0, s20
	s_cbranch_vccnz .LBB126_297
; %bb.296:
	v_mov_b32_e32 v0, v13
.LBB126_297:
	global_store_byte v[10:11], v0, off
	s_mov_b64 s[14:15], 0
.LBB126_298:
	s_and_b64 vcc, exec, s[14:15]
	s_cbranch_vccz .LBB126_307
; %bb.299:
	v_mov_b32_e32 v0, 0x80
	v_cmp_lt_i16_sdwa s[14:15], s11, v0 src0_sel:BYTE_0 src1_sel:DWORD
	s_and_b64 vcc, exec, s[14:15]
	s_cbranch_vccnz .LBB126_301
; %bb.300:
	v_cmp_ne_u16_sdwa s[14:15], s11, v0 src0_sel:BYTE_0 src1_sel:DWORD
	s_mov_b64 s[18:19], 0
	s_mov_b32 s20, 0
	s_branch .LBB126_302
.LBB126_301:
	s_mov_b64 s[18:19], -1
	s_mov_b64 s[14:15], 0
                                        ; implicit-def: $sgpr20
.LBB126_302:
	s_andn2_b64 vcc, exec, s[18:19]
	s_cbranch_vccnz .LBB126_304
; %bb.303:
	v_mov_b32_e32 v0, 0
	s_mov_b32 s20, 0
	v_cmp_ne_u16_sdwa s[14:15], s11, v0 src0_sel:BYTE_0 src1_sel:DWORD
.LBB126_304:
	s_andn2_b64 vcc, exec, s[14:15]
	v_mov_b32_e32 v0, s20
	s_cbranch_vccnz .LBB126_306
; %bb.305:
	v_mov_b32_e32 v0, v4
.LBB126_306:
	global_store_byte v[10:11], v0, off
.LBB126_307:
	s_branch .LBB126_13
.LBB126_308:
	s_mov_b64 s[14:15], 0
                                        ; implicit-def: $vgpr16
.LBB126_309:
	s_and_b64 s[6:7], s[6:7], exec
	s_orn2_b64 s[14:15], s[14:15], exec
.LBB126_310:
	s_or_b64 exec, exec, s[12:13]
	s_mov_b64 s[18:19], 0
                                        ; implicit-def: $vgpr10_vgpr11
	s_and_saveexec_b64 s[12:13], s[14:15]
	s_cbranch_execz .LBB126_321
; %bb.311:
	v_cmp_gt_i32_e32 vcc, s30, v16
	s_mov_b64 s[20:21], -1
	s_mov_b64 s[14:15], s[6:7]
	s_and_saveexec_b64 s[16:17], vcc
	s_cbranch_execz .LBB126_632
; %bb.312:
	v_mul_lo_u32 v0, v16, s10
	v_ashrrev_i32_e32 v1, 31, v0
	v_mov_b32_e32 v2, s9
	v_add_co_u32_e32 v10, vcc, s8, v0
	v_addc_co_u32_e32 v11, vcc, v2, v1, vcc
	v_cmp_gt_i16_e32 vcc, 11, v12
	s_cbranch_vccnz .LBB126_331
; %bb.313:
	v_cmp_lt_i16_e32 vcc, 25, v12
	s_cbranch_vccz .LBB126_335
; %bb.314:
	v_cmp_lt_i16_e32 vcc, 28, v12
	s_cbranch_vccz .LBB126_336
	;; [unrolled: 3-line block ×4, first 2 shown]
; %bb.317:
	v_cmp_eq_u16_e32 vcc, 46, v12
	s_mov_b64 s[20:21], 0
	s_mov_b64 s[14:15], -1
	s_cbranch_vccz .LBB126_347
; %bb.318:
	v_mov_b32_e32 v0, 0x80
	v_cmp_lt_i16_sdwa s[14:15], s11, v0 src0_sel:BYTE_0 src1_sel:DWORD
	s_and_b64 vcc, exec, s[14:15]
	s_cbranch_vccnz .LBB126_339
; %bb.319:
	v_cmp_eq_u16_sdwa s[14:15], s11, v0 src0_sel:BYTE_0 src1_sel:DWORD
	s_and_b64 vcc, exec, s[14:15]
	s_cbranch_vccz .LBB126_340
; %bb.320:
	s_mov_b64 s[14:15], 0
	s_mov_b32 s22, 0x7f800001
	s_branch .LBB126_342
.LBB126_321:
	s_or_b64 exec, exec, s[12:13]
	s_mov_b64 s[12:13], 0
	s_and_saveexec_b64 s[14:15], s[6:7]
	s_cbranch_execnz .LBB126_1107
.LBB126_322:
	s_or_b64 exec, exec, s[14:15]
	s_and_saveexec_b64 s[6:7], s[16:17]
	s_cbranch_execz .LBB126_1108
.LBB126_323:
	v_mov_b32_e32 v0, 0x80
	v_cmp_lt_i16_sdwa s[14:15], s11, v0 src0_sel:BYTE_0 src1_sel:DWORD
	s_and_b64 vcc, exec, s[14:15]
	s_cbranch_vccnz .LBB126_326
; %bb.324:
	v_cmp_eq_u16_sdwa s[14:15], s11, v0 src0_sel:BYTE_0 src1_sel:DWORD
	s_and_b64 vcc, exec, s[14:15]
	s_cbranch_vccz .LBB126_334
; %bb.325:
	s_mov_b64 s[16:17], 0
	s_mov_b64 s[14:15], -1
	s_branch .LBB126_328
.LBB126_326:
	s_mov_b64 s[16:17], 0
                                        ; implicit-def: $sgpr14_sgpr15
	s_cbranch_execz .LBB126_328
; %bb.327:
	v_mov_b32_e32 v0, 0
	v_cmp_ne_u16_sdwa s[16:17], s11, v0 src0_sel:BYTE_0 src1_sel:DWORD
	s_mov_b64 s[14:15], 0
.LBB126_328:
	s_andn2_b64 vcc, exec, s[16:17]
	s_cbranch_vccnz .LBB126_330
; %bb.329:
	s_mov_b64 s[14:15], s[2:3]
.LBB126_330:
	v_cndmask_b32_e64 v0, 0, 1, s[14:15]
	global_store_byte v[10:11], v0, off
	s_or_b64 exec, exec, s[6:7]
	s_and_saveexec_b64 s[2:3], s[18:19]
	s_xor_b64 s[2:3], exec, s[2:3]
	s_cbranch_execz .LBB126_1241
	s_branch .LBB126_1109
.LBB126_331:
	s_mov_b64 s[14:15], s[6:7]
	s_and_b64 vcc, exec, s[20:21]
	s_cbranch_vccnz .LBB126_497
.LBB126_332:
	s_andn2_b64 vcc, exec, s[18:19]
	s_cbranch_vccnz .LBB126_630
.LBB126_333:
	v_add_u32_e32 v16, 0x80, v16
	s_mov_b64 s[18:19], -1
	s_branch .LBB126_631
.LBB126_334:
	s_mov_b64 s[16:17], -1
                                        ; implicit-def: $sgpr14_sgpr15
	s_branch .LBB126_328
.LBB126_335:
	s_mov_b64 s[14:15], s[6:7]
	s_branch .LBB126_417
.LBB126_336:
	s_mov_b64 s[14:15], s[6:7]
	s_branch .LBB126_374
.LBB126_337:
	s_mov_b64 s[14:15], s[6:7]
	s_branch .LBB126_361
.LBB126_338:
	s_mov_b64 s[14:15], s[6:7]
	s_branch .LBB126_347
.LBB126_339:
	s_mov_b64 s[18:19], -1
	s_mov_b64 s[14:15], 0
	s_branch .LBB126_341
.LBB126_340:
	s_mov_b64 s[14:15], -1
.LBB126_341:
                                        ; implicit-def: $sgpr22
.LBB126_342:
	s_and_b64 vcc, exec, s[18:19]
	s_cbranch_vccz .LBB126_344
; %bb.343:
	v_mov_b32_e32 v0, 0
	s_mov_b32 s22, 0
	v_cmp_ne_u16_sdwa s[14:15], s11, v0 src0_sel:BYTE_0 src1_sel:DWORD
.LBB126_344:
	s_andn2_b64 vcc, exec, s[14:15]
	s_cbranch_vccnz .LBB126_346
; %bb.345:
	s_mov_b32 s22, s33
.LBB126_346:
	s_bfe_u32 s14, s22, 0x10010
	s_add_i32 s14, s22, s14
	s_addk_i32 s14, 0x7fff
	s_lshr_b32 s18, s14, 16
	v_cmp_o_f32_e64 s[14:15], s22, s22
	s_and_b64 s[14:15], s[14:15], exec
	s_cselect_b32 s14, s18, 0x7fc0
	v_mov_b32_e32 v0, s14
	global_store_dword v[10:11], v0, off
	s_mov_b64 s[18:19], -1
	s_mov_b64 s[14:15], 0
.LBB126_347:
	s_and_b64 vcc, exec, s[20:21]
	s_cbranch_vccz .LBB126_360
; %bb.348:
	v_cmp_eq_u16_e32 vcc, 44, v12
	s_mov_b64 s[14:15], -1
	s_cbranch_vccz .LBB126_360
; %bb.349:
	v_mov_b32_e32 v0, 0xff
	v_and_b32_e32 v0, s11, v0
	s_movk_i32 s14, 0x80
	v_cmp_gt_i16_e32 vcc, s14, v0
	v_readfirstlane_b32 s21, v0
	s_cbranch_vccnz .LBB126_352
; %bb.350:
	v_mov_b32_e32 v0, 0x80
	v_cmp_eq_u16_e32 vcc, s21, v0
	s_cbranch_vccz .LBB126_353
; %bb.351:
	s_mov_b64 s[14:15], 0
	s_mov_b32 s20, 0x7f800001
	s_branch .LBB126_354
.LBB126_352:
	s_mov_b64 s[18:19], -1
	s_mov_b64 s[14:15], 0
                                        ; implicit-def: $sgpr20
	s_branch .LBB126_355
.LBB126_353:
	s_mov_b64 s[14:15], -1
                                        ; implicit-def: $sgpr20
.LBB126_354:
	s_mov_b64 s[18:19], 0
.LBB126_355:
	s_and_b64 vcc, exec, s[18:19]
	s_cbranch_vccz .LBB126_365
; %bb.356:
	s_and_b32 s20, 0xffff, s21
	v_cmp_ne_u16_e64 s[14:15], s21, 0
	s_andn2_b64 vcc, exec, s[14:15]
	s_cbranch_vccz .LBB126_366
.LBB126_357:
	s_bfe_u32 s14, s20, 0x80017
	s_cmpk_eq_i32 s14, 0xff
	v_mov_b32_e32 v0, 0xff
	s_cbranch_scc1 .LBB126_359
.LBB126_358:
	s_lshr_b32 s21, s20, 23
	s_bitcmp1_b32 s20, 22
	s_cselect_b64 s[18:19], -1, 0
	s_and_b32 s15, s20, 0x3fffff
	s_or_b32 s14, s14, s15
	s_cmp_lg_u32 s14, 0
	s_cselect_b64 s[14:15], -1, 0
	s_and_b64 s[14:15], s[18:19], s[14:15]
	v_cndmask_b32_e64 v0, 0, 1, s[14:15]
	v_add_u32_e32 v0, s21, v0
.LBB126_359:
	s_mov_b64 s[18:19], -1
	s_mov_b64 s[14:15], 0
	global_store_byte v[10:11], v0, off
.LBB126_360:
	s_mov_b64 s[20:21], 0
.LBB126_361:
	s_and_b64 vcc, exec, s[20:21]
	s_cbranch_vccz .LBB126_373
; %bb.362:
	v_cmp_eq_u16_e32 vcc, 29, v12
	s_mov_b64 s[14:15], -1
	s_cbranch_vccz .LBB126_373
; %bb.363:
	v_mov_b32_e32 v0, 0x80
	v_cmp_lt_i16_sdwa s[14:15], s11, v0 src0_sel:BYTE_0 src1_sel:DWORD
	s_and_b64 vcc, exec, s[14:15]
	s_cbranch_vccnz .LBB126_367
; %bb.364:
	v_cmp_ne_u16_sdwa s[14:15], s11, v0 src0_sel:BYTE_0 src1_sel:DWORD
	s_mov_b64 s[20:21], 0
	s_mov_b64 s[18:19], 0
	s_branch .LBB126_368
.LBB126_365:
	s_andn2_b64 vcc, exec, s[14:15]
	s_cbranch_vccnz .LBB126_357
.LBB126_366:
	s_mov_b32 s20, s34
	s_bfe_u32 s14, s20, 0x80017
	s_cmpk_eq_i32 s14, 0xff
	v_mov_b32_e32 v0, 0xff
	s_cbranch_scc0 .LBB126_358
	s_branch .LBB126_359
.LBB126_367:
	s_mov_b64 s[20:21], -1
	s_mov_b64 s[14:15], 0
                                        ; implicit-def: $sgpr18_sgpr19
.LBB126_368:
	s_andn2_b64 vcc, exec, s[20:21]
	s_cbranch_vccnz .LBB126_370
; %bb.369:
	v_mov_b32_e32 v0, 0
	v_cmp_ne_u16_sdwa s[14:15], s11, v0 src0_sel:BYTE_0 src1_sel:DWORD
	s_mov_b64 s[18:19], 0
.LBB126_370:
	s_andn2_b64 vcc, exec, s[14:15]
	v_pk_mov_b32 v[0:1], s[18:19], s[18:19] op_sel:[0,1]
	s_cbranch_vccnz .LBB126_372
; %bb.371:
	v_pk_mov_b32 v[0:1], v[8:9], v[8:9] op_sel:[0,1]
.LBB126_372:
	global_store_dwordx2 v[10:11], v[0:1], off
	s_mov_b64 s[18:19], -1
	s_mov_b64 s[14:15], 0
.LBB126_373:
	s_mov_b64 s[20:21], 0
.LBB126_374:
	s_and_b64 vcc, exec, s[20:21]
	s_cbranch_vccz .LBB126_416
; %bb.375:
	v_cmp_gt_i16_e32 vcc, 27, v12
	s_mov_b64 s[18:19], -1
	s_cbranch_vccnz .LBB126_395
; %bb.376:
	v_cmp_lt_i16_e32 vcc, 27, v12
	s_cbranch_vccz .LBB126_385
; %bb.377:
	v_mov_b32_e32 v0, 0x80
	v_cmp_lt_i16_sdwa s[18:19], s11, v0 src0_sel:BYTE_0 src1_sel:DWORD
	s_and_b64 vcc, exec, s[18:19]
	s_cbranch_vccnz .LBB126_379
; %bb.378:
	v_cmp_ne_u16_sdwa s[18:19], s11, v0 src0_sel:BYTE_0 src1_sel:DWORD
	s_mov_b64 s[20:21], 0
	s_mov_b32 s22, 0
	s_branch .LBB126_380
.LBB126_379:
	s_mov_b64 s[20:21], -1
	s_mov_b64 s[18:19], 0
                                        ; implicit-def: $sgpr22
.LBB126_380:
	s_andn2_b64 vcc, exec, s[20:21]
	s_cbranch_vccnz .LBB126_382
; %bb.381:
	v_mov_b32_e32 v0, 0
	s_mov_b32 s22, 0
	v_cmp_ne_u16_sdwa s[18:19], s11, v0 src0_sel:BYTE_0 src1_sel:DWORD
.LBB126_382:
	s_andn2_b64 vcc, exec, s[18:19]
	v_mov_b32_e32 v0, s22
	s_cbranch_vccnz .LBB126_384
; %bb.383:
	v_mov_b32_e32 v0, v15
.LBB126_384:
	global_store_dword v[10:11], v0, off
	s_mov_b64 s[18:19], 0
.LBB126_385:
	s_and_b64 vcc, exec, s[18:19]
	s_cbranch_vccz .LBB126_394
; %bb.386:
	v_mov_b32_e32 v0, 0x80
	v_cmp_lt_i16_sdwa s[18:19], s11, v0 src0_sel:BYTE_0 src1_sel:DWORD
	s_and_b64 vcc, exec, s[18:19]
	s_cbranch_vccnz .LBB126_388
; %bb.387:
	v_cmp_ne_u16_sdwa s[18:19], s11, v0 src0_sel:BYTE_0 src1_sel:DWORD
	s_mov_b64 s[20:21], 0
	s_mov_b32 s22, 0
	s_branch .LBB126_389
.LBB126_388:
	s_mov_b64 s[20:21], -1
	s_mov_b64 s[18:19], 0
                                        ; implicit-def: $sgpr22
.LBB126_389:
	s_andn2_b64 vcc, exec, s[20:21]
	s_cbranch_vccnz .LBB126_391
; %bb.390:
	v_mov_b32_e32 v0, 0
	s_mov_b32 s22, 0
	v_cmp_ne_u16_sdwa s[18:19], s11, v0 src0_sel:BYTE_0 src1_sel:DWORD
.LBB126_391:
	s_andn2_b64 vcc, exec, s[18:19]
	v_mov_b32_e32 v0, s22
	s_cbranch_vccnz .LBB126_393
; %bb.392:
	v_mov_b32_e32 v0, v15
.LBB126_393:
	global_store_short v[10:11], v0, off
.LBB126_394:
	s_mov_b64 s[18:19], 0
.LBB126_395:
	s_andn2_b64 vcc, exec, s[18:19]
	s_cbranch_vccnz .LBB126_415
; %bb.396:
	v_mov_b32_e32 v0, 0x80
	v_cmp_lt_i16_sdwa s[18:19], s11, v0 src0_sel:BYTE_0 src1_sel:DWORD
	s_and_b64 vcc, exec, s[18:19]
	s_cbranch_vccnz .LBB126_399
; %bb.397:
	v_cmp_eq_u16_sdwa s[18:19], s11, v0 src0_sel:BYTE_0 src1_sel:DWORD
	s_and_b64 vcc, exec, s[18:19]
	s_cbranch_vccz .LBB126_400
; %bb.398:
	s_mov_b64 s[18:19], 0
	s_mov_b32 s22, 0x7f800001
	s_branch .LBB126_401
.LBB126_399:
	s_mov_b64 s[20:21], -1
	s_mov_b64 s[18:19], 0
                                        ; implicit-def: $sgpr22
	s_branch .LBB126_402
.LBB126_400:
	s_mov_b64 s[18:19], -1
                                        ; implicit-def: $sgpr22
.LBB126_401:
	s_mov_b64 s[20:21], 0
.LBB126_402:
	s_and_b64 vcc, exec, s[20:21]
	s_cbranch_vccz .LBB126_405
; %bb.403:
	v_mov_b32_e32 v0, 0
	s_mov_b32 s22, 0
	v_cmp_ne_u16_sdwa s[18:19], s11, v0 src0_sel:BYTE_0 src1_sel:DWORD
	s_andn2_b64 vcc, exec, s[18:19]
	s_cbranch_vccz .LBB126_406
.LBB126_404:
	s_and_b32 s18, s22, 0x7fffffff
	s_cmp_gt_u32 s18, 0x437fffff
	v_mov_b32_e32 v1, 0x80
	s_cbranch_scc0 .LBB126_407
	s_branch .LBB126_414
.LBB126_405:
	s_andn2_b64 vcc, exec, s[18:19]
	s_cbranch_vccnz .LBB126_404
.LBB126_406:
	s_mov_b32 s22, s33
	s_and_b32 s18, s22, 0x7fffffff
	s_cmp_gt_u32 s18, 0x437fffff
	v_mov_b32_e32 v1, 0x80
	s_cbranch_scc1 .LBB126_414
.LBB126_407:
	s_cmp_lt_u32 s18, 0x3c000000
	s_cbranch_scc1 .LBB126_409
; %bb.408:
	s_bfe_u32 s18, s22, 0x10014
	s_add_i32 s18, s22, s18
	s_add_i32 s18, s18, 0x487ffff
	s_lshr_b32 s23, s18, 20
	s_mov_b64 s[20:21], 0
	s_mov_b64 s[18:19], -1
	s_branch .LBB126_410
.LBB126_409:
	s_mov_b64 s[20:21], -1
	s_mov_b64 s[18:19], 0
                                        ; implicit-def: $sgpr23
.LBB126_410:
	s_andn2_b64 vcc, exec, s[20:21]
	v_mov_b32_e32 v0, s23
                                        ; implicit-def: $sgpr20
	s_cbranch_vccnz .LBB126_412
; %bb.411:
	v_mov_b32_e32 v0, 0x46000000
	v_add_f32_e64 v0, |s22|, v0
	v_and_b32_e32 v0, 0xff, v0
	s_mov_b32 s20, 0
	v_cmp_ne_u32_e64 s[18:19], 0, v0
.LBB126_412:
	s_andn2_b64 vcc, exec, s[18:19]
	v_mov_b32_e32 v1, s20
	s_cbranch_vccnz .LBB126_414
; %bb.413:
	s_lshr_b32 s18, s22, 24
	s_and_b32 s18, s18, 0x80
	v_or_b32_e32 v1, s18, v0
.LBB126_414:
	global_store_byte v[10:11], v1, off
.LBB126_415:
	s_mov_b64 s[18:19], -1
.LBB126_416:
	s_mov_b64 s[20:21], 0
.LBB126_417:
	s_and_b64 vcc, exec, s[20:21]
	s_cbranch_vccz .LBB126_496
; %bb.418:
	v_cmp_lt_i16_e32 vcc, 22, v12
	s_mov_b64 s[20:21], -1
	s_cbranch_vccz .LBB126_468
; %bb.419:
	v_cmp_gt_i16_e32 vcc, 24, v12
	s_mov_b64 s[18:19], -1
	s_cbranch_vccnz .LBB126_445
; %bb.420:
	v_cmp_lt_i16_e32 vcc, 24, v12
	s_cbranch_vccz .LBB126_422
; %bb.421:
	v_mov_b32_e32 v0, s11
	s_mov_b64 s[18:19], 0
	global_store_byte v[10:11], v0, off
.LBB126_422:
	s_andn2_b64 vcc, exec, s[18:19]
	s_cbranch_vccnz .LBB126_444
; %bb.423:
	v_mov_b32_e32 v0, 0x80
	v_cmp_lt_i16_sdwa s[18:19], s11, v0 src0_sel:BYTE_0 src1_sel:DWORD
	s_and_b64 vcc, exec, s[18:19]
	s_cbranch_vccnz .LBB126_426
; %bb.424:
	v_cmp_eq_u16_sdwa s[18:19], s11, v0 src0_sel:BYTE_0 src1_sel:DWORD
	s_and_b64 vcc, exec, s[18:19]
	s_cbranch_vccz .LBB126_427
; %bb.425:
	s_mov_b64 s[18:19], 0
	s_mov_b32 s22, 0x7f800001
	s_branch .LBB126_428
.LBB126_426:
	s_mov_b64 s[18:19], 0
                                        ; implicit-def: $sgpr22
	s_branch .LBB126_429
.LBB126_427:
	s_mov_b64 s[18:19], -1
                                        ; implicit-def: $sgpr22
.LBB126_428:
	s_mov_b64 s[20:21], 0
.LBB126_429:
	s_and_b64 vcc, exec, s[20:21]
	s_cbranch_vccz .LBB126_434
; %bb.430:
	v_mov_b32_e32 v0, 0
	s_mov_b32 s22, 0
	v_cmp_ne_u16_sdwa s[18:19], s11, v0 src0_sel:BYTE_0 src1_sel:DWORD
	s_andn2_b64 vcc, exec, s[18:19]
	s_cbranch_vccz .LBB126_435
.LBB126_431:
	s_and_b32 s20, s22, 0x7fffffff
	s_cmp_gt_u32 s20, 0x43efffff
	s_cbranch_scc1 .LBB126_436
.LBB126_432:
	s_cmp_lt_u32 s20, 0x3c800000
	s_cbranch_scc1 .LBB126_437
; %bb.433:
	s_bfe_u32 s18, s22, 0x10014
	s_add_i32 s18, s22, s18
	s_add_i32 s18, s18, 0x407ffff
	s_lshr_b32 s19, s18, 20
	s_and_b32 s18, s18, 0xff00000
	s_cmp_lg_u32 s18, 0x7f00000
	s_cselect_b32 s21, s19, 0x7e
	s_mov_b64 s[18:19], 0
	s_branch .LBB126_438
.LBB126_434:
	s_andn2_b64 vcc, exec, s[18:19]
	s_cbranch_vccnz .LBB126_431
.LBB126_435:
	s_mov_b32 s22, s33
	s_and_b32 s20, s22, 0x7fffffff
	s_cmp_gt_u32 s20, 0x43efffff
	s_cbranch_scc0 .LBB126_432
.LBB126_436:
	s_mov_b64 s[18:19], -1
                                        ; implicit-def: $vgpr0
	s_branch .LBB126_441
.LBB126_437:
	s_mov_b64 s[18:19], -1
                                        ; implicit-def: $sgpr21
.LBB126_438:
	s_andn2_b64 vcc, exec, s[18:19]
	v_mov_b32_e32 v0, s21
	s_cbranch_vccnz .LBB126_440
; %bb.439:
	v_mov_b32_e32 v0, 0x46800000
	v_add_f32_e64 v0, |s22|, v0
.LBB126_440:
	s_mov_b64 s[18:19], 0
.LBB126_441:
	s_andn2_b64 vcc, exec, s[18:19]
	s_cbranch_vccnz .LBB126_443
; %bb.442:
	s_cmp_gt_u32 s20, 0x7f800000
	s_movk_i32 s18, 0x7f
	s_cselect_b32 s18, s18, 0x7e
	v_mov_b32_e32 v0, s18
.LBB126_443:
	s_lshr_b32 s18, s22, 24
	s_and_b32 s18, s18, 0x80
	v_or_b32_e32 v0, s18, v0
	global_store_byte v[10:11], v0, off
.LBB126_444:
	s_mov_b64 s[18:19], 0
.LBB126_445:
	s_andn2_b64 vcc, exec, s[18:19]
	s_cbranch_vccnz .LBB126_467
; %bb.446:
	v_mov_b32_e32 v0, 0x80
	v_cmp_lt_i16_sdwa s[18:19], s11, v0 src0_sel:BYTE_0 src1_sel:DWORD
	s_and_b64 vcc, exec, s[18:19]
	s_cbranch_vccnz .LBB126_449
; %bb.447:
	v_cmp_eq_u16_sdwa s[18:19], s11, v0 src0_sel:BYTE_0 src1_sel:DWORD
	s_and_b64 vcc, exec, s[18:19]
	s_cbranch_vccz .LBB126_450
; %bb.448:
	s_mov_b64 s[18:19], 0
	s_mov_b32 s22, 0x7f800001
	s_branch .LBB126_451
.LBB126_449:
	s_mov_b64 s[20:21], -1
	s_mov_b64 s[18:19], 0
                                        ; implicit-def: $sgpr22
	s_branch .LBB126_452
.LBB126_450:
	s_mov_b64 s[18:19], -1
                                        ; implicit-def: $sgpr22
.LBB126_451:
	s_mov_b64 s[20:21], 0
.LBB126_452:
	s_and_b64 vcc, exec, s[20:21]
	s_cbranch_vccz .LBB126_457
; %bb.453:
	v_mov_b32_e32 v0, 0
	s_mov_b32 s22, 0
	v_cmp_ne_u16_sdwa s[18:19], s11, v0 src0_sel:BYTE_0 src1_sel:DWORD
	s_andn2_b64 vcc, exec, s[18:19]
	s_cbranch_vccz .LBB126_458
.LBB126_454:
	s_and_b32 s20, s22, 0x7fffffff
	s_cmp_gt_u32 s20, 0x477fffff
	s_cbranch_scc1 .LBB126_459
.LBB126_455:
	s_cmp_lt_u32 s20, 0x38800000
	s_cbranch_scc1 .LBB126_460
; %bb.456:
	s_bfe_u32 s18, s22, 0x10015
	s_add_i32 s18, s22, s18
	s_add_i32 s18, s18, 0x80fffff
	s_lshr_b32 s21, s18, 21
	s_mov_b64 s[18:19], 0
	s_branch .LBB126_461
.LBB126_457:
	s_andn2_b64 vcc, exec, s[18:19]
	s_cbranch_vccnz .LBB126_454
.LBB126_458:
	s_mov_b32 s22, s33
	s_and_b32 s20, s22, 0x7fffffff
	s_cmp_gt_u32 s20, 0x477fffff
	s_cbranch_scc0 .LBB126_455
.LBB126_459:
	s_mov_b64 s[18:19], -1
                                        ; implicit-def: $vgpr0
	s_branch .LBB126_464
.LBB126_460:
	s_mov_b64 s[18:19], -1
                                        ; implicit-def: $sgpr21
.LBB126_461:
	s_andn2_b64 vcc, exec, s[18:19]
	v_mov_b32_e32 v0, s21
	s_cbranch_vccnz .LBB126_463
; %bb.462:
	v_mov_b32_e32 v0, 0x43000000
	v_add_f32_e64 v0, |s22|, v0
.LBB126_463:
	s_mov_b64 s[18:19], 0
.LBB126_464:
	s_andn2_b64 vcc, exec, s[18:19]
	s_cbranch_vccnz .LBB126_466
; %bb.465:
	s_cmp_gt_u32 s20, 0x7f800000
	s_movk_i32 s18, 0x7f
	s_cselect_b32 s18, s18, 0x7c
	v_mov_b32_e32 v0, s18
.LBB126_466:
	s_lshr_b32 s18, s22, 24
	s_and_b32 s18, s18, 0x80
	v_or_b32_e32 v0, s18, v0
	global_store_byte v[10:11], v0, off
.LBB126_467:
	s_mov_b64 s[20:21], 0
	s_mov_b64 s[18:19], -1
.LBB126_468:
	s_andn2_b64 vcc, exec, s[20:21]
	s_cbranch_vccnz .LBB126_496
; %bb.469:
	v_cmp_lt_i16_e32 vcc, 14, v12
	s_mov_b64 s[20:21], -1
	s_cbranch_vccz .LBB126_483
; %bb.470:
	v_cmp_eq_u16_e32 vcc, 15, v12
	s_mov_b64 s[14:15], -1
	s_cbranch_vccz .LBB126_482
; %bb.471:
	v_mov_b32_e32 v0, 0x80
	v_cmp_lt_i16_sdwa s[14:15], s11, v0 src0_sel:BYTE_0 src1_sel:DWORD
	s_and_b64 vcc, exec, s[14:15]
	s_cbranch_vccnz .LBB126_474
; %bb.472:
	v_cmp_eq_u16_sdwa s[14:15], s11, v0 src0_sel:BYTE_0 src1_sel:DWORD
	s_and_b64 vcc, exec, s[14:15]
	s_cbranch_vccz .LBB126_475
; %bb.473:
	s_mov_b64 s[14:15], 0
	s_mov_b32 s20, 0x7f800001
	s_branch .LBB126_476
.LBB126_474:
	s_mov_b64 s[18:19], -1
	s_mov_b64 s[14:15], 0
                                        ; implicit-def: $sgpr20
	s_branch .LBB126_477
.LBB126_475:
	s_mov_b64 s[14:15], -1
                                        ; implicit-def: $sgpr20
.LBB126_476:
	s_mov_b64 s[18:19], 0
.LBB126_477:
	s_and_b64 vcc, exec, s[18:19]
	s_cbranch_vccz .LBB126_479
; %bb.478:
	v_mov_b32_e32 v0, 0
	s_mov_b32 s20, 0
	v_cmp_ne_u16_sdwa s[14:15], s11, v0 src0_sel:BYTE_0 src1_sel:DWORD
.LBB126_479:
	s_andn2_b64 vcc, exec, s[14:15]
	s_cbranch_vccnz .LBB126_481
; %bb.480:
	s_mov_b32 s20, s33
.LBB126_481:
	s_bfe_u32 s14, s20, 0x10010
	s_add_i32 s14, s20, s14
	s_addk_i32 s14, 0x7fff
	s_lshr_b32 s18, s14, 16
	v_cmp_o_f32_e64 s[14:15], s20, s20
	s_and_b64 s[14:15], s[14:15], exec
	s_cselect_b32 s14, s18, 0x7fc0
	v_mov_b32_e32 v0, s14
	global_store_short v[10:11], v0, off
	s_mov_b64 s[18:19], -1
	s_mov_b64 s[14:15], 0
.LBB126_482:
	s_mov_b64 s[20:21], 0
.LBB126_483:
	s_and_b64 vcc, exec, s[20:21]
	s_cbranch_vccz .LBB126_496
; %bb.484:
	v_cmp_eq_u16_e32 vcc, 11, v12
	s_mov_b64 s[14:15], -1
	s_cbranch_vccz .LBB126_496
; %bb.485:
	v_mov_b32_e32 v0, 0x80
	v_cmp_lt_i16_sdwa s[14:15], s11, v0 src0_sel:BYTE_0 src1_sel:DWORD
	s_and_b64 vcc, exec, s[14:15]
	s_cbranch_vccnz .LBB126_488
; %bb.486:
	v_cmp_eq_u16_sdwa s[14:15], s11, v0 src0_sel:BYTE_0 src1_sel:DWORD
	s_and_b64 vcc, exec, s[14:15]
	s_cbranch_vccz .LBB126_489
; %bb.487:
	s_mov_b64 s[18:19], 0
	s_mov_b64 s[14:15], -1
	s_branch .LBB126_490
.LBB126_488:
	s_mov_b64 s[20:21], -1
	s_mov_b64 s[18:19], 0
                                        ; implicit-def: $sgpr14_sgpr15
	s_branch .LBB126_491
.LBB126_489:
	s_mov_b64 s[18:19], -1
                                        ; implicit-def: $sgpr14_sgpr15
.LBB126_490:
	s_mov_b64 s[20:21], 0
.LBB126_491:
	s_and_b64 vcc, exec, s[20:21]
	s_cbranch_vccz .LBB126_493
; %bb.492:
	v_mov_b32_e32 v0, 0
	v_cmp_ne_u16_sdwa s[18:19], s11, v0 src0_sel:BYTE_0 src1_sel:DWORD
	s_mov_b64 s[14:15], 0
.LBB126_493:
	s_andn2_b64 vcc, exec, s[18:19]
	s_cbranch_vccnz .LBB126_495
; %bb.494:
	s_mov_b64 s[14:15], s[2:3]
.LBB126_495:
	v_cndmask_b32_e64 v0, 0, 1, s[14:15]
	global_store_byte v[10:11], v0, off
	s_mov_b64 s[18:19], -1
	s_mov_b64 s[14:15], 0
.LBB126_496:
	s_branch .LBB126_332
.LBB126_497:
	v_cmp_gt_i16_e32 vcc, 5, v12
	s_mov_b64 s[18:19], -1
	s_cbranch_vccnz .LBB126_578
; %bb.498:
	v_cmp_gt_i16_e32 vcc, 8, v12
	s_cbranch_vccnz .LBB126_538
; %bb.499:
	v_cmp_gt_i16_e32 vcc, 9, v12
	s_cbranch_vccnz .LBB126_525
; %bb.500:
	v_cmp_lt_i16_e32 vcc, 9, v12
	s_cbranch_vccz .LBB126_512
; %bb.501:
	v_mov_b32_e32 v0, 0x80
	v_cmp_lt_i16_sdwa s[18:19], s11, v0 src0_sel:BYTE_0 src1_sel:DWORD
	s_and_b64 vcc, exec, s[18:19]
	s_cbranch_vccnz .LBB126_504
; %bb.502:
	v_cmp_eq_u16_sdwa s[18:19], s11, v0 src0_sel:BYTE_0 src1_sel:DWORD
	s_and_b64 vcc, exec, s[18:19]
	s_cbranch_vccz .LBB126_505
; %bb.503:
	s_mov_b64 s[18:19], 0
	s_mov_b32 s21, 0x7ff80000
	s_brev_b32 s20, 4
	s_branch .LBB126_506
.LBB126_504:
	s_mov_b64 s[22:23], -1
	s_mov_b64 s[18:19], 0
                                        ; implicit-def: $sgpr20_sgpr21
	s_branch .LBB126_507
.LBB126_505:
	s_mov_b64 s[18:19], -1
                                        ; implicit-def: $sgpr20_sgpr21
.LBB126_506:
	s_mov_b64 s[22:23], 0
.LBB126_507:
	s_and_b64 vcc, exec, s[22:23]
	s_cbranch_vccz .LBB126_509
; %bb.508:
	v_mov_b32_e32 v0, 0
	v_cmp_ne_u16_sdwa s[18:19], s11, v0 src0_sel:BYTE_0 src1_sel:DWORD
	s_mov_b64 s[20:21], 0
.LBB126_509:
	s_andn2_b64 vcc, exec, s[18:19]
	v_pk_mov_b32 v[0:1], s[20:21], s[20:21] op_sel:[0,1]
	s_cbranch_vccnz .LBB126_511
; %bb.510:
	v_pk_mov_b32 v[0:1], v[6:7], v[6:7] op_sel:[0,1]
.LBB126_511:
	v_mov_b32_e32 v2, 0
	v_mov_b32_e32 v3, v2
	global_store_dwordx4 v[10:11], v[0:3], off
	s_mov_b64 s[18:19], 0
.LBB126_512:
	s_and_b64 vcc, exec, s[18:19]
	s_cbranch_vccz .LBB126_524
; %bb.513:
	v_mov_b32_e32 v0, 0x80
	v_cmp_lt_i16_sdwa s[18:19], s11, v0 src0_sel:BYTE_0 src1_sel:DWORD
	s_and_b64 vcc, exec, s[18:19]
	s_cbranch_vccnz .LBB126_516
; %bb.514:
	v_cmp_eq_u16_sdwa s[18:19], s11, v0 src0_sel:BYTE_0 src1_sel:DWORD
	s_and_b64 vcc, exec, s[18:19]
	s_cbranch_vccz .LBB126_517
; %bb.515:
	s_mov_b64 s[18:19], 0
	s_mov_b32 s22, 0x7f800001
	s_branch .LBB126_518
.LBB126_516:
	s_mov_b64 s[20:21], -1
	s_mov_b64 s[18:19], 0
                                        ; implicit-def: $sgpr22
	s_branch .LBB126_519
.LBB126_517:
	s_mov_b64 s[18:19], -1
                                        ; implicit-def: $sgpr22
.LBB126_518:
	s_mov_b64 s[20:21], 0
.LBB126_519:
	s_and_b64 vcc, exec, s[20:21]
	v_mov_b32_e32 v0, s22
	s_cbranch_vccz .LBB126_521
; %bb.520:
	s_mov_b32 s18, 0xffff
	v_mov_b32_e32 v0, s11
	v_mov_b32_e32 v1, 0
	v_and_b32_sdwa v0, s18, v0 dst_sel:DWORD dst_unused:UNUSED_PAD src0_sel:DWORD src1_sel:BYTE_0
	v_cmp_ne_u16_sdwa s[18:19], s11, v1 src0_sel:BYTE_0 src1_sel:DWORD
.LBB126_521:
	s_andn2_b64 vcc, exec, s[18:19]
	s_cbranch_vccnz .LBB126_523
; %bb.522:
	v_mov_b32_e32 v0, s33
.LBB126_523:
	v_mov_b32_e32 v1, 0
	global_store_dwordx2 v[10:11], v[0:1], off
.LBB126_524:
	s_mov_b64 s[18:19], 0
.LBB126_525:
	s_andn2_b64 vcc, exec, s[18:19]
	s_cbranch_vccnz .LBB126_537
; %bb.526:
	v_mov_b32_e32 v0, 0x80
	v_cmp_lt_i16_sdwa s[18:19], s11, v0 src0_sel:BYTE_0 src1_sel:DWORD
	s_and_b64 vcc, exec, s[18:19]
	s_cbranch_vccnz .LBB126_529
; %bb.527:
	v_cmp_eq_u16_sdwa s[18:19], s11, v0 src0_sel:BYTE_0 src1_sel:DWORD
	s_and_b64 vcc, exec, s[18:19]
	s_cbranch_vccz .LBB126_530
; %bb.528:
	s_mov_b64 s[18:19], 0
	s_movk_i32 s22, 0x7e00
	s_branch .LBB126_531
.LBB126_529:
	s_mov_b64 s[20:21], -1
	s_mov_b64 s[18:19], 0
                                        ; implicit-def: $sgpr22
	s_branch .LBB126_532
.LBB126_530:
	s_mov_b64 s[18:19], -1
                                        ; implicit-def: $sgpr22
.LBB126_531:
	s_mov_b64 s[20:21], 0
.LBB126_532:
	s_and_b64 vcc, exec, s[20:21]
	v_mov_b32_e32 v0, s22
	s_cbranch_vccz .LBB126_534
; %bb.533:
	s_mov_b32 s18, 0xffff
	v_mov_b32_e32 v0, s11
	v_mov_b32_e32 v1, 0
	v_and_b32_sdwa v0, s18, v0 dst_sel:DWORD dst_unused:UNUSED_PAD src0_sel:DWORD src1_sel:BYTE_0
	v_cmp_ne_u16_sdwa s[18:19], s11, v1 src0_sel:BYTE_0 src1_sel:DWORD
.LBB126_534:
	s_andn2_b64 vcc, exec, s[18:19]
	s_cbranch_vccnz .LBB126_536
; %bb.535:
	v_mov_b32_e32 v0, v14
.LBB126_536:
	global_store_dword v[10:11], v0, off
.LBB126_537:
	s_mov_b64 s[18:19], 0
.LBB126_538:
	s_andn2_b64 vcc, exec, s[18:19]
	s_cbranch_vccnz .LBB126_577
; %bb.539:
	v_cmp_gt_i16_e32 vcc, 6, v12
	s_mov_b64 s[18:19], -1
	s_cbranch_vccnz .LBB126_565
; %bb.540:
	v_cmp_lt_i16_e32 vcc, 6, v12
	s_cbranch_vccz .LBB126_552
; %bb.541:
	v_mov_b32_e32 v0, 0x80
	v_cmp_lt_i16_sdwa s[18:19], s11, v0 src0_sel:BYTE_0 src1_sel:DWORD
	s_and_b64 vcc, exec, s[18:19]
	s_cbranch_vccnz .LBB126_544
; %bb.542:
	v_cmp_eq_u16_sdwa s[18:19], s11, v0 src0_sel:BYTE_0 src1_sel:DWORD
	s_and_b64 vcc, exec, s[18:19]
	s_cbranch_vccz .LBB126_545
; %bb.543:
	s_mov_b64 s[18:19], 0
	s_mov_b32 s21, 0x7ff80000
	s_brev_b32 s20, 4
	s_branch .LBB126_546
.LBB126_544:
	s_mov_b64 s[22:23], -1
	s_mov_b64 s[18:19], 0
                                        ; implicit-def: $sgpr20_sgpr21
	s_branch .LBB126_547
.LBB126_545:
	s_mov_b64 s[18:19], -1
                                        ; implicit-def: $sgpr20_sgpr21
.LBB126_546:
	s_mov_b64 s[22:23], 0
.LBB126_547:
	s_and_b64 vcc, exec, s[22:23]
	s_cbranch_vccz .LBB126_549
; %bb.548:
	v_mov_b32_e32 v0, 0
	v_cmp_ne_u16_sdwa s[18:19], s11, v0 src0_sel:BYTE_0 src1_sel:DWORD
	s_mov_b64 s[20:21], 0
.LBB126_549:
	s_andn2_b64 vcc, exec, s[18:19]
	v_pk_mov_b32 v[0:1], s[20:21], s[20:21] op_sel:[0,1]
	s_cbranch_vccnz .LBB126_551
; %bb.550:
	v_pk_mov_b32 v[0:1], v[6:7], v[6:7] op_sel:[0,1]
.LBB126_551:
	global_store_dwordx2 v[10:11], v[0:1], off
	s_mov_b64 s[18:19], 0
.LBB126_552:
	s_and_b64 vcc, exec, s[18:19]
	s_cbranch_vccz .LBB126_564
; %bb.553:
	v_mov_b32_e32 v0, 0x80
	v_cmp_lt_i16_sdwa s[18:19], s11, v0 src0_sel:BYTE_0 src1_sel:DWORD
	s_and_b64 vcc, exec, s[18:19]
	s_cbranch_vccnz .LBB126_556
; %bb.554:
	v_cmp_eq_u16_sdwa s[18:19], s11, v0 src0_sel:BYTE_0 src1_sel:DWORD
	s_and_b64 vcc, exec, s[18:19]
	s_cbranch_vccz .LBB126_557
; %bb.555:
	s_mov_b64 s[18:19], 0
	s_mov_b32 s22, 0x7f800001
	s_branch .LBB126_558
.LBB126_556:
	s_mov_b64 s[20:21], -1
	s_mov_b64 s[18:19], 0
                                        ; implicit-def: $sgpr22
	s_branch .LBB126_559
.LBB126_557:
	s_mov_b64 s[18:19], -1
                                        ; implicit-def: $sgpr22
.LBB126_558:
	s_mov_b64 s[20:21], 0
.LBB126_559:
	s_and_b64 vcc, exec, s[20:21]
	s_cbranch_vccz .LBB126_561
; %bb.560:
	v_mov_b32_e32 v0, 0
	s_mov_b32 s22, 0
	v_cmp_ne_u16_sdwa s[18:19], s11, v0 src0_sel:BYTE_0 src1_sel:DWORD
.LBB126_561:
	s_andn2_b64 vcc, exec, s[18:19]
	s_cbranch_vccnz .LBB126_563
; %bb.562:
	s_mov_b32 s22, s33
.LBB126_563:
	v_mov_b32_e32 v0, s22
	global_store_dword v[10:11], v0, off
.LBB126_564:
	s_mov_b64 s[18:19], 0
.LBB126_565:
	s_andn2_b64 vcc, exec, s[18:19]
	s_cbranch_vccnz .LBB126_577
; %bb.566:
	v_mov_b32_e32 v0, 0xff
	v_and_b32_e32 v0, s11, v0
	s_movk_i32 s18, 0x80
	v_cmp_gt_i16_e32 vcc, s18, v0
	s_cbranch_vccnz .LBB126_569
; %bb.567:
	v_cmp_eq_u16_e32 vcc, s18, v0
	s_cbranch_vccz .LBB126_570
; %bb.568:
	s_mov_b64 s[18:19], 0
	s_movk_i32 s22, 0x7e00
	s_branch .LBB126_571
.LBB126_569:
	s_mov_b64 s[20:21], -1
	s_mov_b64 s[18:19], 0
                                        ; implicit-def: $sgpr22
	s_branch .LBB126_572
.LBB126_570:
	s_mov_b64 s[18:19], -1
                                        ; implicit-def: $sgpr22
.LBB126_571:
	s_mov_b64 s[20:21], 0
.LBB126_572:
	s_and_b64 vcc, exec, s[20:21]
	v_mov_b32_e32 v1, s22
	s_cbranch_vccz .LBB126_574
; %bb.573:
	v_cmp_ne_u16_e64 s[18:19], 0, v0
	v_mov_b32_e32 v1, v0
.LBB126_574:
	s_andn2_b64 vcc, exec, s[18:19]
	s_cbranch_vccnz .LBB126_576
; %bb.575:
	v_mov_b32_e32 v1, v14
.LBB126_576:
	global_store_short v[10:11], v1, off
.LBB126_577:
	s_mov_b64 s[18:19], 0
.LBB126_578:
	s_andn2_b64 vcc, exec, s[18:19]
	s_cbranch_vccnz .LBB126_629
; %bb.579:
	v_cmp_gt_i16_e32 vcc, 2, v12
	s_mov_b64 s[18:19], -1
	s_cbranch_vccnz .LBB126_610
; %bb.580:
	v_cmp_gt_i16_e32 vcc, 3, v12
	s_cbranch_vccnz .LBB126_600
; %bb.581:
	v_cmp_lt_i16_e32 vcc, 3, v12
	s_cbranch_vccz .LBB126_590
; %bb.582:
	v_mov_b32_e32 v0, 0x80
	v_cmp_lt_i16_sdwa s[18:19], s11, v0 src0_sel:BYTE_0 src1_sel:DWORD
	s_and_b64 vcc, exec, s[18:19]
	s_cbranch_vccnz .LBB126_584
; %bb.583:
	v_cmp_ne_u16_sdwa s[18:19], s11, v0 src0_sel:BYTE_0 src1_sel:DWORD
	s_mov_b64 s[22:23], 0
	s_mov_b64 s[20:21], 0
	s_branch .LBB126_585
.LBB126_584:
	s_mov_b64 s[22:23], -1
	s_mov_b64 s[18:19], 0
                                        ; implicit-def: $sgpr20_sgpr21
.LBB126_585:
	s_andn2_b64 vcc, exec, s[22:23]
	s_cbranch_vccnz .LBB126_587
; %bb.586:
	v_mov_b32_e32 v0, 0
	v_cmp_ne_u16_sdwa s[18:19], s11, v0 src0_sel:BYTE_0 src1_sel:DWORD
	s_mov_b64 s[20:21], 0
.LBB126_587:
	s_andn2_b64 vcc, exec, s[18:19]
	v_pk_mov_b32 v[0:1], s[20:21], s[20:21] op_sel:[0,1]
	s_cbranch_vccnz .LBB126_589
; %bb.588:
	v_pk_mov_b32 v[0:1], v[4:5], v[4:5] op_sel:[0,1]
.LBB126_589:
	global_store_dwordx2 v[10:11], v[0:1], off
	s_mov_b64 s[18:19], 0
.LBB126_590:
	s_and_b64 vcc, exec, s[18:19]
	s_cbranch_vccz .LBB126_599
; %bb.591:
	v_mov_b32_e32 v0, 0x80
	v_cmp_lt_i16_sdwa s[18:19], s11, v0 src0_sel:BYTE_0 src1_sel:DWORD
	s_and_b64 vcc, exec, s[18:19]
	s_cbranch_vccnz .LBB126_593
; %bb.592:
	v_cmp_ne_u16_sdwa s[18:19], s11, v0 src0_sel:BYTE_0 src1_sel:DWORD
	s_mov_b64 s[20:21], 0
	s_mov_b32 s22, 0
	s_branch .LBB126_594
.LBB126_593:
	s_mov_b64 s[20:21], -1
	s_mov_b64 s[18:19], 0
                                        ; implicit-def: $sgpr22
.LBB126_594:
	s_andn2_b64 vcc, exec, s[20:21]
	s_cbranch_vccnz .LBB126_596
; %bb.595:
	v_mov_b32_e32 v0, 0
	s_mov_b32 s22, 0
	v_cmp_ne_u16_sdwa s[18:19], s11, v0 src0_sel:BYTE_0 src1_sel:DWORD
.LBB126_596:
	s_andn2_b64 vcc, exec, s[18:19]
	v_mov_b32_e32 v0, s22
	s_cbranch_vccnz .LBB126_598
; %bb.597:
	v_mov_b32_e32 v0, v13
.LBB126_598:
	global_store_dword v[10:11], v0, off
.LBB126_599:
	s_mov_b64 s[18:19], 0
.LBB126_600:
	s_andn2_b64 vcc, exec, s[18:19]
	s_cbranch_vccnz .LBB126_609
; %bb.601:
	v_mov_b32_e32 v0, 0x80
	v_cmp_lt_i16_sdwa s[18:19], s11, v0 src0_sel:BYTE_0 src1_sel:DWORD
	s_and_b64 vcc, exec, s[18:19]
	s_cbranch_vccnz .LBB126_603
; %bb.602:
	v_cmp_ne_u16_sdwa s[18:19], s11, v0 src0_sel:BYTE_0 src1_sel:DWORD
	s_mov_b64 s[20:21], 0
	s_mov_b32 s22, 0
	s_branch .LBB126_604
.LBB126_603:
	s_mov_b64 s[20:21], -1
	s_mov_b64 s[18:19], 0
                                        ; implicit-def: $sgpr22
.LBB126_604:
	s_andn2_b64 vcc, exec, s[20:21]
	s_cbranch_vccnz .LBB126_606
; %bb.605:
	v_mov_b32_e32 v0, 0
	s_mov_b32 s22, 0
	v_cmp_ne_u16_sdwa s[18:19], s11, v0 src0_sel:BYTE_0 src1_sel:DWORD
.LBB126_606:
	s_andn2_b64 vcc, exec, s[18:19]
	v_mov_b32_e32 v0, s22
	s_cbranch_vccnz .LBB126_608
; %bb.607:
	v_mov_b32_e32 v0, v13
.LBB126_608:
	global_store_short v[10:11], v0, off
.LBB126_609:
	s_mov_b64 s[18:19], 0
.LBB126_610:
	s_andn2_b64 vcc, exec, s[18:19]
	s_cbranch_vccnz .LBB126_629
; %bb.611:
	v_cmp_lt_i16_e32 vcc, 0, v12
	s_mov_b64 s[18:19], -1
	s_cbranch_vccz .LBB126_620
; %bb.612:
	v_mov_b32_e32 v0, 0x80
	v_cmp_lt_i16_sdwa s[18:19], s11, v0 src0_sel:BYTE_0 src1_sel:DWORD
	s_and_b64 vcc, exec, s[18:19]
	s_cbranch_vccnz .LBB126_614
; %bb.613:
	v_cmp_ne_u16_sdwa s[18:19], s11, v0 src0_sel:BYTE_0 src1_sel:DWORD
	s_mov_b64 s[20:21], 0
	s_mov_b32 s22, 0
	s_branch .LBB126_615
.LBB126_614:
	s_mov_b64 s[20:21], -1
	s_mov_b64 s[18:19], 0
                                        ; implicit-def: $sgpr22
.LBB126_615:
	s_andn2_b64 vcc, exec, s[20:21]
	s_cbranch_vccnz .LBB126_617
; %bb.616:
	v_mov_b32_e32 v0, 0
	s_mov_b32 s22, 0
	v_cmp_ne_u16_sdwa s[18:19], s11, v0 src0_sel:BYTE_0 src1_sel:DWORD
.LBB126_617:
	s_andn2_b64 vcc, exec, s[18:19]
	v_mov_b32_e32 v0, s22
	s_cbranch_vccnz .LBB126_619
; %bb.618:
	v_mov_b32_e32 v0, v13
.LBB126_619:
	global_store_byte v[10:11], v0, off
	s_mov_b64 s[18:19], 0
.LBB126_620:
	s_and_b64 vcc, exec, s[18:19]
	s_cbranch_vccz .LBB126_629
; %bb.621:
	v_mov_b32_e32 v0, 0x80
	v_cmp_lt_i16_sdwa s[18:19], s11, v0 src0_sel:BYTE_0 src1_sel:DWORD
	s_and_b64 vcc, exec, s[18:19]
	s_cbranch_vccnz .LBB126_623
; %bb.622:
	v_cmp_ne_u16_sdwa s[18:19], s11, v0 src0_sel:BYTE_0 src1_sel:DWORD
	s_mov_b64 s[20:21], 0
	s_mov_b32 s22, 0
	s_branch .LBB126_624
.LBB126_623:
	s_mov_b64 s[20:21], -1
	s_mov_b64 s[18:19], 0
                                        ; implicit-def: $sgpr22
.LBB126_624:
	s_andn2_b64 vcc, exec, s[20:21]
	s_cbranch_vccnz .LBB126_626
; %bb.625:
	v_mov_b32_e32 v0, 0
	s_mov_b32 s22, 0
	v_cmp_ne_u16_sdwa s[18:19], s11, v0 src0_sel:BYTE_0 src1_sel:DWORD
.LBB126_626:
	s_andn2_b64 vcc, exec, s[18:19]
	v_mov_b32_e32 v0, s22
	s_cbranch_vccnz .LBB126_628
; %bb.627:
	v_mov_b32_e32 v0, v4
.LBB126_628:
	global_store_byte v[10:11], v0, off
.LBB126_629:
	s_branch .LBB126_333
.LBB126_630:
	s_mov_b64 s[18:19], 0
                                        ; implicit-def: $vgpr16
.LBB126_631:
	s_andn2_b64 s[20:21], s[6:7], exec
	s_and_b64 s[14:15], s[14:15], exec
	s_or_b64 s[14:15], s[20:21], s[14:15]
	s_orn2_b64 s[20:21], s[18:19], exec
.LBB126_632:
	s_or_b64 exec, exec, s[16:17]
	s_mov_b64 s[22:23], 0
	s_mov_b64 s[18:19], 0
                                        ; implicit-def: $vgpr10_vgpr11
	s_and_saveexec_b64 s[16:17], s[20:21]
	s_cbranch_execz .LBB126_1106
; %bb.633:
	v_cmp_gt_i32_e32 vcc, s30, v16
	s_mov_b64 s[24:25], -1
	s_mov_b64 s[20:21], s[14:15]
	s_and_saveexec_b64 s[18:19], vcc
	s_cbranch_execz .LBB126_944
; %bb.634:
	v_mul_lo_u32 v0, v16, s10
	v_ashrrev_i32_e32 v1, 31, v0
	v_mov_b32_e32 v2, s9
	v_add_co_u32_e32 v10, vcc, s8, v0
	v_addc_co_u32_e32 v11, vcc, v2, v1, vcc
	v_cmp_gt_i16_e32 vcc, 11, v12
	s_cbranch_vccnz .LBB126_643
; %bb.635:
	v_cmp_lt_i16_e32 vcc, 25, v12
	s_cbranch_vccz .LBB126_644
; %bb.636:
	v_cmp_lt_i16_e32 vcc, 28, v12
	s_cbranch_vccz .LBB126_645
	;; [unrolled: 3-line block ×4, first 2 shown]
; %bb.639:
	v_cmp_eq_u16_e32 vcc, 46, v12
	s_mov_b64 s[24:25], 0
	s_mov_b64 s[20:21], -1
	s_cbranch_vccz .LBB126_656
; %bb.640:
	v_mov_b32_e32 v0, 0x80
	v_cmp_lt_i16_sdwa s[20:21], s11, v0 src0_sel:BYTE_0 src1_sel:DWORD
	s_and_b64 vcc, exec, s[20:21]
	s_cbranch_vccnz .LBB126_648
; %bb.641:
	v_cmp_eq_u16_sdwa s[20:21], s11, v0 src0_sel:BYTE_0 src1_sel:DWORD
	s_and_b64 vcc, exec, s[20:21]
	s_cbranch_vccz .LBB126_649
; %bb.642:
	s_mov_b64 s[20:21], 0
	s_mov_b32 s26, 0x7f800001
	s_branch .LBB126_651
.LBB126_643:
	s_mov_b64 s[20:21], s[14:15]
	s_branch .LBB126_806
.LBB126_644:
	s_mov_b64 s[20:21], s[14:15]
	s_branch .LBB126_726
.LBB126_645:
	s_mov_b64 s[20:21], s[14:15]
	s_branch .LBB126_683
.LBB126_646:
	s_mov_b64 s[20:21], s[14:15]
	s_branch .LBB126_670
.LBB126_647:
	s_mov_b64 s[20:21], s[14:15]
	s_branch .LBB126_656
.LBB126_648:
	s_mov_b64 s[22:23], -1
	s_mov_b64 s[20:21], 0
	s_branch .LBB126_650
.LBB126_649:
	s_mov_b64 s[20:21], -1
.LBB126_650:
                                        ; implicit-def: $sgpr26
.LBB126_651:
	s_and_b64 vcc, exec, s[22:23]
	s_cbranch_vccz .LBB126_653
; %bb.652:
	v_mov_b32_e32 v0, 0
	s_mov_b32 s26, 0
	v_cmp_ne_u16_sdwa s[20:21], s11, v0 src0_sel:BYTE_0 src1_sel:DWORD
.LBB126_653:
	s_andn2_b64 vcc, exec, s[20:21]
	s_cbranch_vccnz .LBB126_655
; %bb.654:
	s_mov_b32 s26, s33
.LBB126_655:
	s_bfe_u32 s20, s26, 0x10010
	s_add_i32 s20, s26, s20
	s_addk_i32 s20, 0x7fff
	s_lshr_b32 s22, s20, 16
	v_cmp_o_f32_e64 s[20:21], s26, s26
	s_and_b64 s[20:21], s[20:21], exec
	s_cselect_b32 s20, s22, 0x7fc0
	v_mov_b32_e32 v0, s20
	global_store_dword v[10:11], v0, off
	s_mov_b64 s[22:23], -1
	s_mov_b64 s[20:21], 0
.LBB126_656:
	s_and_b64 vcc, exec, s[24:25]
	s_cbranch_vccz .LBB126_669
; %bb.657:
	v_cmp_eq_u16_e32 vcc, 44, v12
	s_mov_b64 s[20:21], -1
	s_cbranch_vccz .LBB126_669
; %bb.658:
	v_mov_b32_e32 v0, 0xff
	v_and_b32_e32 v0, s11, v0
	s_movk_i32 s20, 0x80
	v_cmp_gt_i16_e32 vcc, s20, v0
	v_readfirstlane_b32 s25, v0
	s_cbranch_vccnz .LBB126_661
; %bb.659:
	v_mov_b32_e32 v0, 0x80
	v_cmp_eq_u16_e32 vcc, s25, v0
	s_cbranch_vccz .LBB126_662
; %bb.660:
	s_mov_b64 s[20:21], 0
	s_mov_b32 s24, 0x7f800001
	s_branch .LBB126_663
.LBB126_661:
	s_mov_b64 s[22:23], -1
	s_mov_b64 s[20:21], 0
                                        ; implicit-def: $sgpr24
	s_branch .LBB126_664
.LBB126_662:
	s_mov_b64 s[20:21], -1
                                        ; implicit-def: $sgpr24
.LBB126_663:
	s_mov_b64 s[22:23], 0
.LBB126_664:
	s_and_b64 vcc, exec, s[22:23]
	s_cbranch_vccz .LBB126_674
; %bb.665:
	s_and_b32 s24, 0xffff, s25
	v_cmp_ne_u16_e64 s[20:21], s25, 0
	s_andn2_b64 vcc, exec, s[20:21]
	s_cbranch_vccz .LBB126_675
.LBB126_666:
	s_bfe_u32 s20, s24, 0x80017
	s_cmpk_eq_i32 s20, 0xff
	v_mov_b32_e32 v0, 0xff
	s_cbranch_scc1 .LBB126_668
.LBB126_667:
	s_lshr_b32 s25, s24, 23
	s_bitcmp1_b32 s24, 22
	s_cselect_b64 s[22:23], -1, 0
	s_and_b32 s21, s24, 0x3fffff
	s_or_b32 s20, s20, s21
	s_cmp_lg_u32 s20, 0
	s_cselect_b64 s[20:21], -1, 0
	s_and_b64 s[20:21], s[22:23], s[20:21]
	v_cndmask_b32_e64 v0, 0, 1, s[20:21]
	v_add_u32_e32 v0, s25, v0
.LBB126_668:
	s_mov_b64 s[22:23], -1
	s_mov_b64 s[20:21], 0
	global_store_byte v[10:11], v0, off
.LBB126_669:
	s_mov_b64 s[24:25], 0
.LBB126_670:
	s_and_b64 vcc, exec, s[24:25]
	s_cbranch_vccz .LBB126_682
; %bb.671:
	v_cmp_eq_u16_e32 vcc, 29, v12
	s_mov_b64 s[20:21], -1
	s_cbranch_vccz .LBB126_682
; %bb.672:
	v_mov_b32_e32 v0, 0x80
	v_cmp_lt_i16_sdwa s[20:21], s11, v0 src0_sel:BYTE_0 src1_sel:DWORD
	s_and_b64 vcc, exec, s[20:21]
	s_cbranch_vccnz .LBB126_676
; %bb.673:
	v_cmp_ne_u16_sdwa s[20:21], s11, v0 src0_sel:BYTE_0 src1_sel:DWORD
	s_mov_b64 s[24:25], 0
	s_mov_b64 s[22:23], 0
	s_branch .LBB126_677
.LBB126_674:
	s_andn2_b64 vcc, exec, s[20:21]
	s_cbranch_vccnz .LBB126_666
.LBB126_675:
	s_mov_b32 s24, s34
	s_bfe_u32 s20, s24, 0x80017
	s_cmpk_eq_i32 s20, 0xff
	v_mov_b32_e32 v0, 0xff
	s_cbranch_scc0 .LBB126_667
	s_branch .LBB126_668
.LBB126_676:
	s_mov_b64 s[24:25], -1
	s_mov_b64 s[20:21], 0
                                        ; implicit-def: $sgpr22_sgpr23
.LBB126_677:
	s_andn2_b64 vcc, exec, s[24:25]
	s_cbranch_vccnz .LBB126_679
; %bb.678:
	v_mov_b32_e32 v0, 0
	v_cmp_ne_u16_sdwa s[20:21], s11, v0 src0_sel:BYTE_0 src1_sel:DWORD
	s_mov_b64 s[22:23], 0
.LBB126_679:
	s_andn2_b64 vcc, exec, s[20:21]
	v_pk_mov_b32 v[0:1], s[22:23], s[22:23] op_sel:[0,1]
	s_cbranch_vccnz .LBB126_681
; %bb.680:
	v_pk_mov_b32 v[0:1], v[8:9], v[8:9] op_sel:[0,1]
.LBB126_681:
	global_store_dwordx2 v[10:11], v[0:1], off
	s_mov_b64 s[22:23], -1
	s_mov_b64 s[20:21], 0
.LBB126_682:
	s_mov_b64 s[24:25], 0
.LBB126_683:
	s_and_b64 vcc, exec, s[24:25]
	s_cbranch_vccz .LBB126_725
; %bb.684:
	v_cmp_gt_i16_e32 vcc, 27, v12
	s_mov_b64 s[22:23], -1
	s_cbranch_vccnz .LBB126_704
; %bb.685:
	v_cmp_lt_i16_e32 vcc, 27, v12
	s_cbranch_vccz .LBB126_694
; %bb.686:
	v_mov_b32_e32 v0, 0x80
	v_cmp_lt_i16_sdwa s[22:23], s11, v0 src0_sel:BYTE_0 src1_sel:DWORD
	s_and_b64 vcc, exec, s[22:23]
	s_cbranch_vccnz .LBB126_688
; %bb.687:
	v_cmp_ne_u16_sdwa s[22:23], s11, v0 src0_sel:BYTE_0 src1_sel:DWORD
	s_mov_b64 s[24:25], 0
	s_mov_b32 s26, 0
	s_branch .LBB126_689
.LBB126_688:
	s_mov_b64 s[24:25], -1
	s_mov_b64 s[22:23], 0
                                        ; implicit-def: $sgpr26
.LBB126_689:
	s_andn2_b64 vcc, exec, s[24:25]
	s_cbranch_vccnz .LBB126_691
; %bb.690:
	v_mov_b32_e32 v0, 0
	s_mov_b32 s26, 0
	v_cmp_ne_u16_sdwa s[22:23], s11, v0 src0_sel:BYTE_0 src1_sel:DWORD
.LBB126_691:
	s_andn2_b64 vcc, exec, s[22:23]
	v_mov_b32_e32 v0, s26
	s_cbranch_vccnz .LBB126_693
; %bb.692:
	v_mov_b32_e32 v0, v15
.LBB126_693:
	global_store_dword v[10:11], v0, off
	s_mov_b64 s[22:23], 0
.LBB126_694:
	s_and_b64 vcc, exec, s[22:23]
	s_cbranch_vccz .LBB126_703
; %bb.695:
	v_mov_b32_e32 v0, 0x80
	v_cmp_lt_i16_sdwa s[22:23], s11, v0 src0_sel:BYTE_0 src1_sel:DWORD
	s_and_b64 vcc, exec, s[22:23]
	s_cbranch_vccnz .LBB126_697
; %bb.696:
	v_cmp_ne_u16_sdwa s[22:23], s11, v0 src0_sel:BYTE_0 src1_sel:DWORD
	s_mov_b64 s[24:25], 0
	s_mov_b32 s26, 0
	s_branch .LBB126_698
.LBB126_697:
	s_mov_b64 s[24:25], -1
	s_mov_b64 s[22:23], 0
                                        ; implicit-def: $sgpr26
.LBB126_698:
	s_andn2_b64 vcc, exec, s[24:25]
	s_cbranch_vccnz .LBB126_700
; %bb.699:
	v_mov_b32_e32 v0, 0
	s_mov_b32 s26, 0
	v_cmp_ne_u16_sdwa s[22:23], s11, v0 src0_sel:BYTE_0 src1_sel:DWORD
.LBB126_700:
	s_andn2_b64 vcc, exec, s[22:23]
	v_mov_b32_e32 v0, s26
	s_cbranch_vccnz .LBB126_702
; %bb.701:
	v_mov_b32_e32 v0, v15
.LBB126_702:
	global_store_short v[10:11], v0, off
.LBB126_703:
	s_mov_b64 s[22:23], 0
.LBB126_704:
	s_andn2_b64 vcc, exec, s[22:23]
	s_cbranch_vccnz .LBB126_724
; %bb.705:
	v_mov_b32_e32 v0, 0x80
	v_cmp_lt_i16_sdwa s[22:23], s11, v0 src0_sel:BYTE_0 src1_sel:DWORD
	s_and_b64 vcc, exec, s[22:23]
	s_cbranch_vccnz .LBB126_708
; %bb.706:
	v_cmp_eq_u16_sdwa s[22:23], s11, v0 src0_sel:BYTE_0 src1_sel:DWORD
	s_and_b64 vcc, exec, s[22:23]
	s_cbranch_vccz .LBB126_709
; %bb.707:
	s_mov_b64 s[22:23], 0
	s_mov_b32 s26, 0x7f800001
	s_branch .LBB126_710
.LBB126_708:
	s_mov_b64 s[24:25], -1
	s_mov_b64 s[22:23], 0
                                        ; implicit-def: $sgpr26
	s_branch .LBB126_711
.LBB126_709:
	s_mov_b64 s[22:23], -1
                                        ; implicit-def: $sgpr26
.LBB126_710:
	s_mov_b64 s[24:25], 0
.LBB126_711:
	s_and_b64 vcc, exec, s[24:25]
	s_cbranch_vccz .LBB126_714
; %bb.712:
	v_mov_b32_e32 v0, 0
	s_mov_b32 s26, 0
	v_cmp_ne_u16_sdwa s[22:23], s11, v0 src0_sel:BYTE_0 src1_sel:DWORD
	s_andn2_b64 vcc, exec, s[22:23]
	s_cbranch_vccz .LBB126_715
.LBB126_713:
	s_and_b32 s22, s26, 0x7fffffff
	s_cmp_gt_u32 s22, 0x437fffff
	v_mov_b32_e32 v1, 0x80
	s_cbranch_scc0 .LBB126_716
	s_branch .LBB126_723
.LBB126_714:
	s_andn2_b64 vcc, exec, s[22:23]
	s_cbranch_vccnz .LBB126_713
.LBB126_715:
	s_mov_b32 s26, s33
	s_and_b32 s22, s26, 0x7fffffff
	s_cmp_gt_u32 s22, 0x437fffff
	v_mov_b32_e32 v1, 0x80
	s_cbranch_scc1 .LBB126_723
.LBB126_716:
	s_cmp_lt_u32 s22, 0x3c000000
	s_cbranch_scc1 .LBB126_718
; %bb.717:
	s_bfe_u32 s22, s26, 0x10014
	s_add_i32 s22, s26, s22
	s_add_i32 s22, s22, 0x487ffff
	s_lshr_b32 s27, s22, 20
	s_mov_b64 s[24:25], 0
	s_mov_b64 s[22:23], -1
	s_branch .LBB126_719
.LBB126_718:
	s_mov_b64 s[24:25], -1
	s_mov_b64 s[22:23], 0
                                        ; implicit-def: $sgpr27
.LBB126_719:
	s_andn2_b64 vcc, exec, s[24:25]
	v_mov_b32_e32 v0, s27
                                        ; implicit-def: $sgpr24
	s_cbranch_vccnz .LBB126_721
; %bb.720:
	v_mov_b32_e32 v0, 0x46000000
	v_add_f32_e64 v0, |s26|, v0
	v_and_b32_e32 v0, 0xff, v0
	s_mov_b32 s24, 0
	v_cmp_ne_u32_e64 s[22:23], 0, v0
.LBB126_721:
	s_andn2_b64 vcc, exec, s[22:23]
	v_mov_b32_e32 v1, s24
	s_cbranch_vccnz .LBB126_723
; %bb.722:
	s_lshr_b32 s22, s26, 24
	s_and_b32 s22, s22, 0x80
	v_or_b32_e32 v1, s22, v0
.LBB126_723:
	global_store_byte v[10:11], v1, off
.LBB126_724:
	s_mov_b64 s[22:23], -1
.LBB126_725:
	s_mov_b64 s[24:25], 0
.LBB126_726:
	s_and_b64 vcc, exec, s[24:25]
	s_cbranch_vccz .LBB126_805
; %bb.727:
	v_cmp_lt_i16_e32 vcc, 22, v12
	s_mov_b64 s[24:25], -1
	s_cbranch_vccz .LBB126_777
; %bb.728:
	v_cmp_gt_i16_e32 vcc, 24, v12
	s_mov_b64 s[22:23], -1
	s_cbranch_vccnz .LBB126_754
; %bb.729:
	v_cmp_lt_i16_e32 vcc, 24, v12
	s_cbranch_vccz .LBB126_731
; %bb.730:
	v_mov_b32_e32 v0, s11
	s_mov_b64 s[22:23], 0
	global_store_byte v[10:11], v0, off
.LBB126_731:
	s_andn2_b64 vcc, exec, s[22:23]
	s_cbranch_vccnz .LBB126_753
; %bb.732:
	v_mov_b32_e32 v0, 0x80
	v_cmp_lt_i16_sdwa s[22:23], s11, v0 src0_sel:BYTE_0 src1_sel:DWORD
	s_and_b64 vcc, exec, s[22:23]
	s_cbranch_vccnz .LBB126_735
; %bb.733:
	v_cmp_eq_u16_sdwa s[22:23], s11, v0 src0_sel:BYTE_0 src1_sel:DWORD
	s_and_b64 vcc, exec, s[22:23]
	s_cbranch_vccz .LBB126_736
; %bb.734:
	s_mov_b64 s[22:23], 0
	s_mov_b32 s26, 0x7f800001
	s_branch .LBB126_737
.LBB126_735:
	s_mov_b64 s[22:23], 0
                                        ; implicit-def: $sgpr26
	s_branch .LBB126_738
.LBB126_736:
	s_mov_b64 s[22:23], -1
                                        ; implicit-def: $sgpr26
.LBB126_737:
	s_mov_b64 s[24:25], 0
.LBB126_738:
	s_and_b64 vcc, exec, s[24:25]
	s_cbranch_vccz .LBB126_743
; %bb.739:
	v_mov_b32_e32 v0, 0
	s_mov_b32 s26, 0
	v_cmp_ne_u16_sdwa s[22:23], s11, v0 src0_sel:BYTE_0 src1_sel:DWORD
	s_andn2_b64 vcc, exec, s[22:23]
	s_cbranch_vccz .LBB126_744
.LBB126_740:
	s_and_b32 s24, s26, 0x7fffffff
	s_cmp_gt_u32 s24, 0x43efffff
	s_cbranch_scc1 .LBB126_745
.LBB126_741:
	s_cmp_lt_u32 s24, 0x3c800000
	s_cbranch_scc1 .LBB126_746
; %bb.742:
	s_bfe_u32 s22, s26, 0x10014
	s_add_i32 s22, s26, s22
	s_add_i32 s22, s22, 0x407ffff
	s_lshr_b32 s23, s22, 20
	s_and_b32 s22, s22, 0xff00000
	s_cmp_lg_u32 s22, 0x7f00000
	s_cselect_b32 s25, s23, 0x7e
	s_mov_b64 s[22:23], 0
	s_branch .LBB126_747
.LBB126_743:
	s_andn2_b64 vcc, exec, s[22:23]
	s_cbranch_vccnz .LBB126_740
.LBB126_744:
	s_mov_b32 s26, s33
	s_and_b32 s24, s26, 0x7fffffff
	s_cmp_gt_u32 s24, 0x43efffff
	s_cbranch_scc0 .LBB126_741
.LBB126_745:
	s_mov_b64 s[22:23], -1
                                        ; implicit-def: $vgpr0
	s_branch .LBB126_750
.LBB126_746:
	s_mov_b64 s[22:23], -1
                                        ; implicit-def: $sgpr25
.LBB126_747:
	s_andn2_b64 vcc, exec, s[22:23]
	v_mov_b32_e32 v0, s25
	s_cbranch_vccnz .LBB126_749
; %bb.748:
	v_mov_b32_e32 v0, 0x46800000
	v_add_f32_e64 v0, |s26|, v0
.LBB126_749:
	s_mov_b64 s[22:23], 0
.LBB126_750:
	s_andn2_b64 vcc, exec, s[22:23]
	s_cbranch_vccnz .LBB126_752
; %bb.751:
	s_cmp_gt_u32 s24, 0x7f800000
	s_movk_i32 s22, 0x7f
	s_cselect_b32 s22, s22, 0x7e
	v_mov_b32_e32 v0, s22
.LBB126_752:
	s_lshr_b32 s22, s26, 24
	s_and_b32 s22, s22, 0x80
	v_or_b32_e32 v0, s22, v0
	global_store_byte v[10:11], v0, off
.LBB126_753:
	s_mov_b64 s[22:23], 0
.LBB126_754:
	s_andn2_b64 vcc, exec, s[22:23]
	s_cbranch_vccnz .LBB126_776
; %bb.755:
	v_mov_b32_e32 v0, 0x80
	v_cmp_lt_i16_sdwa s[22:23], s11, v0 src0_sel:BYTE_0 src1_sel:DWORD
	s_and_b64 vcc, exec, s[22:23]
	s_cbranch_vccnz .LBB126_758
; %bb.756:
	v_cmp_eq_u16_sdwa s[22:23], s11, v0 src0_sel:BYTE_0 src1_sel:DWORD
	s_and_b64 vcc, exec, s[22:23]
	s_cbranch_vccz .LBB126_759
; %bb.757:
	s_mov_b64 s[22:23], 0
	s_mov_b32 s26, 0x7f800001
	s_branch .LBB126_760
.LBB126_758:
	s_mov_b64 s[24:25], -1
	s_mov_b64 s[22:23], 0
                                        ; implicit-def: $sgpr26
	s_branch .LBB126_761
.LBB126_759:
	s_mov_b64 s[22:23], -1
                                        ; implicit-def: $sgpr26
.LBB126_760:
	s_mov_b64 s[24:25], 0
.LBB126_761:
	s_and_b64 vcc, exec, s[24:25]
	s_cbranch_vccz .LBB126_766
; %bb.762:
	v_mov_b32_e32 v0, 0
	s_mov_b32 s26, 0
	v_cmp_ne_u16_sdwa s[22:23], s11, v0 src0_sel:BYTE_0 src1_sel:DWORD
	s_andn2_b64 vcc, exec, s[22:23]
	s_cbranch_vccz .LBB126_767
.LBB126_763:
	s_and_b32 s24, s26, 0x7fffffff
	s_cmp_gt_u32 s24, 0x477fffff
	s_cbranch_scc1 .LBB126_768
.LBB126_764:
	s_cmp_lt_u32 s24, 0x38800000
	s_cbranch_scc1 .LBB126_769
; %bb.765:
	s_bfe_u32 s22, s26, 0x10015
	s_add_i32 s22, s26, s22
	s_add_i32 s22, s22, 0x80fffff
	s_lshr_b32 s25, s22, 21
	s_mov_b64 s[22:23], 0
	s_branch .LBB126_770
.LBB126_766:
	s_andn2_b64 vcc, exec, s[22:23]
	s_cbranch_vccnz .LBB126_763
.LBB126_767:
	s_mov_b32 s26, s33
	s_and_b32 s24, s26, 0x7fffffff
	s_cmp_gt_u32 s24, 0x477fffff
	s_cbranch_scc0 .LBB126_764
.LBB126_768:
	s_mov_b64 s[22:23], -1
                                        ; implicit-def: $vgpr0
	s_branch .LBB126_773
.LBB126_769:
	s_mov_b64 s[22:23], -1
                                        ; implicit-def: $sgpr25
.LBB126_770:
	s_andn2_b64 vcc, exec, s[22:23]
	v_mov_b32_e32 v0, s25
	s_cbranch_vccnz .LBB126_772
; %bb.771:
	v_mov_b32_e32 v0, 0x43000000
	v_add_f32_e64 v0, |s26|, v0
.LBB126_772:
	s_mov_b64 s[22:23], 0
.LBB126_773:
	s_andn2_b64 vcc, exec, s[22:23]
	s_cbranch_vccnz .LBB126_775
; %bb.774:
	s_cmp_gt_u32 s24, 0x7f800000
	s_movk_i32 s22, 0x7f
	s_cselect_b32 s22, s22, 0x7c
	v_mov_b32_e32 v0, s22
.LBB126_775:
	s_lshr_b32 s22, s26, 24
	s_and_b32 s22, s22, 0x80
	v_or_b32_e32 v0, s22, v0
	global_store_byte v[10:11], v0, off
.LBB126_776:
	s_mov_b64 s[24:25], 0
	s_mov_b64 s[22:23], -1
.LBB126_777:
	s_andn2_b64 vcc, exec, s[24:25]
	s_cbranch_vccnz .LBB126_805
; %bb.778:
	v_cmp_lt_i16_e32 vcc, 14, v12
	s_mov_b64 s[24:25], -1
	s_cbranch_vccz .LBB126_792
; %bb.779:
	v_cmp_eq_u16_e32 vcc, 15, v12
	s_mov_b64 s[20:21], -1
	s_cbranch_vccz .LBB126_791
; %bb.780:
	v_mov_b32_e32 v0, 0x80
	v_cmp_lt_i16_sdwa s[20:21], s11, v0 src0_sel:BYTE_0 src1_sel:DWORD
	s_and_b64 vcc, exec, s[20:21]
	s_cbranch_vccnz .LBB126_783
; %bb.781:
	v_cmp_eq_u16_sdwa s[20:21], s11, v0 src0_sel:BYTE_0 src1_sel:DWORD
	s_and_b64 vcc, exec, s[20:21]
	s_cbranch_vccz .LBB126_784
; %bb.782:
	s_mov_b64 s[20:21], 0
	s_mov_b32 s24, 0x7f800001
	s_branch .LBB126_785
.LBB126_783:
	s_mov_b64 s[22:23], -1
	s_mov_b64 s[20:21], 0
                                        ; implicit-def: $sgpr24
	s_branch .LBB126_786
.LBB126_784:
	s_mov_b64 s[20:21], -1
                                        ; implicit-def: $sgpr24
.LBB126_785:
	s_mov_b64 s[22:23], 0
.LBB126_786:
	s_and_b64 vcc, exec, s[22:23]
	s_cbranch_vccz .LBB126_788
; %bb.787:
	v_mov_b32_e32 v0, 0
	s_mov_b32 s24, 0
	v_cmp_ne_u16_sdwa s[20:21], s11, v0 src0_sel:BYTE_0 src1_sel:DWORD
.LBB126_788:
	s_andn2_b64 vcc, exec, s[20:21]
	s_cbranch_vccnz .LBB126_790
; %bb.789:
	s_mov_b32 s24, s33
.LBB126_790:
	s_bfe_u32 s20, s24, 0x10010
	s_add_i32 s20, s24, s20
	s_addk_i32 s20, 0x7fff
	s_lshr_b32 s22, s20, 16
	v_cmp_o_f32_e64 s[20:21], s24, s24
	s_and_b64 s[20:21], s[20:21], exec
	s_cselect_b32 s20, s22, 0x7fc0
	v_mov_b32_e32 v0, s20
	global_store_short v[10:11], v0, off
	s_mov_b64 s[22:23], -1
	s_mov_b64 s[20:21], 0
.LBB126_791:
	s_mov_b64 s[24:25], 0
.LBB126_792:
	s_and_b64 vcc, exec, s[24:25]
	s_cbranch_vccz .LBB126_805
; %bb.793:
	v_cmp_eq_u16_e32 vcc, 11, v12
	s_mov_b64 s[20:21], -1
	s_cbranch_vccz .LBB126_805
; %bb.794:
	v_mov_b32_e32 v0, 0x80
	v_cmp_lt_i16_sdwa s[20:21], s11, v0 src0_sel:BYTE_0 src1_sel:DWORD
	s_and_b64 vcc, exec, s[20:21]
	s_cbranch_vccnz .LBB126_797
; %bb.795:
	v_cmp_eq_u16_sdwa s[20:21], s11, v0 src0_sel:BYTE_0 src1_sel:DWORD
	s_and_b64 vcc, exec, s[20:21]
	s_cbranch_vccz .LBB126_798
; %bb.796:
	s_mov_b64 s[22:23], 0
	s_mov_b64 s[20:21], -1
	s_branch .LBB126_799
.LBB126_797:
	s_mov_b64 s[24:25], -1
	s_mov_b64 s[22:23], 0
                                        ; implicit-def: $sgpr20_sgpr21
	s_branch .LBB126_800
.LBB126_798:
	s_mov_b64 s[22:23], -1
                                        ; implicit-def: $sgpr20_sgpr21
.LBB126_799:
	s_mov_b64 s[24:25], 0
.LBB126_800:
	s_and_b64 vcc, exec, s[24:25]
	s_cbranch_vccz .LBB126_802
; %bb.801:
	v_mov_b32_e32 v0, 0
	v_cmp_ne_u16_sdwa s[22:23], s11, v0 src0_sel:BYTE_0 src1_sel:DWORD
	s_mov_b64 s[20:21], 0
.LBB126_802:
	s_andn2_b64 vcc, exec, s[22:23]
	s_cbranch_vccnz .LBB126_804
; %bb.803:
	s_mov_b64 s[20:21], s[2:3]
.LBB126_804:
	v_cndmask_b32_e64 v0, 0, 1, s[20:21]
	global_store_byte v[10:11], v0, off
	s_mov_b64 s[22:23], -1
	s_mov_b64 s[20:21], 0
.LBB126_805:
	s_mov_b64 s[24:25], 0
.LBB126_806:
	s_and_b64 vcc, exec, s[24:25]
	s_cbranch_vccz .LBB126_940
; %bb.807:
	v_cmp_gt_i16_e32 vcc, 5, v12
	s_mov_b64 s[22:23], -1
	s_cbranch_vccnz .LBB126_888
; %bb.808:
	v_cmp_gt_i16_e32 vcc, 8, v12
	s_cbranch_vccnz .LBB126_848
; %bb.809:
	v_cmp_gt_i16_e32 vcc, 9, v12
	s_cbranch_vccnz .LBB126_835
; %bb.810:
	v_cmp_lt_i16_e32 vcc, 9, v12
	s_cbranch_vccz .LBB126_822
; %bb.811:
	v_mov_b32_e32 v0, 0x80
	v_cmp_lt_i16_sdwa s[22:23], s11, v0 src0_sel:BYTE_0 src1_sel:DWORD
	s_and_b64 vcc, exec, s[22:23]
	s_cbranch_vccnz .LBB126_814
; %bb.812:
	v_cmp_eq_u16_sdwa s[22:23], s11, v0 src0_sel:BYTE_0 src1_sel:DWORD
	s_and_b64 vcc, exec, s[22:23]
	s_cbranch_vccz .LBB126_815
; %bb.813:
	s_mov_b64 s[22:23], 0
	s_mov_b32 s25, 0x7ff80000
	s_brev_b32 s24, 4
	s_branch .LBB126_816
.LBB126_814:
	s_mov_b64 s[26:27], -1
	s_mov_b64 s[22:23], 0
                                        ; implicit-def: $sgpr24_sgpr25
	s_branch .LBB126_817
.LBB126_815:
	s_mov_b64 s[22:23], -1
                                        ; implicit-def: $sgpr24_sgpr25
.LBB126_816:
	s_mov_b64 s[26:27], 0
.LBB126_817:
	s_and_b64 vcc, exec, s[26:27]
	s_cbranch_vccz .LBB126_819
; %bb.818:
	v_mov_b32_e32 v0, 0
	v_cmp_ne_u16_sdwa s[22:23], s11, v0 src0_sel:BYTE_0 src1_sel:DWORD
	s_mov_b64 s[24:25], 0
.LBB126_819:
	s_andn2_b64 vcc, exec, s[22:23]
	v_pk_mov_b32 v[0:1], s[24:25], s[24:25] op_sel:[0,1]
	s_cbranch_vccnz .LBB126_821
; %bb.820:
	v_pk_mov_b32 v[0:1], v[6:7], v[6:7] op_sel:[0,1]
.LBB126_821:
	v_mov_b32_e32 v2, 0
	v_mov_b32_e32 v3, v2
	global_store_dwordx4 v[10:11], v[0:3], off
	s_mov_b64 s[22:23], 0
.LBB126_822:
	s_and_b64 vcc, exec, s[22:23]
	s_cbranch_vccz .LBB126_834
; %bb.823:
	v_mov_b32_e32 v0, 0x80
	v_cmp_lt_i16_sdwa s[22:23], s11, v0 src0_sel:BYTE_0 src1_sel:DWORD
	s_and_b64 vcc, exec, s[22:23]
	s_cbranch_vccnz .LBB126_826
; %bb.824:
	v_cmp_eq_u16_sdwa s[22:23], s11, v0 src0_sel:BYTE_0 src1_sel:DWORD
	s_and_b64 vcc, exec, s[22:23]
	s_cbranch_vccz .LBB126_827
; %bb.825:
	s_mov_b64 s[22:23], 0
	s_mov_b32 s26, 0x7f800001
	s_branch .LBB126_828
.LBB126_826:
	s_mov_b64 s[24:25], -1
	s_mov_b64 s[22:23], 0
                                        ; implicit-def: $sgpr26
	s_branch .LBB126_829
.LBB126_827:
	s_mov_b64 s[22:23], -1
                                        ; implicit-def: $sgpr26
.LBB126_828:
	s_mov_b64 s[24:25], 0
.LBB126_829:
	s_and_b64 vcc, exec, s[24:25]
	v_mov_b32_e32 v0, s26
	s_cbranch_vccz .LBB126_831
; %bb.830:
	s_mov_b32 s22, 0xffff
	v_mov_b32_e32 v0, s11
	v_mov_b32_e32 v1, 0
	v_and_b32_sdwa v0, s22, v0 dst_sel:DWORD dst_unused:UNUSED_PAD src0_sel:DWORD src1_sel:BYTE_0
	v_cmp_ne_u16_sdwa s[22:23], s11, v1 src0_sel:BYTE_0 src1_sel:DWORD
.LBB126_831:
	s_andn2_b64 vcc, exec, s[22:23]
	s_cbranch_vccnz .LBB126_833
; %bb.832:
	v_mov_b32_e32 v0, s33
.LBB126_833:
	v_mov_b32_e32 v1, 0
	global_store_dwordx2 v[10:11], v[0:1], off
.LBB126_834:
	s_mov_b64 s[22:23], 0
.LBB126_835:
	s_andn2_b64 vcc, exec, s[22:23]
	s_cbranch_vccnz .LBB126_847
; %bb.836:
	v_mov_b32_e32 v0, 0x80
	v_cmp_lt_i16_sdwa s[22:23], s11, v0 src0_sel:BYTE_0 src1_sel:DWORD
	s_and_b64 vcc, exec, s[22:23]
	s_cbranch_vccnz .LBB126_839
; %bb.837:
	v_cmp_eq_u16_sdwa s[22:23], s11, v0 src0_sel:BYTE_0 src1_sel:DWORD
	s_and_b64 vcc, exec, s[22:23]
	s_cbranch_vccz .LBB126_840
; %bb.838:
	s_mov_b64 s[22:23], 0
	s_movk_i32 s26, 0x7e00
	s_branch .LBB126_841
.LBB126_839:
	s_mov_b64 s[24:25], -1
	s_mov_b64 s[22:23], 0
                                        ; implicit-def: $sgpr26
	s_branch .LBB126_842
.LBB126_840:
	s_mov_b64 s[22:23], -1
                                        ; implicit-def: $sgpr26
.LBB126_841:
	s_mov_b64 s[24:25], 0
.LBB126_842:
	s_and_b64 vcc, exec, s[24:25]
	v_mov_b32_e32 v0, s26
	s_cbranch_vccz .LBB126_844
; %bb.843:
	s_mov_b32 s22, 0xffff
	v_mov_b32_e32 v0, s11
	v_mov_b32_e32 v1, 0
	v_and_b32_sdwa v0, s22, v0 dst_sel:DWORD dst_unused:UNUSED_PAD src0_sel:DWORD src1_sel:BYTE_0
	v_cmp_ne_u16_sdwa s[22:23], s11, v1 src0_sel:BYTE_0 src1_sel:DWORD
.LBB126_844:
	s_andn2_b64 vcc, exec, s[22:23]
	s_cbranch_vccnz .LBB126_846
; %bb.845:
	v_mov_b32_e32 v0, v14
.LBB126_846:
	global_store_dword v[10:11], v0, off
.LBB126_847:
	s_mov_b64 s[22:23], 0
.LBB126_848:
	s_andn2_b64 vcc, exec, s[22:23]
	s_cbranch_vccnz .LBB126_887
; %bb.849:
	v_cmp_gt_i16_e32 vcc, 6, v12
	s_mov_b64 s[22:23], -1
	s_cbranch_vccnz .LBB126_875
; %bb.850:
	v_cmp_lt_i16_e32 vcc, 6, v12
	s_cbranch_vccz .LBB126_862
; %bb.851:
	v_mov_b32_e32 v0, 0x80
	v_cmp_lt_i16_sdwa s[22:23], s11, v0 src0_sel:BYTE_0 src1_sel:DWORD
	s_and_b64 vcc, exec, s[22:23]
	s_cbranch_vccnz .LBB126_854
; %bb.852:
	v_cmp_eq_u16_sdwa s[22:23], s11, v0 src0_sel:BYTE_0 src1_sel:DWORD
	s_and_b64 vcc, exec, s[22:23]
	s_cbranch_vccz .LBB126_855
; %bb.853:
	s_mov_b64 s[22:23], 0
	s_mov_b32 s25, 0x7ff80000
	s_brev_b32 s24, 4
	s_branch .LBB126_856
.LBB126_854:
	s_mov_b64 s[26:27], -1
	s_mov_b64 s[22:23], 0
                                        ; implicit-def: $sgpr24_sgpr25
	s_branch .LBB126_857
.LBB126_855:
	s_mov_b64 s[22:23], -1
                                        ; implicit-def: $sgpr24_sgpr25
.LBB126_856:
	s_mov_b64 s[26:27], 0
.LBB126_857:
	s_and_b64 vcc, exec, s[26:27]
	s_cbranch_vccz .LBB126_859
; %bb.858:
	v_mov_b32_e32 v0, 0
	v_cmp_ne_u16_sdwa s[22:23], s11, v0 src0_sel:BYTE_0 src1_sel:DWORD
	s_mov_b64 s[24:25], 0
.LBB126_859:
	s_andn2_b64 vcc, exec, s[22:23]
	v_pk_mov_b32 v[0:1], s[24:25], s[24:25] op_sel:[0,1]
	s_cbranch_vccnz .LBB126_861
; %bb.860:
	v_pk_mov_b32 v[0:1], v[6:7], v[6:7] op_sel:[0,1]
.LBB126_861:
	global_store_dwordx2 v[10:11], v[0:1], off
	s_mov_b64 s[22:23], 0
.LBB126_862:
	s_and_b64 vcc, exec, s[22:23]
	s_cbranch_vccz .LBB126_874
; %bb.863:
	v_mov_b32_e32 v0, 0x80
	v_cmp_lt_i16_sdwa s[22:23], s11, v0 src0_sel:BYTE_0 src1_sel:DWORD
	s_and_b64 vcc, exec, s[22:23]
	s_cbranch_vccnz .LBB126_866
; %bb.864:
	v_cmp_eq_u16_sdwa s[22:23], s11, v0 src0_sel:BYTE_0 src1_sel:DWORD
	s_and_b64 vcc, exec, s[22:23]
	s_cbranch_vccz .LBB126_867
; %bb.865:
	s_mov_b64 s[22:23], 0
	s_mov_b32 s26, 0x7f800001
	s_branch .LBB126_868
.LBB126_866:
	s_mov_b64 s[24:25], -1
	s_mov_b64 s[22:23], 0
                                        ; implicit-def: $sgpr26
	s_branch .LBB126_869
.LBB126_867:
	s_mov_b64 s[22:23], -1
                                        ; implicit-def: $sgpr26
.LBB126_868:
	s_mov_b64 s[24:25], 0
.LBB126_869:
	s_and_b64 vcc, exec, s[24:25]
	s_cbranch_vccz .LBB126_871
; %bb.870:
	v_mov_b32_e32 v0, 0
	s_mov_b32 s26, 0
	v_cmp_ne_u16_sdwa s[22:23], s11, v0 src0_sel:BYTE_0 src1_sel:DWORD
.LBB126_871:
	s_andn2_b64 vcc, exec, s[22:23]
	s_cbranch_vccnz .LBB126_873
; %bb.872:
	s_mov_b32 s26, s33
.LBB126_873:
	v_mov_b32_e32 v0, s26
	global_store_dword v[10:11], v0, off
.LBB126_874:
	s_mov_b64 s[22:23], 0
.LBB126_875:
	s_andn2_b64 vcc, exec, s[22:23]
	s_cbranch_vccnz .LBB126_887
; %bb.876:
	v_mov_b32_e32 v0, 0xff
	v_and_b32_e32 v0, s11, v0
	s_movk_i32 s22, 0x80
	v_cmp_gt_i16_e32 vcc, s22, v0
	s_cbranch_vccnz .LBB126_879
; %bb.877:
	v_cmp_eq_u16_e32 vcc, s22, v0
	s_cbranch_vccz .LBB126_880
; %bb.878:
	s_mov_b64 s[22:23], 0
	s_movk_i32 s26, 0x7e00
	s_branch .LBB126_881
.LBB126_879:
	s_mov_b64 s[24:25], -1
	s_mov_b64 s[22:23], 0
                                        ; implicit-def: $sgpr26
	s_branch .LBB126_882
.LBB126_880:
	s_mov_b64 s[22:23], -1
                                        ; implicit-def: $sgpr26
.LBB126_881:
	s_mov_b64 s[24:25], 0
.LBB126_882:
	s_and_b64 vcc, exec, s[24:25]
	v_mov_b32_e32 v1, s26
	s_cbranch_vccz .LBB126_884
; %bb.883:
	v_cmp_ne_u16_e64 s[22:23], 0, v0
	v_mov_b32_e32 v1, v0
.LBB126_884:
	s_andn2_b64 vcc, exec, s[22:23]
	s_cbranch_vccnz .LBB126_886
; %bb.885:
	v_mov_b32_e32 v1, v14
.LBB126_886:
	global_store_short v[10:11], v1, off
.LBB126_887:
	s_mov_b64 s[22:23], 0
.LBB126_888:
	s_andn2_b64 vcc, exec, s[22:23]
	s_cbranch_vccnz .LBB126_939
; %bb.889:
	v_cmp_gt_i16_e32 vcc, 2, v12
	s_mov_b64 s[22:23], -1
	s_cbranch_vccnz .LBB126_920
; %bb.890:
	v_cmp_gt_i16_e32 vcc, 3, v12
	s_cbranch_vccnz .LBB126_910
; %bb.891:
	v_cmp_lt_i16_e32 vcc, 3, v12
	s_cbranch_vccz .LBB126_900
; %bb.892:
	v_mov_b32_e32 v0, 0x80
	v_cmp_lt_i16_sdwa s[22:23], s11, v0 src0_sel:BYTE_0 src1_sel:DWORD
	s_and_b64 vcc, exec, s[22:23]
	s_cbranch_vccnz .LBB126_894
; %bb.893:
	v_cmp_ne_u16_sdwa s[22:23], s11, v0 src0_sel:BYTE_0 src1_sel:DWORD
	s_mov_b64 s[26:27], 0
	s_mov_b64 s[24:25], 0
	s_branch .LBB126_895
.LBB126_894:
	s_mov_b64 s[26:27], -1
	s_mov_b64 s[22:23], 0
                                        ; implicit-def: $sgpr24_sgpr25
.LBB126_895:
	s_andn2_b64 vcc, exec, s[26:27]
	s_cbranch_vccnz .LBB126_897
; %bb.896:
	v_mov_b32_e32 v0, 0
	v_cmp_ne_u16_sdwa s[22:23], s11, v0 src0_sel:BYTE_0 src1_sel:DWORD
	s_mov_b64 s[24:25], 0
.LBB126_897:
	s_andn2_b64 vcc, exec, s[22:23]
	v_pk_mov_b32 v[0:1], s[24:25], s[24:25] op_sel:[0,1]
	s_cbranch_vccnz .LBB126_899
; %bb.898:
	v_pk_mov_b32 v[0:1], v[4:5], v[4:5] op_sel:[0,1]
.LBB126_899:
	global_store_dwordx2 v[10:11], v[0:1], off
	s_mov_b64 s[22:23], 0
.LBB126_900:
	s_and_b64 vcc, exec, s[22:23]
	s_cbranch_vccz .LBB126_909
; %bb.901:
	v_mov_b32_e32 v0, 0x80
	v_cmp_lt_i16_sdwa s[22:23], s11, v0 src0_sel:BYTE_0 src1_sel:DWORD
	s_and_b64 vcc, exec, s[22:23]
	s_cbranch_vccnz .LBB126_903
; %bb.902:
	v_cmp_ne_u16_sdwa s[22:23], s11, v0 src0_sel:BYTE_0 src1_sel:DWORD
	s_mov_b64 s[24:25], 0
	s_mov_b32 s26, 0
	s_branch .LBB126_904
.LBB126_903:
	s_mov_b64 s[24:25], -1
	s_mov_b64 s[22:23], 0
                                        ; implicit-def: $sgpr26
.LBB126_904:
	s_andn2_b64 vcc, exec, s[24:25]
	s_cbranch_vccnz .LBB126_906
; %bb.905:
	v_mov_b32_e32 v0, 0
	s_mov_b32 s26, 0
	v_cmp_ne_u16_sdwa s[22:23], s11, v0 src0_sel:BYTE_0 src1_sel:DWORD
.LBB126_906:
	s_andn2_b64 vcc, exec, s[22:23]
	v_mov_b32_e32 v0, s26
	s_cbranch_vccnz .LBB126_908
; %bb.907:
	v_mov_b32_e32 v0, v13
.LBB126_908:
	global_store_dword v[10:11], v0, off
.LBB126_909:
	s_mov_b64 s[22:23], 0
.LBB126_910:
	s_andn2_b64 vcc, exec, s[22:23]
	s_cbranch_vccnz .LBB126_919
; %bb.911:
	v_mov_b32_e32 v0, 0x80
	v_cmp_lt_i16_sdwa s[22:23], s11, v0 src0_sel:BYTE_0 src1_sel:DWORD
	s_and_b64 vcc, exec, s[22:23]
	s_cbranch_vccnz .LBB126_913
; %bb.912:
	v_cmp_ne_u16_sdwa s[22:23], s11, v0 src0_sel:BYTE_0 src1_sel:DWORD
	s_mov_b64 s[24:25], 0
	s_mov_b32 s26, 0
	s_branch .LBB126_914
.LBB126_913:
	s_mov_b64 s[24:25], -1
	s_mov_b64 s[22:23], 0
                                        ; implicit-def: $sgpr26
.LBB126_914:
	s_andn2_b64 vcc, exec, s[24:25]
	s_cbranch_vccnz .LBB126_916
; %bb.915:
	v_mov_b32_e32 v0, 0
	s_mov_b32 s26, 0
	v_cmp_ne_u16_sdwa s[22:23], s11, v0 src0_sel:BYTE_0 src1_sel:DWORD
.LBB126_916:
	s_andn2_b64 vcc, exec, s[22:23]
	v_mov_b32_e32 v0, s26
	s_cbranch_vccnz .LBB126_918
; %bb.917:
	v_mov_b32_e32 v0, v13
.LBB126_918:
	global_store_short v[10:11], v0, off
.LBB126_919:
	s_mov_b64 s[22:23], 0
.LBB126_920:
	s_andn2_b64 vcc, exec, s[22:23]
	s_cbranch_vccnz .LBB126_939
; %bb.921:
	v_cmp_lt_i16_e32 vcc, 0, v12
	s_mov_b64 s[22:23], -1
	s_cbranch_vccz .LBB126_930
; %bb.922:
	v_mov_b32_e32 v0, 0x80
	v_cmp_lt_i16_sdwa s[22:23], s11, v0 src0_sel:BYTE_0 src1_sel:DWORD
	s_and_b64 vcc, exec, s[22:23]
	s_cbranch_vccnz .LBB126_924
; %bb.923:
	v_cmp_ne_u16_sdwa s[22:23], s11, v0 src0_sel:BYTE_0 src1_sel:DWORD
	s_mov_b64 s[24:25], 0
	s_mov_b32 s26, 0
	s_branch .LBB126_925
.LBB126_924:
	s_mov_b64 s[24:25], -1
	s_mov_b64 s[22:23], 0
                                        ; implicit-def: $sgpr26
.LBB126_925:
	s_andn2_b64 vcc, exec, s[24:25]
	s_cbranch_vccnz .LBB126_927
; %bb.926:
	v_mov_b32_e32 v0, 0
	s_mov_b32 s26, 0
	v_cmp_ne_u16_sdwa s[22:23], s11, v0 src0_sel:BYTE_0 src1_sel:DWORD
.LBB126_927:
	s_andn2_b64 vcc, exec, s[22:23]
	v_mov_b32_e32 v0, s26
	s_cbranch_vccnz .LBB126_929
; %bb.928:
	v_mov_b32_e32 v0, v13
.LBB126_929:
	global_store_byte v[10:11], v0, off
	s_mov_b64 s[22:23], 0
.LBB126_930:
	s_and_b64 vcc, exec, s[22:23]
	s_cbranch_vccz .LBB126_939
; %bb.931:
	v_mov_b32_e32 v0, 0x80
	v_cmp_lt_i16_sdwa s[22:23], s11, v0 src0_sel:BYTE_0 src1_sel:DWORD
	s_and_b64 vcc, exec, s[22:23]
	s_cbranch_vccnz .LBB126_933
; %bb.932:
	v_cmp_ne_u16_sdwa s[22:23], s11, v0 src0_sel:BYTE_0 src1_sel:DWORD
	s_mov_b64 s[24:25], 0
	s_mov_b32 s26, 0
	s_branch .LBB126_934
.LBB126_933:
	s_mov_b64 s[24:25], -1
	s_mov_b64 s[22:23], 0
                                        ; implicit-def: $sgpr26
.LBB126_934:
	s_andn2_b64 vcc, exec, s[24:25]
	s_cbranch_vccnz .LBB126_936
; %bb.935:
	v_mov_b32_e32 v0, 0
	s_mov_b32 s26, 0
	v_cmp_ne_u16_sdwa s[22:23], s11, v0 src0_sel:BYTE_0 src1_sel:DWORD
.LBB126_936:
	s_andn2_b64 vcc, exec, s[22:23]
	v_mov_b32_e32 v0, s26
	s_cbranch_vccnz .LBB126_938
; %bb.937:
	v_mov_b32_e32 v0, v4
.LBB126_938:
	global_store_byte v[10:11], v0, off
.LBB126_939:
	s_mov_b64 s[22:23], -1
.LBB126_940:
	s_andn2_b64 vcc, exec, s[22:23]
	s_cbranch_vccnz .LBB126_942
; %bb.941:
	v_add_u32_e32 v16, 0x80, v16
	s_mov_b64 s[22:23], -1
	s_branch .LBB126_943
.LBB126_942:
	s_mov_b64 s[22:23], 0
                                        ; implicit-def: $vgpr16
.LBB126_943:
	s_andn2_b64 s[24:25], s[14:15], exec
	s_and_b64 s[20:21], s[20:21], exec
	s_or_b64 s[20:21], s[24:25], s[20:21]
	s_orn2_b64 s[24:25], s[22:23], exec
.LBB126_944:
	s_or_b64 exec, exec, s[18:19]
	s_mov_b64 s[22:23], 0
	s_mov_b64 s[28:29], 0
                                        ; implicit-def: $vgpr10_vgpr11
	s_and_saveexec_b64 s[18:19], s[24:25]
	s_cbranch_execz .LBB126_1105
; %bb.945:
	v_cmp_gt_i32_e32 vcc, s30, v16
	s_mov_b64 s[26:27], 0
	s_mov_b64 s[24:25], s[20:21]
	;; [unrolled: 1-line block ×3, first 2 shown]
                                        ; implicit-def: $vgpr10_vgpr11
	s_and_saveexec_b64 s[22:23], vcc
	s_cbranch_execz .LBB126_1104
; %bb.946:
	v_mul_lo_u32 v0, v16, s10
	v_ashrrev_i32_e32 v1, 31, v0
	v_mov_b32_e32 v2, s9
	v_add_co_u32_e32 v10, vcc, s8, v0
	v_addc_co_u32_e32 v11, vcc, v2, v1, vcc
	v_cmp_gt_i16_e32 vcc, 11, v12
	s_cbranch_vccnz .LBB126_955
; %bb.947:
	v_cmp_lt_i16_e32 vcc, 25, v12
	s_mov_b64 s[28:29], -1
	s_mov_b64 s[24:25], s[20:21]
	s_cbranch_vccz .LBB126_1034
; %bb.948:
	v_cmp_lt_i16_e32 vcc, 28, v12
	s_mov_b64 s[26:27], -1
	s_mov_b64 s[24:25], s[20:21]
	s_cbranch_vccz .LBB126_992
; %bb.949:
	v_cmp_lt_i16_e32 vcc, 43, v12
	s_mov_b64 s[24:25], s[20:21]
	s_cbranch_vccz .LBB126_979
; %bb.950:
	v_cmp_lt_i16_e32 vcc, 45, v12
	s_mov_b64 s[24:25], s[20:21]
	s_cbranch_vccz .LBB126_965
; %bb.951:
	v_cmp_eq_u16_e32 vcc, 46, v12
	s_mov_b64 s[24:25], -1
	s_cbranch_vccz .LBB126_964
; %bb.952:
	v_mov_b32_e32 v0, 0x80
	v_cmp_lt_i16_sdwa s[24:25], s11, v0 src0_sel:BYTE_0 src1_sel:DWORD
	s_and_b64 vcc, exec, s[24:25]
	s_cbranch_vccnz .LBB126_956
; %bb.953:
	v_cmp_eq_u16_sdwa s[24:25], s11, v0 src0_sel:BYTE_0 src1_sel:DWORD
	s_and_b64 vcc, exec, s[24:25]
	s_cbranch_vccz .LBB126_957
; %bb.954:
	s_mov_b64 s[24:25], 0
	s_mov_b32 s28, 0x7f800001
	s_branch .LBB126_958
.LBB126_955:
	s_mov_b64 s[26:27], -1
	s_mov_b64 s[24:25], s[20:21]
	s_branch .LBB126_1103
.LBB126_956:
	s_mov_b64 s[24:25], 0
                                        ; implicit-def: $sgpr28
	s_branch .LBB126_959
.LBB126_957:
	s_mov_b64 s[24:25], -1
                                        ; implicit-def: $sgpr28
.LBB126_958:
	s_mov_b64 s[26:27], 0
.LBB126_959:
	s_and_b64 vcc, exec, s[26:27]
	s_cbranch_vccz .LBB126_961
; %bb.960:
	v_mov_b32_e32 v0, 0
	s_mov_b32 s28, 0
	v_cmp_ne_u16_sdwa s[24:25], s11, v0 src0_sel:BYTE_0 src1_sel:DWORD
.LBB126_961:
	s_andn2_b64 vcc, exec, s[24:25]
	s_cbranch_vccnz .LBB126_963
; %bb.962:
	s_mov_b32 s28, s33
.LBB126_963:
	s_bfe_u32 s24, s28, 0x10010
	s_add_i32 s24, s28, s24
	s_addk_i32 s24, 0x7fff
	s_lshr_b32 s26, s24, 16
	v_cmp_o_f32_e64 s[24:25], s28, s28
	s_and_b64 s[24:25], s[24:25], exec
	s_cselect_b32 s24, s26, 0x7fc0
	v_mov_b32_e32 v0, s24
	global_store_dword v[10:11], v0, off
	s_mov_b64 s[24:25], 0
.LBB126_964:
	s_mov_b64 s[26:27], 0
.LBB126_965:
	s_and_b64 vcc, exec, s[26:27]
	s_cbranch_vccz .LBB126_978
; %bb.966:
	v_cmp_eq_u16_e32 vcc, 44, v12
	s_mov_b64 s[24:25], -1
	s_cbranch_vccz .LBB126_978
; %bb.967:
	v_mov_b32_e32 v0, 0xff
	v_and_b32_e32 v0, s11, v0
	s_movk_i32 s24, 0x80
	v_cmp_gt_i16_e32 vcc, s24, v0
	v_readfirstlane_b32 s29, v0
	s_cbranch_vccnz .LBB126_970
; %bb.968:
	v_mov_b32_e32 v0, 0x80
	v_cmp_eq_u16_e32 vcc, s29, v0
	s_cbranch_vccz .LBB126_971
; %bb.969:
	s_mov_b64 s[24:25], 0
	s_mov_b32 s28, 0x7f800001
	s_branch .LBB126_972
.LBB126_970:
	s_mov_b64 s[26:27], -1
	s_mov_b64 s[24:25], 0
                                        ; implicit-def: $sgpr28
	s_branch .LBB126_973
.LBB126_971:
	s_mov_b64 s[24:25], -1
                                        ; implicit-def: $sgpr28
.LBB126_972:
	s_mov_b64 s[26:27], 0
.LBB126_973:
	s_and_b64 vcc, exec, s[26:27]
	s_cbranch_vccz .LBB126_983
; %bb.974:
	s_and_b32 s28, 0xffff, s29
	v_cmp_ne_u16_e64 s[24:25], s29, 0
	s_andn2_b64 vcc, exec, s[24:25]
	s_cbranch_vccz .LBB126_984
.LBB126_975:
	s_bfe_u32 s24, s28, 0x80017
	s_cmpk_eq_i32 s24, 0xff
	v_mov_b32_e32 v0, 0xff
	s_cbranch_scc1 .LBB126_977
.LBB126_976:
	s_lshr_b32 s29, s28, 23
	s_bitcmp1_b32 s28, 22
	s_cselect_b64 s[26:27], -1, 0
	s_and_b32 s25, s28, 0x3fffff
	s_or_b32 s24, s24, s25
	s_cmp_lg_u32 s24, 0
	s_cselect_b64 s[24:25], -1, 0
	s_and_b64 s[24:25], s[26:27], s[24:25]
	v_cndmask_b32_e64 v0, 0, 1, s[24:25]
	v_add_u32_e32 v0, s29, v0
.LBB126_977:
	s_mov_b64 s[24:25], 0
	global_store_byte v[10:11], v0, off
.LBB126_978:
	s_mov_b64 s[26:27], 0
.LBB126_979:
	s_and_b64 vcc, exec, s[26:27]
	s_cbranch_vccz .LBB126_991
; %bb.980:
	v_cmp_eq_u16_e32 vcc, 29, v12
	s_mov_b64 s[24:25], -1
	s_cbranch_vccz .LBB126_991
; %bb.981:
	v_mov_b32_e32 v0, 0x80
	v_cmp_lt_i16_sdwa s[24:25], s11, v0 src0_sel:BYTE_0 src1_sel:DWORD
	s_and_b64 vcc, exec, s[24:25]
	s_cbranch_vccnz .LBB126_985
; %bb.982:
	v_cmp_ne_u16_sdwa s[24:25], s11, v0 src0_sel:BYTE_0 src1_sel:DWORD
	s_mov_b64 s[28:29], 0
	s_mov_b64 s[26:27], 0
	s_branch .LBB126_986
.LBB126_983:
	s_andn2_b64 vcc, exec, s[24:25]
	s_cbranch_vccnz .LBB126_975
.LBB126_984:
	s_mov_b32 s28, s34
	s_bfe_u32 s24, s28, 0x80017
	s_cmpk_eq_i32 s24, 0xff
	v_mov_b32_e32 v0, 0xff
	s_cbranch_scc0 .LBB126_976
	s_branch .LBB126_977
.LBB126_985:
	s_mov_b64 s[28:29], -1
	s_mov_b64 s[24:25], 0
                                        ; implicit-def: $sgpr26_sgpr27
.LBB126_986:
	s_andn2_b64 vcc, exec, s[28:29]
	s_cbranch_vccnz .LBB126_988
; %bb.987:
	v_mov_b32_e32 v0, 0
	v_cmp_ne_u16_sdwa s[24:25], s11, v0 src0_sel:BYTE_0 src1_sel:DWORD
	s_mov_b64 s[26:27], 0
.LBB126_988:
	s_andn2_b64 vcc, exec, s[24:25]
	v_pk_mov_b32 v[0:1], s[26:27], s[26:27] op_sel:[0,1]
	s_cbranch_vccnz .LBB126_990
; %bb.989:
	v_pk_mov_b32 v[0:1], v[8:9], v[8:9] op_sel:[0,1]
.LBB126_990:
	s_mov_b64 s[24:25], 0
	global_store_dwordx2 v[10:11], v[0:1], off
.LBB126_991:
	s_mov_b64 s[26:27], 0
.LBB126_992:
	s_and_b64 vcc, exec, s[26:27]
	s_cbranch_vccz .LBB126_1033
; %bb.993:
	v_cmp_gt_i16_e32 vcc, 27, v12
	s_mov_b64 s[26:27], -1
	s_cbranch_vccnz .LBB126_1013
; %bb.994:
	v_cmp_lt_i16_e32 vcc, 27, v12
	s_cbranch_vccz .LBB126_1003
; %bb.995:
	v_mov_b32_e32 v0, 0x80
	v_cmp_lt_i16_sdwa s[26:27], s11, v0 src0_sel:BYTE_0 src1_sel:DWORD
	s_and_b64 vcc, exec, s[26:27]
	s_cbranch_vccnz .LBB126_997
; %bb.996:
	v_cmp_ne_u16_sdwa s[26:27], s11, v0 src0_sel:BYTE_0 src1_sel:DWORD
	s_mov_b64 s[28:29], 0
	s_mov_b32 s30, 0
	s_branch .LBB126_998
.LBB126_997:
	s_mov_b64 s[28:29], -1
	s_mov_b64 s[26:27], 0
                                        ; implicit-def: $sgpr30
.LBB126_998:
	s_andn2_b64 vcc, exec, s[28:29]
	s_cbranch_vccnz .LBB126_1000
; %bb.999:
	v_mov_b32_e32 v0, 0
	s_mov_b32 s30, 0
	v_cmp_ne_u16_sdwa s[26:27], s11, v0 src0_sel:BYTE_0 src1_sel:DWORD
.LBB126_1000:
	s_andn2_b64 vcc, exec, s[26:27]
	v_mov_b32_e32 v0, s30
	s_cbranch_vccnz .LBB126_1002
; %bb.1001:
	v_mov_b32_e32 v0, v15
.LBB126_1002:
	global_store_dword v[10:11], v0, off
	s_mov_b64 s[26:27], 0
.LBB126_1003:
	s_and_b64 vcc, exec, s[26:27]
	s_cbranch_vccz .LBB126_1012
; %bb.1004:
	v_mov_b32_e32 v0, 0x80
	v_cmp_lt_i16_sdwa s[26:27], s11, v0 src0_sel:BYTE_0 src1_sel:DWORD
	s_and_b64 vcc, exec, s[26:27]
	s_cbranch_vccnz .LBB126_1006
; %bb.1005:
	v_cmp_ne_u16_sdwa s[26:27], s11, v0 src0_sel:BYTE_0 src1_sel:DWORD
	s_mov_b64 s[28:29], 0
	s_mov_b32 s30, 0
	s_branch .LBB126_1007
.LBB126_1006:
	s_mov_b64 s[28:29], -1
	s_mov_b64 s[26:27], 0
                                        ; implicit-def: $sgpr30
.LBB126_1007:
	s_andn2_b64 vcc, exec, s[28:29]
	s_cbranch_vccnz .LBB126_1009
; %bb.1008:
	v_mov_b32_e32 v0, 0
	s_mov_b32 s30, 0
	v_cmp_ne_u16_sdwa s[26:27], s11, v0 src0_sel:BYTE_0 src1_sel:DWORD
.LBB126_1009:
	s_andn2_b64 vcc, exec, s[26:27]
	v_mov_b32_e32 v0, s30
	s_cbranch_vccnz .LBB126_1011
; %bb.1010:
	v_mov_b32_e32 v0, v15
.LBB126_1011:
	global_store_short v[10:11], v0, off
.LBB126_1012:
	s_mov_b64 s[26:27], 0
.LBB126_1013:
	s_andn2_b64 vcc, exec, s[26:27]
	s_cbranch_vccnz .LBB126_1033
; %bb.1014:
	v_mov_b32_e32 v0, 0x80
	v_cmp_lt_i16_sdwa s[26:27], s11, v0 src0_sel:BYTE_0 src1_sel:DWORD
	s_and_b64 vcc, exec, s[26:27]
	s_cbranch_vccnz .LBB126_1017
; %bb.1015:
	v_cmp_eq_u16_sdwa s[26:27], s11, v0 src0_sel:BYTE_0 src1_sel:DWORD
	s_and_b64 vcc, exec, s[26:27]
	s_cbranch_vccz .LBB126_1018
; %bb.1016:
	s_mov_b64 s[26:27], 0
	s_mov_b32 s30, 0x7f800001
	s_branch .LBB126_1019
.LBB126_1017:
	s_mov_b64 s[28:29], -1
	s_mov_b64 s[26:27], 0
                                        ; implicit-def: $sgpr30
	s_branch .LBB126_1020
.LBB126_1018:
	s_mov_b64 s[26:27], -1
                                        ; implicit-def: $sgpr30
.LBB126_1019:
	s_mov_b64 s[28:29], 0
.LBB126_1020:
	s_and_b64 vcc, exec, s[28:29]
	s_cbranch_vccz .LBB126_1023
; %bb.1021:
	v_mov_b32_e32 v0, 0
	s_mov_b32 s30, 0
	v_cmp_ne_u16_sdwa s[26:27], s11, v0 src0_sel:BYTE_0 src1_sel:DWORD
	s_andn2_b64 vcc, exec, s[26:27]
	s_cbranch_vccz .LBB126_1024
.LBB126_1022:
	s_and_b32 s26, s30, 0x7fffffff
	s_cmp_gt_u32 s26, 0x437fffff
	v_mov_b32_e32 v1, 0x80
	s_cbranch_scc0 .LBB126_1025
	s_branch .LBB126_1032
.LBB126_1023:
	s_andn2_b64 vcc, exec, s[26:27]
	s_cbranch_vccnz .LBB126_1022
.LBB126_1024:
	s_mov_b32 s30, s33
	s_and_b32 s26, s30, 0x7fffffff
	s_cmp_gt_u32 s26, 0x437fffff
	v_mov_b32_e32 v1, 0x80
	s_cbranch_scc1 .LBB126_1032
.LBB126_1025:
	s_cmp_lt_u32 s26, 0x3c000000
	s_cbranch_scc1 .LBB126_1027
; %bb.1026:
	s_bfe_u32 s26, s30, 0x10014
	s_add_i32 s26, s30, s26
	s_add_i32 s26, s26, 0x487ffff
	s_lshr_b32 s31, s26, 20
	s_mov_b64 s[28:29], 0
	s_mov_b64 s[26:27], -1
	s_branch .LBB126_1028
.LBB126_1027:
	s_mov_b64 s[28:29], -1
	s_mov_b64 s[26:27], 0
                                        ; implicit-def: $sgpr31
.LBB126_1028:
	s_andn2_b64 vcc, exec, s[28:29]
	v_mov_b32_e32 v0, s31
                                        ; implicit-def: $sgpr28
	s_cbranch_vccnz .LBB126_1030
; %bb.1029:
	v_mov_b32_e32 v0, 0x46000000
	v_add_f32_e64 v0, |s30|, v0
	v_and_b32_e32 v0, 0xff, v0
	s_mov_b32 s28, 0
	v_cmp_ne_u32_e64 s[26:27], 0, v0
.LBB126_1030:
	s_andn2_b64 vcc, exec, s[26:27]
	v_mov_b32_e32 v1, s28
	s_cbranch_vccnz .LBB126_1032
; %bb.1031:
	s_lshr_b32 s26, s30, 24
	s_and_b32 s26, s26, 0x80
	v_or_b32_e32 v1, s26, v0
.LBB126_1032:
	global_store_byte v[10:11], v1, off
.LBB126_1033:
	s_mov_b64 s[28:29], 0
.LBB126_1034:
	s_mov_b64 s[26:27], 0
	s_and_b64 vcc, exec, s[28:29]
	s_cbranch_vccz .LBB126_1043
; %bb.1035:
	v_cmp_lt_i16_e32 vcc, 22, v12
	s_mov_b64 s[28:29], -1
	s_cbranch_vccz .LBB126_1086
; %bb.1036:
	v_cmp_gt_i16_e32 vcc, 24, v12
	s_cbranch_vccnz .LBB126_1063
; %bb.1037:
	v_cmp_lt_i16_e32 vcc, 24, v12
	s_cbranch_vccz .LBB126_1039
; %bb.1038:
	v_mov_b32_e32 v0, s11
	s_mov_b64 s[28:29], 0
	global_store_byte v[10:11], v0, off
.LBB126_1039:
	s_andn2_b64 vcc, exec, s[28:29]
	s_cbranch_vccnz .LBB126_1062
; %bb.1040:
	v_mov_b32_e32 v0, 0x80
	v_cmp_lt_i16_sdwa s[28:29], s11, v0 src0_sel:BYTE_0 src1_sel:DWORD
	s_and_b64 vcc, exec, s[28:29]
	s_cbranch_vccnz .LBB126_1044
; %bb.1041:
	v_cmp_eq_u16_sdwa s[28:29], s11, v0 src0_sel:BYTE_0 src1_sel:DWORD
	s_and_b64 vcc, exec, s[28:29]
	s_cbranch_vccz .LBB126_1045
; %bb.1042:
	s_mov_b64 s[28:29], 0
	s_mov_b32 s34, 0x7f800001
	s_branch .LBB126_1046
.LBB126_1043:
	s_mov_b64 s[28:29], 0
	s_branch .LBB126_1103
.LBB126_1044:
	s_mov_b64 s[30:31], -1
	s_mov_b64 s[28:29], 0
                                        ; implicit-def: $sgpr34
	s_branch .LBB126_1047
.LBB126_1045:
	s_mov_b64 s[28:29], -1
                                        ; implicit-def: $sgpr34
.LBB126_1046:
	s_mov_b64 s[30:31], 0
.LBB126_1047:
	s_and_b64 vcc, exec, s[30:31]
	s_cbranch_vccz .LBB126_1052
; %bb.1048:
	v_mov_b32_e32 v0, 0
	s_mov_b32 s34, 0
	v_cmp_ne_u16_sdwa s[28:29], s11, v0 src0_sel:BYTE_0 src1_sel:DWORD
	s_andn2_b64 vcc, exec, s[28:29]
	s_cbranch_vccz .LBB126_1053
.LBB126_1049:
	s_and_b32 s30, s34, 0x7fffffff
	s_cmp_gt_u32 s30, 0x43efffff
	s_cbranch_scc1 .LBB126_1054
.LBB126_1050:
	s_cmp_lt_u32 s30, 0x3c800000
	s_cbranch_scc1 .LBB126_1055
; %bb.1051:
	s_bfe_u32 s28, s34, 0x10014
	s_add_i32 s28, s34, s28
	s_add_i32 s28, s28, 0x407ffff
	s_lshr_b32 s29, s28, 20
	s_and_b32 s28, s28, 0xff00000
	s_cmp_lg_u32 s28, 0x7f00000
	s_cselect_b32 s31, s29, 0x7e
	s_mov_b64 s[28:29], 0
	s_branch .LBB126_1056
.LBB126_1052:
	s_andn2_b64 vcc, exec, s[28:29]
	s_cbranch_vccnz .LBB126_1049
.LBB126_1053:
	s_mov_b32 s34, s33
	s_and_b32 s30, s34, 0x7fffffff
	s_cmp_gt_u32 s30, 0x43efffff
	s_cbranch_scc0 .LBB126_1050
.LBB126_1054:
	s_mov_b64 s[28:29], -1
                                        ; implicit-def: $vgpr0
	s_branch .LBB126_1059
.LBB126_1055:
	s_mov_b64 s[28:29], -1
                                        ; implicit-def: $sgpr31
.LBB126_1056:
	s_andn2_b64 vcc, exec, s[28:29]
	v_mov_b32_e32 v0, s31
	s_cbranch_vccnz .LBB126_1058
; %bb.1057:
	v_mov_b32_e32 v0, 0x46800000
	v_add_f32_e64 v0, |s34|, v0
.LBB126_1058:
	s_mov_b64 s[28:29], 0
.LBB126_1059:
	s_andn2_b64 vcc, exec, s[28:29]
	s_cbranch_vccnz .LBB126_1061
; %bb.1060:
	s_cmp_gt_u32 s30, 0x7f800000
	s_movk_i32 s28, 0x7f
	s_cselect_b32 s28, s28, 0x7e
	v_mov_b32_e32 v0, s28
.LBB126_1061:
	s_lshr_b32 s28, s34, 24
	s_and_b32 s28, s28, 0x80
	v_or_b32_e32 v0, s28, v0
	global_store_byte v[10:11], v0, off
.LBB126_1062:
	s_mov_b64 s[28:29], 0
.LBB126_1063:
	s_andn2_b64 vcc, exec, s[28:29]
	s_cbranch_vccnz .LBB126_1085
; %bb.1064:
	v_mov_b32_e32 v0, 0x80
	v_cmp_lt_i16_sdwa s[28:29], s11, v0 src0_sel:BYTE_0 src1_sel:DWORD
	s_and_b64 vcc, exec, s[28:29]
	s_cbranch_vccnz .LBB126_1067
; %bb.1065:
	v_cmp_eq_u16_sdwa s[28:29], s11, v0 src0_sel:BYTE_0 src1_sel:DWORD
	s_and_b64 vcc, exec, s[28:29]
	s_cbranch_vccz .LBB126_1068
; %bb.1066:
	s_mov_b64 s[28:29], 0
	s_mov_b32 s34, 0x7f800001
	s_branch .LBB126_1069
.LBB126_1067:
	s_mov_b64 s[30:31], -1
	s_mov_b64 s[28:29], 0
                                        ; implicit-def: $sgpr34
	s_branch .LBB126_1070
.LBB126_1068:
	s_mov_b64 s[28:29], -1
                                        ; implicit-def: $sgpr34
.LBB126_1069:
	s_mov_b64 s[30:31], 0
.LBB126_1070:
	s_and_b64 vcc, exec, s[30:31]
	s_cbranch_vccz .LBB126_1075
; %bb.1071:
	v_mov_b32_e32 v0, 0
	s_mov_b32 s34, 0
	v_cmp_ne_u16_sdwa s[28:29], s11, v0 src0_sel:BYTE_0 src1_sel:DWORD
	s_andn2_b64 vcc, exec, s[28:29]
	s_cbranch_vccz .LBB126_1076
.LBB126_1072:
	s_and_b32 s30, s34, 0x7fffffff
	s_cmp_gt_u32 s30, 0x477fffff
	s_cbranch_scc1 .LBB126_1077
.LBB126_1073:
	s_cmp_lt_u32 s30, 0x38800000
	s_cbranch_scc1 .LBB126_1078
; %bb.1074:
	s_bfe_u32 s28, s34, 0x10015
	s_add_i32 s28, s34, s28
	s_add_i32 s28, s28, 0x80fffff
	s_lshr_b32 s31, s28, 21
	s_mov_b64 s[28:29], 0
	s_branch .LBB126_1079
.LBB126_1075:
	s_andn2_b64 vcc, exec, s[28:29]
	s_cbranch_vccnz .LBB126_1072
.LBB126_1076:
	s_mov_b32 s34, s33
	s_and_b32 s30, s34, 0x7fffffff
	s_cmp_gt_u32 s30, 0x477fffff
	s_cbranch_scc0 .LBB126_1073
.LBB126_1077:
	s_mov_b64 s[28:29], -1
                                        ; implicit-def: $vgpr0
	s_branch .LBB126_1082
.LBB126_1078:
	s_mov_b64 s[28:29], -1
                                        ; implicit-def: $sgpr31
.LBB126_1079:
	s_andn2_b64 vcc, exec, s[28:29]
	v_mov_b32_e32 v0, s31
	s_cbranch_vccnz .LBB126_1081
; %bb.1080:
	v_mov_b32_e32 v0, 0x43000000
	v_add_f32_e64 v0, |s34|, v0
.LBB126_1081:
	s_mov_b64 s[28:29], 0
.LBB126_1082:
	s_andn2_b64 vcc, exec, s[28:29]
	s_cbranch_vccnz .LBB126_1084
; %bb.1083:
	s_cmp_gt_u32 s30, 0x7f800000
	s_movk_i32 s28, 0x7f
	s_cselect_b32 s28, s28, 0x7c
	v_mov_b32_e32 v0, s28
.LBB126_1084:
	s_lshr_b32 s28, s34, 24
	s_and_b32 s28, s28, 0x80
	v_or_b32_e32 v0, s28, v0
	global_store_byte v[10:11], v0, off
.LBB126_1085:
	s_mov_b64 s[28:29], 0
.LBB126_1086:
	s_andn2_b64 vcc, exec, s[28:29]
	s_mov_b64 s[28:29], 0
	s_cbranch_vccnz .LBB126_1103
; %bb.1087:
	v_cmp_lt_i16_e32 vcc, 14, v12
	s_mov_b64 s[30:31], -1
	s_cbranch_vccz .LBB126_1101
; %bb.1088:
	v_cmp_eq_u16_e32 vcc, 15, v12
	s_mov_b64 s[24:25], -1
	s_cbranch_vccz .LBB126_1100
; %bb.1089:
	v_mov_b32_e32 v0, 0x80
	v_cmp_lt_i16_sdwa s[24:25], s11, v0 src0_sel:BYTE_0 src1_sel:DWORD
	s_and_b64 vcc, exec, s[24:25]
	s_cbranch_vccnz .LBB126_1092
; %bb.1090:
	v_cmp_eq_u16_sdwa s[24:25], s11, v0 src0_sel:BYTE_0 src1_sel:DWORD
	s_and_b64 vcc, exec, s[24:25]
	s_cbranch_vccz .LBB126_1093
; %bb.1091:
	s_mov_b64 s[24:25], 0
	s_mov_b32 s30, 0x7f800001
	s_branch .LBB126_1095
.LBB126_1092:
	s_mov_b64 s[28:29], -1
	s_mov_b64 s[24:25], 0
	s_branch .LBB126_1094
.LBB126_1093:
	s_mov_b64 s[24:25], -1
.LBB126_1094:
                                        ; implicit-def: $sgpr30
.LBB126_1095:
	s_and_b64 vcc, exec, s[28:29]
	s_cbranch_vccz .LBB126_1097
; %bb.1096:
	v_mov_b32_e32 v0, 0
	s_mov_b32 s30, 0
	v_cmp_ne_u16_sdwa s[24:25], s11, v0 src0_sel:BYTE_0 src1_sel:DWORD
.LBB126_1097:
	s_andn2_b64 vcc, exec, s[24:25]
	s_cbranch_vccnz .LBB126_1099
; %bb.1098:
	s_mov_b32 s30, s33
.LBB126_1099:
	s_bfe_u32 s24, s30, 0x10010
	s_add_i32 s24, s30, s24
	s_addk_i32 s24, 0x7fff
	s_lshr_b32 s28, s24, 16
	v_cmp_o_f32_e64 s[24:25], s30, s30
	s_and_b64 s[24:25], s[24:25], exec
	s_cselect_b32 s24, s28, 0x7fc0
	v_mov_b32_e32 v0, s24
	global_store_short v[10:11], v0, off
	s_mov_b64 s[24:25], 0
.LBB126_1100:
	s_mov_b64 s[30:31], 0
.LBB126_1101:
	s_mov_b64 s[28:29], 0
	s_and_b64 vcc, exec, s[30:31]
	s_cbranch_vccz .LBB126_1103
; %bb.1102:
	v_cmp_ne_u16_e32 vcc, 11, v12
	s_andn2_b64 s[24:25], s[24:25], exec
	s_and_b64 s[30:31], vcc, exec
	s_mov_b64 s[28:29], -1
	s_or_b64 s[24:25], s[24:25], s[30:31]
.LBB126_1103:
	s_and_b64 s[30:31], s[26:27], exec
	s_and_b64 s[26:27], s[28:29], exec
	s_andn2_b64 s[28:29], s[20:21], exec
	s_and_b64 s[24:25], s[24:25], exec
	s_or_b64 s[24:25], s[28:29], s[24:25]
.LBB126_1104:
	s_or_b64 exec, exec, s[22:23]
	s_andn2_b64 s[20:21], s[20:21], exec
	s_and_b64 s[24:25], s[24:25], exec
	s_and_b64 s[28:29], s[30:31], exec
	;; [unrolled: 1-line block ×3, first 2 shown]
	s_or_b64 s[20:21], s[20:21], s[24:25]
.LBB126_1105:
	s_or_b64 exec, exec, s[18:19]
	s_andn2_b64 s[14:15], s[14:15], exec
	s_and_b64 s[20:21], s[20:21], exec
	s_and_b64 s[18:19], s[28:29], exec
	;; [unrolled: 1-line block ×3, first 2 shown]
	s_or_b64 s[14:15], s[14:15], s[20:21]
.LBB126_1106:
	s_or_b64 exec, exec, s[16:17]
	s_andn2_b64 s[6:7], s[6:7], exec
	s_and_b64 s[14:15], s[14:15], exec
	s_and_b64 s[18:19], s[18:19], exec
	;; [unrolled: 1-line block ×3, first 2 shown]
	s_or_b64 s[6:7], s[6:7], s[14:15]
	s_or_b64 exec, exec, s[12:13]
	s_mov_b64 s[12:13], 0
	s_and_saveexec_b64 s[14:15], s[6:7]
	s_cbranch_execz .LBB126_322
.LBB126_1107:
	s_mov_b64 s[12:13], exec
	s_andn2_b64 s[16:17], s[16:17], exec
	s_trap 2
	s_or_b64 exec, exec, s[14:15]
	s_and_saveexec_b64 s[6:7], s[16:17]
	s_cbranch_execnz .LBB126_323
.LBB126_1108:
	s_or_b64 exec, exec, s[6:7]
	s_and_saveexec_b64 s[2:3], s[18:19]
	s_xor_b64 s[2:3], exec, s[2:3]
	s_cbranch_execz .LBB126_1241
.LBB126_1109:
	v_cmp_gt_i16_e32 vcc, 5, v12
	s_mov_b64 s[6:7], -1
	s_cbranch_vccnz .LBB126_1190
; %bb.1110:
	v_cmp_gt_i16_e32 vcc, 8, v12
	s_cbranch_vccnz .LBB126_1150
; %bb.1111:
	v_cmp_gt_i16_e32 vcc, 9, v12
	s_cbranch_vccnz .LBB126_1137
; %bb.1112:
	v_cmp_lt_i16_e32 vcc, 9, v12
	s_cbranch_vccz .LBB126_1124
; %bb.1113:
	v_mov_b32_e32 v0, 0x80
	v_cmp_lt_i16_sdwa s[6:7], s11, v0 src0_sel:BYTE_0 src1_sel:DWORD
	s_and_b64 vcc, exec, s[6:7]
	s_cbranch_vccnz .LBB126_1116
; %bb.1114:
	v_cmp_eq_u16_sdwa s[6:7], s11, v0 src0_sel:BYTE_0 src1_sel:DWORD
	s_and_b64 vcc, exec, s[6:7]
	s_cbranch_vccz .LBB126_1117
; %bb.1115:
	s_mov_b64 s[6:7], 0
	s_mov_b32 s15, 0x7ff80000
	s_brev_b32 s14, 4
	s_branch .LBB126_1118
.LBB126_1116:
	s_mov_b64 s[16:17], -1
	s_mov_b64 s[6:7], 0
                                        ; implicit-def: $sgpr14_sgpr15
	s_branch .LBB126_1119
.LBB126_1117:
	s_mov_b64 s[6:7], -1
                                        ; implicit-def: $sgpr14_sgpr15
.LBB126_1118:
	s_mov_b64 s[16:17], 0
.LBB126_1119:
	s_and_b64 vcc, exec, s[16:17]
	s_cbranch_vccz .LBB126_1121
; %bb.1120:
	v_mov_b32_e32 v0, 0
	v_cmp_ne_u16_sdwa s[6:7], s11, v0 src0_sel:BYTE_0 src1_sel:DWORD
	s_mov_b64 s[14:15], 0
.LBB126_1121:
	s_andn2_b64 vcc, exec, s[6:7]
	v_pk_mov_b32 v[0:1], s[14:15], s[14:15] op_sel:[0,1]
	s_cbranch_vccnz .LBB126_1123
; %bb.1122:
	v_pk_mov_b32 v[0:1], v[6:7], v[6:7] op_sel:[0,1]
.LBB126_1123:
	v_mov_b32_e32 v2, 0
	v_mov_b32_e32 v3, v2
	global_store_dwordx4 v[10:11], v[0:3], off
	s_mov_b64 s[6:7], 0
.LBB126_1124:
	s_and_b64 vcc, exec, s[6:7]
	s_cbranch_vccz .LBB126_1136
; %bb.1125:
	v_mov_b32_e32 v0, 0x80
	v_cmp_lt_i16_sdwa s[6:7], s11, v0 src0_sel:BYTE_0 src1_sel:DWORD
	s_and_b64 vcc, exec, s[6:7]
	s_cbranch_vccnz .LBB126_1128
; %bb.1126:
	v_cmp_eq_u16_sdwa s[6:7], s11, v0 src0_sel:BYTE_0 src1_sel:DWORD
	s_and_b64 vcc, exec, s[6:7]
	s_cbranch_vccz .LBB126_1129
; %bb.1127:
	s_mov_b64 s[6:7], 0
	s_mov_b32 s16, 0x7f800001
	s_branch .LBB126_1130
.LBB126_1128:
	s_mov_b64 s[14:15], -1
	s_mov_b64 s[6:7], 0
                                        ; implicit-def: $sgpr16
	s_branch .LBB126_1131
.LBB126_1129:
	s_mov_b64 s[6:7], -1
                                        ; implicit-def: $sgpr16
.LBB126_1130:
	s_mov_b64 s[14:15], 0
.LBB126_1131:
	s_and_b64 vcc, exec, s[14:15]
	v_mov_b32_e32 v0, s16
	s_cbranch_vccz .LBB126_1133
; %bb.1132:
	s_mov_b32 s6, 0xffff
	v_mov_b32_e32 v0, s11
	v_mov_b32_e32 v1, 0
	v_and_b32_sdwa v0, s6, v0 dst_sel:DWORD dst_unused:UNUSED_PAD src0_sel:DWORD src1_sel:BYTE_0
	v_cmp_ne_u16_sdwa s[6:7], s11, v1 src0_sel:BYTE_0 src1_sel:DWORD
.LBB126_1133:
	s_andn2_b64 vcc, exec, s[6:7]
	s_cbranch_vccnz .LBB126_1135
; %bb.1134:
	v_mov_b32_e32 v0, s33
.LBB126_1135:
	v_mov_b32_e32 v1, 0
	global_store_dwordx2 v[10:11], v[0:1], off
.LBB126_1136:
	s_mov_b64 s[6:7], 0
.LBB126_1137:
	s_andn2_b64 vcc, exec, s[6:7]
	s_cbranch_vccnz .LBB126_1149
; %bb.1138:
	v_mov_b32_e32 v0, 0x80
	v_cmp_lt_i16_sdwa s[6:7], s11, v0 src0_sel:BYTE_0 src1_sel:DWORD
	s_and_b64 vcc, exec, s[6:7]
	s_cbranch_vccnz .LBB126_1141
; %bb.1139:
	v_cmp_eq_u16_sdwa s[6:7], s11, v0 src0_sel:BYTE_0 src1_sel:DWORD
	s_and_b64 vcc, exec, s[6:7]
	s_cbranch_vccz .LBB126_1142
; %bb.1140:
	s_mov_b64 s[6:7], 0
	s_movk_i32 s16, 0x7e00
	s_branch .LBB126_1143
.LBB126_1141:
	s_mov_b64 s[14:15], -1
	s_mov_b64 s[6:7], 0
                                        ; implicit-def: $sgpr16
	s_branch .LBB126_1144
.LBB126_1142:
	s_mov_b64 s[6:7], -1
                                        ; implicit-def: $sgpr16
.LBB126_1143:
	s_mov_b64 s[14:15], 0
.LBB126_1144:
	s_and_b64 vcc, exec, s[14:15]
	v_mov_b32_e32 v0, s16
	s_cbranch_vccz .LBB126_1146
; %bb.1145:
	s_mov_b32 s6, 0xffff
	v_mov_b32_e32 v0, s11
	v_mov_b32_e32 v1, 0
	v_and_b32_sdwa v0, s6, v0 dst_sel:DWORD dst_unused:UNUSED_PAD src0_sel:DWORD src1_sel:BYTE_0
	v_cmp_ne_u16_sdwa s[6:7], s11, v1 src0_sel:BYTE_0 src1_sel:DWORD
.LBB126_1146:
	s_andn2_b64 vcc, exec, s[6:7]
	s_cbranch_vccnz .LBB126_1148
; %bb.1147:
	v_mov_b32_e32 v0, v14
.LBB126_1148:
	global_store_dword v[10:11], v0, off
.LBB126_1149:
	s_mov_b64 s[6:7], 0
.LBB126_1150:
	s_andn2_b64 vcc, exec, s[6:7]
	s_cbranch_vccnz .LBB126_1189
; %bb.1151:
	v_cmp_gt_i16_e32 vcc, 6, v12
	s_mov_b64 s[6:7], -1
	s_cbranch_vccnz .LBB126_1177
; %bb.1152:
	v_cmp_lt_i16_e32 vcc, 6, v12
	s_cbranch_vccz .LBB126_1164
; %bb.1153:
	v_mov_b32_e32 v0, 0x80
	v_cmp_lt_i16_sdwa s[6:7], s11, v0 src0_sel:BYTE_0 src1_sel:DWORD
	s_and_b64 vcc, exec, s[6:7]
	s_cbranch_vccnz .LBB126_1156
; %bb.1154:
	v_cmp_eq_u16_sdwa s[6:7], s11, v0 src0_sel:BYTE_0 src1_sel:DWORD
	s_and_b64 vcc, exec, s[6:7]
	s_cbranch_vccz .LBB126_1157
; %bb.1155:
	s_mov_b64 s[6:7], 0
	s_mov_b32 s15, 0x7ff80000
	s_brev_b32 s14, 4
	s_branch .LBB126_1158
.LBB126_1156:
	s_mov_b64 s[16:17], -1
	s_mov_b64 s[6:7], 0
                                        ; implicit-def: $sgpr14_sgpr15
	s_branch .LBB126_1159
.LBB126_1157:
	s_mov_b64 s[6:7], -1
                                        ; implicit-def: $sgpr14_sgpr15
.LBB126_1158:
	s_mov_b64 s[16:17], 0
.LBB126_1159:
	s_and_b64 vcc, exec, s[16:17]
	s_cbranch_vccz .LBB126_1161
; %bb.1160:
	v_mov_b32_e32 v0, 0
	v_cmp_ne_u16_sdwa s[6:7], s11, v0 src0_sel:BYTE_0 src1_sel:DWORD
	s_mov_b64 s[14:15], 0
.LBB126_1161:
	s_andn2_b64 vcc, exec, s[6:7]
	v_pk_mov_b32 v[0:1], s[14:15], s[14:15] op_sel:[0,1]
	s_cbranch_vccnz .LBB126_1163
; %bb.1162:
	v_pk_mov_b32 v[0:1], v[6:7], v[6:7] op_sel:[0,1]
.LBB126_1163:
	global_store_dwordx2 v[10:11], v[0:1], off
	s_mov_b64 s[6:7], 0
.LBB126_1164:
	s_and_b64 vcc, exec, s[6:7]
	s_cbranch_vccz .LBB126_1176
; %bb.1165:
	v_mov_b32_e32 v0, 0x80
	v_cmp_lt_i16_sdwa s[6:7], s11, v0 src0_sel:BYTE_0 src1_sel:DWORD
	s_and_b64 vcc, exec, s[6:7]
	s_cbranch_vccnz .LBB126_1168
; %bb.1166:
	v_cmp_eq_u16_sdwa s[6:7], s11, v0 src0_sel:BYTE_0 src1_sel:DWORD
	s_and_b64 vcc, exec, s[6:7]
	s_cbranch_vccz .LBB126_1169
; %bb.1167:
	s_mov_b64 s[6:7], 0
	s_mov_b32 s16, 0x7f800001
	s_branch .LBB126_1170
.LBB126_1168:
	s_mov_b64 s[14:15], -1
	s_mov_b64 s[6:7], 0
                                        ; implicit-def: $sgpr16
	s_branch .LBB126_1171
.LBB126_1169:
	s_mov_b64 s[6:7], -1
                                        ; implicit-def: $sgpr16
.LBB126_1170:
	s_mov_b64 s[14:15], 0
.LBB126_1171:
	s_and_b64 vcc, exec, s[14:15]
	s_cbranch_vccz .LBB126_1173
; %bb.1172:
	v_mov_b32_e32 v0, 0
	s_mov_b32 s16, 0
	v_cmp_ne_u16_sdwa s[6:7], s11, v0 src0_sel:BYTE_0 src1_sel:DWORD
.LBB126_1173:
	s_andn2_b64 vcc, exec, s[6:7]
	s_cbranch_vccnz .LBB126_1175
; %bb.1174:
	s_mov_b32 s16, s33
.LBB126_1175:
	v_mov_b32_e32 v0, s16
	global_store_dword v[10:11], v0, off
.LBB126_1176:
	s_mov_b64 s[6:7], 0
.LBB126_1177:
	s_andn2_b64 vcc, exec, s[6:7]
	s_cbranch_vccnz .LBB126_1189
; %bb.1178:
	v_mov_b32_e32 v0, 0xff
	v_and_b32_e32 v0, s11, v0
	s_movk_i32 s6, 0x80
	v_cmp_gt_i16_e32 vcc, s6, v0
	s_cbranch_vccnz .LBB126_1181
; %bb.1179:
	v_cmp_eq_u16_e32 vcc, s6, v0
	s_cbranch_vccz .LBB126_1182
; %bb.1180:
	s_mov_b64 s[6:7], 0
	s_movk_i32 s16, 0x7e00
	s_branch .LBB126_1183
.LBB126_1181:
	s_mov_b64 s[14:15], -1
	s_mov_b64 s[6:7], 0
                                        ; implicit-def: $sgpr16
	s_branch .LBB126_1184
.LBB126_1182:
	s_mov_b64 s[6:7], -1
                                        ; implicit-def: $sgpr16
.LBB126_1183:
	s_mov_b64 s[14:15], 0
.LBB126_1184:
	s_and_b64 vcc, exec, s[14:15]
	v_mov_b32_e32 v1, s16
	s_cbranch_vccz .LBB126_1186
; %bb.1185:
	v_cmp_ne_u16_e64 s[6:7], 0, v0
	v_mov_b32_e32 v1, v0
.LBB126_1186:
	s_andn2_b64 vcc, exec, s[6:7]
	s_cbranch_vccnz .LBB126_1188
; %bb.1187:
	v_mov_b32_e32 v1, v14
.LBB126_1188:
	global_store_short v[10:11], v1, off
.LBB126_1189:
	s_mov_b64 s[6:7], 0
.LBB126_1190:
	s_andn2_b64 vcc, exec, s[6:7]
	s_cbranch_vccnz .LBB126_1241
; %bb.1191:
	v_cmp_gt_i16_e32 vcc, 2, v12
	s_mov_b64 s[6:7], -1
	s_cbranch_vccnz .LBB126_1222
; %bb.1192:
	v_cmp_gt_i16_e32 vcc, 3, v12
	s_cbranch_vccnz .LBB126_1212
; %bb.1193:
	v_cmp_lt_i16_e32 vcc, 3, v12
	s_cbranch_vccz .LBB126_1202
; %bb.1194:
	v_mov_b32_e32 v0, 0x80
	v_cmp_lt_i16_sdwa s[6:7], s11, v0 src0_sel:BYTE_0 src1_sel:DWORD
	s_and_b64 vcc, exec, s[6:7]
	s_cbranch_vccnz .LBB126_1196
; %bb.1195:
	v_cmp_ne_u16_sdwa s[6:7], s11, v0 src0_sel:BYTE_0 src1_sel:DWORD
	s_mov_b64 s[16:17], 0
	s_mov_b64 s[14:15], 0
	s_branch .LBB126_1197
.LBB126_1196:
	s_mov_b64 s[16:17], -1
	s_mov_b64 s[6:7], 0
                                        ; implicit-def: $sgpr14_sgpr15
.LBB126_1197:
	s_andn2_b64 vcc, exec, s[16:17]
	s_cbranch_vccnz .LBB126_1199
; %bb.1198:
	v_mov_b32_e32 v0, 0
	v_cmp_ne_u16_sdwa s[6:7], s11, v0 src0_sel:BYTE_0 src1_sel:DWORD
	s_mov_b64 s[14:15], 0
.LBB126_1199:
	s_andn2_b64 vcc, exec, s[6:7]
	v_pk_mov_b32 v[0:1], s[14:15], s[14:15] op_sel:[0,1]
	s_cbranch_vccnz .LBB126_1201
; %bb.1200:
	v_pk_mov_b32 v[0:1], v[4:5], v[4:5] op_sel:[0,1]
.LBB126_1201:
	global_store_dwordx2 v[10:11], v[0:1], off
	s_mov_b64 s[6:7], 0
.LBB126_1202:
	s_and_b64 vcc, exec, s[6:7]
	s_cbranch_vccz .LBB126_1211
; %bb.1203:
	v_mov_b32_e32 v0, 0x80
	v_cmp_lt_i16_sdwa s[6:7], s11, v0 src0_sel:BYTE_0 src1_sel:DWORD
	s_and_b64 vcc, exec, s[6:7]
	s_cbranch_vccnz .LBB126_1205
; %bb.1204:
	v_cmp_ne_u16_sdwa s[6:7], s11, v0 src0_sel:BYTE_0 src1_sel:DWORD
	s_mov_b64 s[14:15], 0
	s_mov_b32 s16, 0
	s_branch .LBB126_1206
.LBB126_1205:
	s_mov_b64 s[14:15], -1
	s_mov_b64 s[6:7], 0
                                        ; implicit-def: $sgpr16
.LBB126_1206:
	s_andn2_b64 vcc, exec, s[14:15]
	s_cbranch_vccnz .LBB126_1208
; %bb.1207:
	v_mov_b32_e32 v0, 0
	s_mov_b32 s16, 0
	v_cmp_ne_u16_sdwa s[6:7], s11, v0 src0_sel:BYTE_0 src1_sel:DWORD
.LBB126_1208:
	s_andn2_b64 vcc, exec, s[6:7]
	v_mov_b32_e32 v0, s16
	s_cbranch_vccnz .LBB126_1210
; %bb.1209:
	v_mov_b32_e32 v0, v13
.LBB126_1210:
	global_store_dword v[10:11], v0, off
.LBB126_1211:
	s_mov_b64 s[6:7], 0
.LBB126_1212:
	s_andn2_b64 vcc, exec, s[6:7]
	s_cbranch_vccnz .LBB126_1221
; %bb.1213:
	v_mov_b32_e32 v0, 0x80
	v_cmp_lt_i16_sdwa s[6:7], s11, v0 src0_sel:BYTE_0 src1_sel:DWORD
	s_and_b64 vcc, exec, s[6:7]
	s_cbranch_vccnz .LBB126_1215
; %bb.1214:
	v_cmp_ne_u16_sdwa s[6:7], s11, v0 src0_sel:BYTE_0 src1_sel:DWORD
	s_mov_b64 s[14:15], 0
	s_mov_b32 s16, 0
	s_branch .LBB126_1216
.LBB126_1215:
	s_mov_b64 s[14:15], -1
	s_mov_b64 s[6:7], 0
                                        ; implicit-def: $sgpr16
.LBB126_1216:
	s_andn2_b64 vcc, exec, s[14:15]
	s_cbranch_vccnz .LBB126_1218
; %bb.1217:
	v_mov_b32_e32 v0, 0
	s_mov_b32 s16, 0
	v_cmp_ne_u16_sdwa s[6:7], s11, v0 src0_sel:BYTE_0 src1_sel:DWORD
.LBB126_1218:
	s_andn2_b64 vcc, exec, s[6:7]
	v_mov_b32_e32 v0, s16
	s_cbranch_vccnz .LBB126_1220
; %bb.1219:
	v_mov_b32_e32 v0, v13
.LBB126_1220:
	global_store_short v[10:11], v0, off
.LBB126_1221:
	s_mov_b64 s[6:7], 0
.LBB126_1222:
	s_andn2_b64 vcc, exec, s[6:7]
	s_cbranch_vccnz .LBB126_1241
; %bb.1223:
	v_cmp_lt_i16_e32 vcc, 0, v12
	s_mov_b64 s[6:7], -1
	s_cbranch_vccz .LBB126_1232
; %bb.1224:
	v_mov_b32_e32 v0, 0x80
	v_cmp_lt_i16_sdwa s[6:7], s11, v0 src0_sel:BYTE_0 src1_sel:DWORD
	s_and_b64 vcc, exec, s[6:7]
	s_cbranch_vccnz .LBB126_1226
; %bb.1225:
	v_cmp_ne_u16_sdwa s[6:7], s11, v0 src0_sel:BYTE_0 src1_sel:DWORD
	s_mov_b64 s[14:15], 0
	s_mov_b32 s16, 0
	s_branch .LBB126_1227
.LBB126_1226:
	s_mov_b64 s[14:15], -1
	s_mov_b64 s[6:7], 0
                                        ; implicit-def: $sgpr16
.LBB126_1227:
	s_andn2_b64 vcc, exec, s[14:15]
	s_cbranch_vccnz .LBB126_1229
; %bb.1228:
	v_mov_b32_e32 v0, 0
	s_mov_b32 s16, 0
	v_cmp_ne_u16_sdwa s[6:7], s11, v0 src0_sel:BYTE_0 src1_sel:DWORD
.LBB126_1229:
	s_andn2_b64 vcc, exec, s[6:7]
	v_mov_b32_e32 v0, s16
	s_cbranch_vccnz .LBB126_1231
; %bb.1230:
	v_mov_b32_e32 v0, v13
.LBB126_1231:
	global_store_byte v[10:11], v0, off
	s_mov_b64 s[6:7], 0
.LBB126_1232:
	s_and_b64 vcc, exec, s[6:7]
	s_cbranch_vccz .LBB126_1241
; %bb.1233:
	v_mov_b32_e32 v0, 0x80
	v_cmp_lt_i16_sdwa s[6:7], s11, v0 src0_sel:BYTE_0 src1_sel:DWORD
	s_and_b64 vcc, exec, s[6:7]
	s_cbranch_vccnz .LBB126_1235
; %bb.1234:
	v_cmp_ne_u16_sdwa s[6:7], s11, v0 src0_sel:BYTE_0 src1_sel:DWORD
	s_mov_b64 s[14:15], 0
	s_mov_b32 s16, 0
	s_branch .LBB126_1236
.LBB126_1235:
	s_mov_b64 s[14:15], -1
	s_mov_b64 s[6:7], 0
                                        ; implicit-def: $sgpr16
.LBB126_1236:
	s_andn2_b64 vcc, exec, s[14:15]
	s_cbranch_vccnz .LBB126_1238
; %bb.1237:
	v_mov_b32_e32 v0, 0
	s_mov_b32 s16, 0
	v_cmp_ne_u16_sdwa s[6:7], s11, v0 src0_sel:BYTE_0 src1_sel:DWORD
.LBB126_1238:
	s_andn2_b64 vcc, exec, s[6:7]
	v_mov_b32_e32 v0, s16
	s_cbranch_vccnz .LBB126_1240
; %bb.1239:
	v_mov_b32_e32 v0, v4
.LBB126_1240:
	global_store_byte v[10:11], v0, off
.LBB126_1241:
	s_or_b64 exec, exec, s[2:3]
	s_and_b64 s[2:3], s[12:13], exec
                                        ; implicit-def: $vgpr12
                                        ; implicit-def: $vgpr16
.LBB126_1242:
	s_or_saveexec_b64 s[4:5], s[4:5]
	s_mov_b64 s[12:13], 0
                                        ; implicit-def: $vgpr4_vgpr5
	s_xor_b64 exec, exec, s[4:5]
	s_cbranch_execz .LBB126_2170
; %bb.1243:
	v_mul_lo_u32 v6, s10, v16
	v_ashrrev_i32_e32 v0, 31, v6
	v_mov_b32_e32 v1, s9
	v_add_co_u32_e32 v4, vcc, s8, v6
	v_addc_co_u32_e32 v5, vcc, v1, v0, vcc
	v_cmp_gt_i16_e64 s[0:1], 11, v12
	s_and_b64 vcc, exec, s[0:1]
	s_cbranch_vccnz .LBB126_1252
; %bb.1244:
	v_cmp_lt_i16_e32 vcc, 25, v12
	s_mov_b64 s[16:17], -1
	s_mov_b64 s[14:15], 0
	s_mov_b64 s[6:7], 0
	s_cbranch_vccz .LBB126_1464
; %bb.1245:
	v_cmp_lt_i16_e32 vcc, 28, v12
	s_cbranch_vccz .LBB126_1421
; %bb.1246:
	v_cmp_lt_i16_e32 vcc, 43, v12
	;; [unrolled: 3-line block ×3, first 2 shown]
	s_cbranch_vccz .LBB126_1394
; %bb.1248:
	v_cmp_eq_u16_e32 vcc, 46, v12
	s_mov_b64 s[6:7], -1
	s_mov_b64 s[16:17], 0
	s_cbranch_vccz .LBB126_1394
; %bb.1249:
	v_mov_b32_e32 v0, 0x80
	v_cmp_lt_i16_sdwa s[6:7], s11, v0 src0_sel:BYTE_0 src1_sel:DWORD
	s_and_b64 vcc, exec, s[6:7]
	s_cbranch_vccnz .LBB126_1261
; %bb.1250:
	v_cmp_eq_u16_sdwa s[6:7], s11, v0 src0_sel:BYTE_0 src1_sel:DWORD
	s_and_b64 vcc, exec, s[6:7]
	s_cbranch_vccz .LBB126_1387
; %bb.1251:
	s_mov_b64 s[6:7], 0
	s_mov_b32 s18, 0x7f800001
	s_branch .LBB126_1389
.LBB126_1252:
	s_mov_b64 s[14:15], 0
	s_mov_b64 s[6:7], s[2:3]
	s_cbranch_execz .LBB126_1546
; %bb.1253:
	v_cmp_gt_i16_e32 vcc, 5, v12
	s_mov_b64 s[12:13], -1
	s_cbranch_vccnz .LBB126_1335
; %bb.1254:
	v_cmp_gt_i16_e32 vcc, 8, v12
	s_cbranch_vccnz .LBB126_1295
; %bb.1255:
	v_cmp_gt_i16_e32 vcc, 9, v12
	s_cbranch_vccnz .LBB126_1282
; %bb.1256:
	v_cmp_lt_i16_e32 vcc, 9, v12
	s_cbranch_vccz .LBB126_1269
; %bb.1257:
	v_mov_b32_e32 v0, 0x80
	v_cmp_lt_i16_sdwa s[12:13], s11, v0 src0_sel:BYTE_0 src1_sel:DWORD
	s_and_b64 vcc, exec, s[12:13]
	s_cbranch_vccnz .LBB126_1260
; %bb.1258:
	v_cmp_eq_u16_sdwa s[12:13], s11, v0 src0_sel:BYTE_0 src1_sel:DWORD
	s_and_b64 vcc, exec, s[12:13]
	s_cbranch_vccz .LBB126_1262
; %bb.1259:
	s_mov_b64 s[12:13], 0
	s_mov_b32 s15, 0x7ff80000
	s_brev_b32 s14, 4
	s_branch .LBB126_1263
.LBB126_1260:
	s_mov_b64 s[16:17], -1
	s_mov_b64 s[12:13], 0
                                        ; implicit-def: $sgpr14_sgpr15
	s_branch .LBB126_1264
.LBB126_1261:
	s_mov_b64 s[14:15], -1
	s_mov_b64 s[6:7], 0
	s_branch .LBB126_1388
.LBB126_1262:
	s_mov_b64 s[12:13], -1
                                        ; implicit-def: $sgpr14_sgpr15
.LBB126_1263:
	s_mov_b64 s[16:17], 0
.LBB126_1264:
	s_and_b64 vcc, exec, s[16:17]
	s_cbranch_vccz .LBB126_1266
; %bb.1265:
	v_mov_b32_e32 v0, 0
	v_cmp_ne_u16_sdwa s[12:13], s11, v0 src0_sel:BYTE_0 src1_sel:DWORD
	s_mov_b64 s[14:15], 0
.LBB126_1266:
	s_andn2_b64 vcc, exec, s[12:13]
	v_pk_mov_b32 v[0:1], s[14:15], s[14:15] op_sel:[0,1]
	s_cbranch_vccnz .LBB126_1268
; %bb.1267:
	s_and_b32 s13, s11, 3
	s_flbit_i32_b32 s15, s13
	s_min_u32 s15, s15, 32
	v_lshrrev_b16_e64 v0, 2, s11
	s_sub_i32 s16, s15, 29
	v_readfirstlane_b32 s14, v0
	s_lshl_b32 s16, s11, s16
	s_lshl_b32 s12, s11, 24
	s_and_b32 s14, s14, 31
	s_sub_i32 s15, 30, s15
	s_and_b32 s16, s16, 3
	s_cmp_eq_u32 s14, 0
	s_cselect_b32 s14, s15, s14
	s_cselect_b32 s13, s16, s13
	s_lshl_b32 s14, s14, 23
	s_and_b32 s12, s12, 0x80000000
	s_add_i32 s14, s14, 0x37800000
	s_lshl_b32 s13, s13, 21
	s_or_b32 s12, s12, s14
	s_or_b32 s12, s12, s13
	v_cvt_f64_f32_e32 v[0:1], s12
.LBB126_1268:
	v_mov_b32_e32 v2, 0
	v_mov_b32_e32 v3, v2
	global_store_dwordx4 v[4:5], v[0:3], off
	s_mov_b64 s[12:13], 0
.LBB126_1269:
	s_and_b64 vcc, exec, s[12:13]
	s_cbranch_vccz .LBB126_1281
; %bb.1270:
	v_mov_b32_e32 v0, 0x80
	v_cmp_lt_i16_sdwa s[12:13], s11, v0 src0_sel:BYTE_0 src1_sel:DWORD
	s_and_b64 vcc, exec, s[12:13]
	s_cbranch_vccnz .LBB126_1273
; %bb.1271:
	v_cmp_eq_u16_sdwa s[12:13], s11, v0 src0_sel:BYTE_0 src1_sel:DWORD
	s_and_b64 vcc, exec, s[12:13]
	s_cbranch_vccz .LBB126_1274
; %bb.1272:
	s_mov_b64 s[12:13], 0
	s_mov_b32 s16, 0x7f800001
	s_branch .LBB126_1275
.LBB126_1273:
	s_mov_b64 s[14:15], -1
	s_mov_b64 s[12:13], 0
                                        ; implicit-def: $sgpr16
	s_branch .LBB126_1276
.LBB126_1274:
	s_mov_b64 s[12:13], -1
                                        ; implicit-def: $sgpr16
.LBB126_1275:
	s_mov_b64 s[14:15], 0
.LBB126_1276:
	s_and_b64 vcc, exec, s[14:15]
	v_mov_b32_e32 v0, s16
	s_cbranch_vccz .LBB126_1278
; %bb.1277:
	s_mov_b32 s12, 0xffff
	v_mov_b32_e32 v0, s11
	v_mov_b32_e32 v1, 0
	v_and_b32_sdwa v0, s12, v0 dst_sel:DWORD dst_unused:UNUSED_PAD src0_sel:DWORD src1_sel:BYTE_0
	v_cmp_ne_u16_sdwa s[12:13], s11, v1 src0_sel:BYTE_0 src1_sel:DWORD
.LBB126_1278:
	s_andn2_b64 vcc, exec, s[12:13]
	s_cbranch_vccnz .LBB126_1280
; %bb.1279:
	s_and_b32 s13, s11, 3
	s_flbit_i32_b32 s15, s13
	s_min_u32 s15, s15, 32
	v_lshrrev_b16_e64 v0, 2, s11
	s_sub_i32 s16, s15, 29
	v_readfirstlane_b32 s14, v0
	s_lshl_b32 s16, s11, s16
	s_lshl_b32 s12, s11, 24
	s_and_b32 s14, s14, 31
	s_sub_i32 s15, 30, s15
	s_and_b32 s16, s16, 3
	s_cmp_eq_u32 s14, 0
	s_cselect_b32 s14, s15, s14
	s_cselect_b32 s13, s16, s13
	s_lshl_b32 s14, s14, 23
	s_and_b32 s12, s12, 0x80000000
	s_add_i32 s14, s14, 0x37800000
	s_lshl_b32 s13, s13, 21
	s_or_b32 s12, s12, s14
	s_or_b32 s12, s12, s13
	v_mov_b32_e32 v0, s12
.LBB126_1280:
	v_mov_b32_e32 v1, 0
	global_store_dwordx2 v[4:5], v[0:1], off
.LBB126_1281:
	s_mov_b64 s[12:13], 0
.LBB126_1282:
	s_andn2_b64 vcc, exec, s[12:13]
	s_cbranch_vccnz .LBB126_1294
; %bb.1283:
	v_mov_b32_e32 v0, 0x80
	v_cmp_lt_i16_sdwa s[12:13], s11, v0 src0_sel:BYTE_0 src1_sel:DWORD
	s_and_b64 vcc, exec, s[12:13]
	s_cbranch_vccnz .LBB126_1286
; %bb.1284:
	v_cmp_eq_u16_sdwa s[12:13], s11, v0 src0_sel:BYTE_0 src1_sel:DWORD
	s_and_b64 vcc, exec, s[12:13]
	s_cbranch_vccz .LBB126_1287
; %bb.1285:
	s_mov_b64 s[12:13], 0
	s_movk_i32 s16, 0x7e00
	s_branch .LBB126_1288
.LBB126_1286:
	s_mov_b64 s[14:15], -1
	s_mov_b64 s[12:13], 0
                                        ; implicit-def: $sgpr16
	s_branch .LBB126_1289
.LBB126_1287:
	s_mov_b64 s[12:13], -1
                                        ; implicit-def: $sgpr16
.LBB126_1288:
	s_mov_b64 s[14:15], 0
.LBB126_1289:
	s_and_b64 vcc, exec, s[14:15]
	v_mov_b32_e32 v0, s16
	s_cbranch_vccz .LBB126_1291
; %bb.1290:
	s_mov_b32 s12, 0xffff
	v_mov_b32_e32 v0, s11
	v_mov_b32_e32 v1, 0
	v_and_b32_sdwa v0, s12, v0 dst_sel:DWORD dst_unused:UNUSED_PAD src0_sel:DWORD src1_sel:BYTE_0
	v_cmp_ne_u16_sdwa s[12:13], s11, v1 src0_sel:BYTE_0 src1_sel:DWORD
.LBB126_1291:
	s_andn2_b64 vcc, exec, s[12:13]
	s_cbranch_vccnz .LBB126_1293
; %bb.1292:
	s_and_b32 s13, s11, 3
	s_flbit_i32_b32 s15, s13
	s_min_u32 s15, s15, 32
	v_lshrrev_b16_e64 v0, 2, s11
	s_sub_i32 s16, s15, 29
	v_readfirstlane_b32 s14, v0
	s_lshl_b32 s16, s11, s16
	s_lshl_b32 s12, s11, 24
	s_and_b32 s14, s14, 31
	s_sub_i32 s15, 30, s15
	s_and_b32 s16, s16, 3
	s_cmp_eq_u32 s14, 0
	s_cselect_b32 s14, s15, s14
	s_cselect_b32 s13, s16, s13
	s_lshl_b32 s14, s14, 23
	s_and_b32 s12, s12, 0x80000000
	s_add_i32 s14, s14, 0x37800000
	s_lshl_b32 s13, s13, 21
	s_or_b32 s12, s12, s14
	s_or_b32 s12, s12, s13
	v_cvt_f16_f32_e32 v0, s12
.LBB126_1293:
	global_store_dword v[4:5], v0, off
.LBB126_1294:
	s_mov_b64 s[12:13], 0
.LBB126_1295:
	s_andn2_b64 vcc, exec, s[12:13]
	s_cbranch_vccnz .LBB126_1334
; %bb.1296:
	v_cmp_gt_i16_e32 vcc, 6, v12
	s_mov_b64 s[12:13], -1
	s_cbranch_vccnz .LBB126_1322
; %bb.1297:
	v_cmp_lt_i16_e32 vcc, 6, v12
	s_cbranch_vccz .LBB126_1309
; %bb.1298:
	v_mov_b32_e32 v0, 0x80
	v_cmp_lt_i16_sdwa s[12:13], s11, v0 src0_sel:BYTE_0 src1_sel:DWORD
	s_and_b64 vcc, exec, s[12:13]
	s_cbranch_vccnz .LBB126_1301
; %bb.1299:
	v_cmp_eq_u16_sdwa s[12:13], s11, v0 src0_sel:BYTE_0 src1_sel:DWORD
	s_and_b64 vcc, exec, s[12:13]
	s_cbranch_vccz .LBB126_1302
; %bb.1300:
	s_mov_b64 s[12:13], 0
	s_mov_b32 s15, 0x7ff80000
	s_brev_b32 s14, 4
	s_branch .LBB126_1303
.LBB126_1301:
	s_mov_b64 s[16:17], -1
	s_mov_b64 s[12:13], 0
                                        ; implicit-def: $sgpr14_sgpr15
	s_branch .LBB126_1304
.LBB126_1302:
	s_mov_b64 s[12:13], -1
                                        ; implicit-def: $sgpr14_sgpr15
.LBB126_1303:
	s_mov_b64 s[16:17], 0
.LBB126_1304:
	s_and_b64 vcc, exec, s[16:17]
	s_cbranch_vccz .LBB126_1306
; %bb.1305:
	v_mov_b32_e32 v0, 0
	v_cmp_ne_u16_sdwa s[12:13], s11, v0 src0_sel:BYTE_0 src1_sel:DWORD
	s_mov_b64 s[14:15], 0
.LBB126_1306:
	s_andn2_b64 vcc, exec, s[12:13]
	v_pk_mov_b32 v[0:1], s[14:15], s[14:15] op_sel:[0,1]
	s_cbranch_vccnz .LBB126_1308
; %bb.1307:
	s_and_b32 s13, s11, 3
	s_flbit_i32_b32 s15, s13
	s_min_u32 s15, s15, 32
	v_lshrrev_b16_e64 v0, 2, s11
	s_sub_i32 s16, s15, 29
	v_readfirstlane_b32 s14, v0
	s_lshl_b32 s16, s11, s16
	s_lshl_b32 s12, s11, 24
	s_and_b32 s14, s14, 31
	s_sub_i32 s15, 30, s15
	s_and_b32 s16, s16, 3
	s_cmp_eq_u32 s14, 0
	s_cselect_b32 s14, s15, s14
	s_cselect_b32 s13, s16, s13
	s_lshl_b32 s14, s14, 23
	s_and_b32 s12, s12, 0x80000000
	s_add_i32 s14, s14, 0x37800000
	s_lshl_b32 s13, s13, 21
	s_or_b32 s12, s12, s14
	s_or_b32 s12, s12, s13
	v_cvt_f64_f32_e32 v[0:1], s12
.LBB126_1308:
	global_store_dwordx2 v[4:5], v[0:1], off
	s_mov_b64 s[12:13], 0
.LBB126_1309:
	s_and_b64 vcc, exec, s[12:13]
	s_cbranch_vccz .LBB126_1321
; %bb.1310:
	v_mov_b32_e32 v0, 0x80
	v_cmp_lt_i16_sdwa s[12:13], s11, v0 src0_sel:BYTE_0 src1_sel:DWORD
	s_and_b64 vcc, exec, s[12:13]
	s_cbranch_vccnz .LBB126_1313
; %bb.1311:
	v_cmp_eq_u16_sdwa s[12:13], s11, v0 src0_sel:BYTE_0 src1_sel:DWORD
	s_and_b64 vcc, exec, s[12:13]
	s_cbranch_vccz .LBB126_1314
; %bb.1312:
	s_mov_b64 s[12:13], 0
	s_mov_b32 s16, 0x7f800001
	s_branch .LBB126_1315
.LBB126_1313:
	s_mov_b64 s[14:15], -1
	s_mov_b64 s[12:13], 0
                                        ; implicit-def: $sgpr16
	s_branch .LBB126_1316
.LBB126_1314:
	s_mov_b64 s[12:13], -1
                                        ; implicit-def: $sgpr16
.LBB126_1315:
	s_mov_b64 s[14:15], 0
.LBB126_1316:
	s_and_b64 vcc, exec, s[14:15]
	v_mov_b32_e32 v0, s16
	s_cbranch_vccz .LBB126_1318
; %bb.1317:
	s_mov_b32 s12, 0xffff
	v_mov_b32_e32 v0, s11
	v_mov_b32_e32 v1, 0
	v_and_b32_sdwa v0, s12, v0 dst_sel:DWORD dst_unused:UNUSED_PAD src0_sel:DWORD src1_sel:BYTE_0
	v_cmp_ne_u16_sdwa s[12:13], s11, v1 src0_sel:BYTE_0 src1_sel:DWORD
.LBB126_1318:
	s_andn2_b64 vcc, exec, s[12:13]
	s_cbranch_vccnz .LBB126_1320
; %bb.1319:
	s_and_b32 s13, s11, 3
	s_flbit_i32_b32 s15, s13
	s_min_u32 s15, s15, 32
	v_lshrrev_b16_e64 v0, 2, s11
	s_sub_i32 s16, s15, 29
	v_readfirstlane_b32 s14, v0
	s_lshl_b32 s16, s11, s16
	s_lshl_b32 s12, s11, 24
	s_and_b32 s14, s14, 31
	s_sub_i32 s15, 30, s15
	s_and_b32 s16, s16, 3
	s_cmp_eq_u32 s14, 0
	s_cselect_b32 s14, s15, s14
	s_cselect_b32 s13, s16, s13
	s_lshl_b32 s14, s14, 23
	s_and_b32 s12, s12, 0x80000000
	s_add_i32 s14, s14, 0x37800000
	s_lshl_b32 s13, s13, 21
	s_or_b32 s12, s12, s14
	s_or_b32 s12, s12, s13
	v_mov_b32_e32 v0, s12
.LBB126_1320:
	global_store_dword v[4:5], v0, off
.LBB126_1321:
	s_mov_b64 s[12:13], 0
.LBB126_1322:
	s_andn2_b64 vcc, exec, s[12:13]
	s_cbranch_vccnz .LBB126_1334
; %bb.1323:
	v_mov_b32_e32 v0, 0xff
	v_and_b32_e32 v0, s11, v0
	s_movk_i32 s12, 0x80
	v_cmp_gt_i16_e32 vcc, s12, v0
	s_cbranch_vccnz .LBB126_1326
; %bb.1324:
	v_cmp_eq_u16_e32 vcc, s12, v0
	s_cbranch_vccz .LBB126_1327
; %bb.1325:
	s_mov_b64 s[12:13], 0
	s_movk_i32 s16, 0x7e00
	s_branch .LBB126_1328
.LBB126_1326:
	s_mov_b64 s[14:15], -1
	s_mov_b64 s[12:13], 0
                                        ; implicit-def: $sgpr16
	s_branch .LBB126_1329
.LBB126_1327:
	s_mov_b64 s[12:13], -1
                                        ; implicit-def: $sgpr16
.LBB126_1328:
	s_mov_b64 s[14:15], 0
.LBB126_1329:
	s_and_b64 vcc, exec, s[14:15]
	v_mov_b32_e32 v1, s16
	s_cbranch_vccz .LBB126_1331
; %bb.1330:
	v_cmp_ne_u16_e64 s[12:13], 0, v0
	v_mov_b32_e32 v1, v0
.LBB126_1331:
	s_andn2_b64 vcc, exec, s[12:13]
	s_cbranch_vccnz .LBB126_1333
; %bb.1332:
	s_and_b32 s13, s11, 3
	s_flbit_i32_b32 s15, s13
	s_min_u32 s15, s15, 32
	v_lshrrev_b16_e64 v0, 2, s11
	s_sub_i32 s16, s15, 29
	v_readfirstlane_b32 s14, v0
	s_lshl_b32 s16, s11, s16
	s_lshl_b32 s12, s11, 24
	s_and_b32 s14, s14, 31
	s_sub_i32 s15, 30, s15
	s_and_b32 s16, s16, 3
	s_cmp_eq_u32 s14, 0
	s_cselect_b32 s14, s15, s14
	s_cselect_b32 s13, s16, s13
	s_lshl_b32 s14, s14, 23
	s_and_b32 s12, s12, 0x80000000
	s_add_i32 s14, s14, 0x37800000
	s_lshl_b32 s13, s13, 21
	s_or_b32 s12, s12, s14
	s_or_b32 s12, s12, s13
	v_cvt_f16_f32_e32 v1, s12
.LBB126_1333:
	global_store_short v[4:5], v1, off
.LBB126_1334:
	s_mov_b64 s[12:13], 0
.LBB126_1335:
	s_andn2_b64 vcc, exec, s[12:13]
	s_cbranch_vccnz .LBB126_1386
; %bb.1336:
	v_cmp_gt_i16_e32 vcc, 2, v12
	s_mov_b64 s[12:13], -1
	s_cbranch_vccnz .LBB126_1367
; %bb.1337:
	v_cmp_gt_i16_e32 vcc, 3, v12
	s_cbranch_vccnz .LBB126_1357
; %bb.1338:
	v_cmp_lt_i16_e32 vcc, 3, v12
	s_cbranch_vccz .LBB126_1347
; %bb.1339:
	v_mov_b32_e32 v0, 0x80
	v_cmp_lt_i16_sdwa s[12:13], s11, v0 src0_sel:BYTE_0 src1_sel:DWORD
	s_and_b64 vcc, exec, s[12:13]
	s_cbranch_vccnz .LBB126_1341
; %bb.1340:
	v_cmp_ne_u16_sdwa s[12:13], s11, v0 src0_sel:BYTE_0 src1_sel:DWORD
	s_mov_b64 s[16:17], 0
	s_mov_b64 s[14:15], 0
	s_branch .LBB126_1342
.LBB126_1341:
	s_mov_b64 s[16:17], -1
	s_mov_b64 s[12:13], 0
                                        ; implicit-def: $sgpr14_sgpr15
.LBB126_1342:
	s_andn2_b64 vcc, exec, s[16:17]
	s_cbranch_vccnz .LBB126_1344
; %bb.1343:
	v_mov_b32_e32 v0, 0
	v_cmp_ne_u16_sdwa s[12:13], s11, v0 src0_sel:BYTE_0 src1_sel:DWORD
	s_mov_b64 s[14:15], 0
.LBB126_1344:
	s_andn2_b64 vcc, exec, s[12:13]
	v_pk_mov_b32 v[0:1], s[14:15], s[14:15] op_sel:[0,1]
	s_cbranch_vccnz .LBB126_1346
; %bb.1345:
	s_and_b32 s13, s11, 3
	s_flbit_i32_b32 s15, s13
	s_min_u32 s15, s15, 32
	v_lshrrev_b16_e64 v0, 2, s11
	s_sub_i32 s16, s15, 29
	v_readfirstlane_b32 s14, v0
	s_lshl_b32 s16, s11, s16
	s_lshl_b32 s12, s11, 24
	s_and_b32 s14, s14, 31
	s_sub_i32 s15, 30, s15
	s_and_b32 s16, s16, 3
	s_cmp_eq_u32 s14, 0
	s_cselect_b32 s14, s15, s14
	s_cselect_b32 s13, s16, s13
	s_lshl_b32 s14, s14, 23
	s_and_b32 s12, s12, 0x80000000
	s_add_i32 s14, s14, 0x37800000
	s_lshl_b32 s13, s13, 21
	s_or_b32 s12, s12, s14
	s_or_b32 s12, s12, s13
	v_trunc_f32_e32 v0, s12
	s_mov_b32 s12, 0x2f800000
	v_mul_f32_e64 v1, |v0|, s12
	v_floor_f32_e32 v1, v1
	s_mov_b32 s12, 0xcf800000
	v_fma_f32 v2, v1, s12, |v0|
	v_cvt_u32_f32_e32 v2, v2
	v_cvt_u32_f32_e32 v1, v1
	v_ashrrev_i32_e32 v3, 31, v0
	v_xor_b32_e32 v0, v2, v3
	v_xor_b32_e32 v1, v1, v3
	v_sub_co_u32_e32 v0, vcc, v0, v3
	v_subb_co_u32_e32 v1, vcc, v1, v3, vcc
.LBB126_1346:
	global_store_dwordx2 v[4:5], v[0:1], off
	s_mov_b64 s[12:13], 0
.LBB126_1347:
	s_and_b64 vcc, exec, s[12:13]
	s_cbranch_vccz .LBB126_1356
; %bb.1348:
	v_mov_b32_e32 v0, 0x80
	v_cmp_lt_i16_sdwa s[12:13], s11, v0 src0_sel:BYTE_0 src1_sel:DWORD
	s_and_b64 vcc, exec, s[12:13]
	s_cbranch_vccnz .LBB126_1350
; %bb.1349:
	v_cmp_ne_u16_sdwa s[12:13], s11, v0 src0_sel:BYTE_0 src1_sel:DWORD
	s_mov_b64 s[14:15], 0
	s_mov_b32 s16, 0
	s_branch .LBB126_1351
.LBB126_1350:
	s_mov_b64 s[14:15], -1
	s_mov_b64 s[12:13], 0
                                        ; implicit-def: $sgpr16
.LBB126_1351:
	s_andn2_b64 vcc, exec, s[14:15]
	s_cbranch_vccnz .LBB126_1353
; %bb.1352:
	v_mov_b32_e32 v0, 0
	s_mov_b32 s16, 0
	v_cmp_ne_u16_sdwa s[12:13], s11, v0 src0_sel:BYTE_0 src1_sel:DWORD
.LBB126_1353:
	s_andn2_b64 vcc, exec, s[12:13]
	v_mov_b32_e32 v0, s16
	s_cbranch_vccnz .LBB126_1355
; %bb.1354:
	s_and_b32 s13, s11, 3
	s_flbit_i32_b32 s15, s13
	s_min_u32 s15, s15, 32
	v_lshrrev_b16_e64 v0, 2, s11
	s_sub_i32 s16, s15, 29
	v_readfirstlane_b32 s14, v0
	s_lshl_b32 s16, s11, s16
	s_lshl_b32 s12, s11, 24
	s_and_b32 s14, s14, 31
	s_sub_i32 s15, 30, s15
	s_and_b32 s16, s16, 3
	s_cmp_eq_u32 s14, 0
	s_cselect_b32 s14, s15, s14
	s_cselect_b32 s13, s16, s13
	s_lshl_b32 s14, s14, 23
	s_and_b32 s12, s12, 0x80000000
	s_add_i32 s14, s14, 0x37800000
	s_lshl_b32 s13, s13, 21
	s_or_b32 s12, s12, s14
	s_or_b32 s12, s12, s13
	v_cvt_i32_f32_e32 v0, s12
.LBB126_1355:
	global_store_dword v[4:5], v0, off
.LBB126_1356:
	s_mov_b64 s[12:13], 0
.LBB126_1357:
	s_andn2_b64 vcc, exec, s[12:13]
	s_cbranch_vccnz .LBB126_1366
; %bb.1358:
	v_mov_b32_e32 v0, 0x80
	v_cmp_lt_i16_sdwa s[12:13], s11, v0 src0_sel:BYTE_0 src1_sel:DWORD
	s_and_b64 vcc, exec, s[12:13]
	s_cbranch_vccnz .LBB126_1360
; %bb.1359:
	v_cmp_ne_u16_sdwa s[12:13], s11, v0 src0_sel:BYTE_0 src1_sel:DWORD
	s_mov_b64 s[14:15], 0
	s_mov_b32 s16, 0
	s_branch .LBB126_1361
.LBB126_1360:
	s_mov_b64 s[14:15], -1
	s_mov_b64 s[12:13], 0
                                        ; implicit-def: $sgpr16
.LBB126_1361:
	s_andn2_b64 vcc, exec, s[14:15]
	s_cbranch_vccnz .LBB126_1363
; %bb.1362:
	v_mov_b32_e32 v0, 0
	s_mov_b32 s16, 0
	v_cmp_ne_u16_sdwa s[12:13], s11, v0 src0_sel:BYTE_0 src1_sel:DWORD
.LBB126_1363:
	s_andn2_b64 vcc, exec, s[12:13]
	v_mov_b32_e32 v0, s16
	s_cbranch_vccnz .LBB126_1365
; %bb.1364:
	s_and_b32 s13, s11, 3
	s_flbit_i32_b32 s15, s13
	s_min_u32 s15, s15, 32
	v_lshrrev_b16_e64 v0, 2, s11
	s_sub_i32 s16, s15, 29
	v_readfirstlane_b32 s14, v0
	s_lshl_b32 s16, s11, s16
	s_lshl_b32 s12, s11, 24
	s_and_b32 s14, s14, 31
	s_sub_i32 s15, 30, s15
	s_and_b32 s16, s16, 3
	s_cmp_eq_u32 s14, 0
	s_cselect_b32 s14, s15, s14
	s_cselect_b32 s13, s16, s13
	s_lshl_b32 s14, s14, 23
	s_and_b32 s12, s12, 0x80000000
	s_add_i32 s14, s14, 0x37800000
	s_lshl_b32 s13, s13, 21
	s_or_b32 s12, s12, s14
	s_or_b32 s12, s12, s13
	v_cvt_i32_f32_e32 v0, s12
.LBB126_1365:
	global_store_short v[4:5], v0, off
.LBB126_1366:
	s_mov_b64 s[12:13], 0
.LBB126_1367:
	s_andn2_b64 vcc, exec, s[12:13]
	s_cbranch_vccnz .LBB126_1386
; %bb.1368:
	v_cmp_lt_i16_e32 vcc, 0, v12
	s_mov_b64 s[12:13], -1
	s_cbranch_vccz .LBB126_1377
; %bb.1369:
	v_mov_b32_e32 v0, 0x80
	v_cmp_lt_i16_sdwa s[12:13], s11, v0 src0_sel:BYTE_0 src1_sel:DWORD
	s_and_b64 vcc, exec, s[12:13]
	s_cbranch_vccnz .LBB126_1371
; %bb.1370:
	v_cmp_ne_u16_sdwa s[12:13], s11, v0 src0_sel:BYTE_0 src1_sel:DWORD
	s_mov_b64 s[14:15], 0
	s_mov_b32 s16, 0
	s_branch .LBB126_1372
.LBB126_1371:
	s_mov_b64 s[14:15], -1
	s_mov_b64 s[12:13], 0
                                        ; implicit-def: $sgpr16
.LBB126_1372:
	s_andn2_b64 vcc, exec, s[14:15]
	s_cbranch_vccnz .LBB126_1374
; %bb.1373:
	v_mov_b32_e32 v0, 0
	s_mov_b32 s16, 0
	v_cmp_ne_u16_sdwa s[12:13], s11, v0 src0_sel:BYTE_0 src1_sel:DWORD
.LBB126_1374:
	s_andn2_b64 vcc, exec, s[12:13]
	v_mov_b32_e32 v0, s16
	s_cbranch_vccnz .LBB126_1376
; %bb.1375:
	s_and_b32 s13, s11, 3
	s_flbit_i32_b32 s15, s13
	s_min_u32 s15, s15, 32
	v_lshrrev_b16_e64 v0, 2, s11
	s_sub_i32 s16, s15, 29
	v_readfirstlane_b32 s14, v0
	s_lshl_b32 s16, s11, s16
	s_lshl_b32 s12, s11, 24
	s_and_b32 s14, s14, 31
	s_sub_i32 s15, 30, s15
	s_and_b32 s16, s16, 3
	s_cmp_eq_u32 s14, 0
	s_cselect_b32 s14, s15, s14
	s_cselect_b32 s13, s16, s13
	s_lshl_b32 s14, s14, 23
	s_and_b32 s12, s12, 0x80000000
	s_add_i32 s14, s14, 0x37800000
	s_lshl_b32 s13, s13, 21
	s_or_b32 s12, s12, s14
	s_or_b32 s12, s12, s13
	v_cvt_i32_f32_e32 v0, s12
.LBB126_1376:
	global_store_byte v[4:5], v0, off
	s_mov_b64 s[12:13], 0
.LBB126_1377:
	s_and_b64 vcc, exec, s[12:13]
	s_cbranch_vccz .LBB126_1386
; %bb.1378:
	v_mov_b32_e32 v0, 0x80
	v_cmp_lt_i16_sdwa s[12:13], s11, v0 src0_sel:BYTE_0 src1_sel:DWORD
	s_and_b64 vcc, exec, s[12:13]
	s_cbranch_vccnz .LBB126_1380
; %bb.1379:
	v_cmp_ne_u16_sdwa s[12:13], s11, v0 src0_sel:BYTE_0 src1_sel:DWORD
	s_mov_b64 s[14:15], 0
	s_mov_b32 s16, 0
	s_branch .LBB126_1381
.LBB126_1380:
	s_mov_b64 s[14:15], -1
	s_mov_b64 s[12:13], 0
                                        ; implicit-def: $sgpr16
.LBB126_1381:
	s_andn2_b64 vcc, exec, s[14:15]
	s_cbranch_vccnz .LBB126_1383
; %bb.1382:
	v_mov_b32_e32 v0, 0
	s_mov_b32 s16, 0
	v_cmp_ne_u16_sdwa s[12:13], s11, v0 src0_sel:BYTE_0 src1_sel:DWORD
.LBB126_1383:
	s_andn2_b64 vcc, exec, s[12:13]
	v_mov_b32_e32 v0, s16
	s_cbranch_vccnz .LBB126_1385
; %bb.1384:
	s_and_b32 s13, s11, 3
	s_flbit_i32_b32 s15, s13
	s_min_u32 s15, s15, 32
	v_lshrrev_b16_e64 v0, 2, s11
	s_sub_i32 s16, s15, 29
	v_readfirstlane_b32 s14, v0
	s_lshl_b32 s16, s11, s16
	s_lshl_b32 s12, s11, 24
	s_and_b32 s14, s14, 31
	s_sub_i32 s15, 30, s15
	s_and_b32 s16, s16, 3
	s_cmp_eq_u32 s14, 0
	s_cselect_b32 s14, s15, s14
	s_cselect_b32 s13, s16, s13
	s_lshl_b32 s14, s14, 23
	s_and_b32 s12, s12, 0x80000000
	s_add_i32 s14, s14, 0x37800000
	s_lshl_b32 s13, s13, 21
	s_or_b32 s12, s12, s14
	s_or_b32 s12, s12, s13
	v_trunc_f32_e32 v0, s12
	s_mov_b32 s12, 0x2f800000
	v_mul_f32_e64 v1, |v0|, s12
	v_floor_f32_e32 v1, v1
	s_mov_b32 s12, 0xcf800000
	v_fma_f32 v1, v1, s12, |v0|
	v_cvt_u32_f32_e32 v1, v1
	v_ashrrev_i32_e32 v0, 31, v0
	v_xor_b32_e32 v1, v1, v0
	v_sub_u32_e32 v0, v1, v0
.LBB126_1385:
	global_store_byte v[4:5], v0, off
.LBB126_1386:
	s_branch .LBB126_1547
.LBB126_1387:
	s_mov_b64 s[6:7], -1
.LBB126_1388:
                                        ; implicit-def: $sgpr18
.LBB126_1389:
	s_and_b64 vcc, exec, s[14:15]
	s_cbranch_vccz .LBB126_1391
; %bb.1390:
	v_mov_b32_e32 v0, 0
	s_mov_b32 s18, 0
	v_cmp_ne_u16_sdwa s[6:7], s11, v0 src0_sel:BYTE_0 src1_sel:DWORD
.LBB126_1391:
	s_andn2_b64 vcc, exec, s[6:7]
	s_cbranch_vccnz .LBB126_1393
; %bb.1392:
	s_and_b32 s7, s11, 3
	s_flbit_i32_b32 s15, s7
	s_min_u32 s15, s15, 32
	v_lshrrev_b16_e64 v0, 2, s11
	s_sub_i32 s18, s15, 29
	v_readfirstlane_b32 s14, v0
	s_lshl_b32 s18, s11, s18
	s_lshl_b32 s6, s11, 24
	s_and_b32 s14, s14, 31
	s_sub_i32 s15, 30, s15
	s_and_b32 s18, s18, 3
	s_cmp_eq_u32 s14, 0
	s_cselect_b32 s14, s15, s14
	s_cselect_b32 s7, s18, s7
	s_lshl_b32 s14, s14, 23
	s_and_b32 s6, s6, 0x80000000
	s_add_i32 s14, s14, 0x37800000
	s_lshl_b32 s7, s7, 21
	s_or_b32 s6, s6, s14
	s_or_b32 s18, s6, s7
.LBB126_1393:
	s_bfe_u32 s6, s18, 0x10010
	s_add_i32 s6, s18, s6
	s_addk_i32 s6, 0x7fff
	s_lshr_b32 s14, s6, 16
	v_cmp_o_f32_e64 s[6:7], s18, s18
	s_and_b64 s[6:7], s[6:7], exec
	s_cselect_b32 s6, s14, 0x7fc0
	v_mov_b32_e32 v0, s6
	s_mov_b64 s[6:7], 0
	s_mov_b64 s[14:15], -1
	global_store_dword v[4:5], v0, off
.LBB126_1394:
	s_and_b64 vcc, exec, s[16:17]
	s_cbranch_vccz .LBB126_1407
; %bb.1395:
	v_cmp_eq_u16_e32 vcc, 44, v12
	s_mov_b64 s[6:7], -1
	s_cbranch_vccz .LBB126_1407
; %bb.1396:
	v_mov_b32_e32 v0, 0xff
	v_and_b32_e32 v0, s11, v0
	s_movk_i32 s6, 0x80
	v_cmp_gt_i16_e32 vcc, s6, v0
	v_readfirstlane_b32 s17, v0
	s_cbranch_vccnz .LBB126_1399
; %bb.1397:
	v_mov_b32_e32 v0, 0x80
	v_cmp_eq_u16_e32 vcc, s17, v0
	s_cbranch_vccz .LBB126_1400
; %bb.1398:
	s_mov_b64 s[6:7], 0
	s_mov_b32 s16, 0x7f800001
	s_branch .LBB126_1401
.LBB126_1399:
	s_mov_b64 s[14:15], -1
	s_mov_b64 s[6:7], 0
                                        ; implicit-def: $sgpr16
	s_branch .LBB126_1402
.LBB126_1400:
	s_mov_b64 s[6:7], -1
                                        ; implicit-def: $sgpr16
.LBB126_1401:
	s_mov_b64 s[14:15], 0
.LBB126_1402:
	s_and_b64 vcc, exec, s[14:15]
	s_cbranch_vccz .LBB126_1412
; %bb.1403:
	s_and_b32 s16, 0xffff, s17
	v_cmp_ne_u16_e64 s[6:7], s17, 0
	s_andn2_b64 vcc, exec, s[6:7]
	s_cbranch_vccz .LBB126_1413
.LBB126_1404:
	s_bfe_u32 s6, s16, 0x80017
	s_cmpk_eq_i32 s6, 0xff
	v_mov_b32_e32 v0, 0xff
	s_cbranch_scc1 .LBB126_1406
.LBB126_1405:
	s_lshr_b32 s17, s16, 23
	s_bitcmp1_b32 s16, 22
	s_cselect_b64 s[14:15], -1, 0
	s_and_b32 s7, s16, 0x3fffff
	s_or_b32 s6, s6, s7
	s_cmp_lg_u32 s6, 0
	s_cselect_b64 s[6:7], -1, 0
	s_and_b64 s[6:7], s[14:15], s[6:7]
	v_cndmask_b32_e64 v0, 0, 1, s[6:7]
	v_add_u32_e32 v0, s17, v0
.LBB126_1406:
	s_mov_b64 s[6:7], 0
	s_mov_b64 s[14:15], -1
	global_store_byte v[4:5], v0, off
.LBB126_1407:
	s_mov_b64 s[16:17], 0
.LBB126_1408:
	s_and_b64 vcc, exec, s[16:17]
	s_cbranch_vccz .LBB126_1420
; %bb.1409:
	v_cmp_eq_u16_e32 vcc, 29, v12
	s_mov_b64 s[6:7], -1
	s_cbranch_vccz .LBB126_1420
; %bb.1410:
	v_mov_b32_e32 v0, 0x80
	v_cmp_lt_i16_sdwa s[6:7], s11, v0 src0_sel:BYTE_0 src1_sel:DWORD
	s_and_b64 vcc, exec, s[6:7]
	s_cbranch_vccnz .LBB126_1414
; %bb.1411:
	v_cmp_ne_u16_sdwa s[6:7], s11, v0 src0_sel:BYTE_0 src1_sel:DWORD
	s_mov_b64 s[16:17], 0
	s_mov_b64 s[14:15], 0
	s_branch .LBB126_1415
.LBB126_1412:
	s_andn2_b64 vcc, exec, s[6:7]
	s_cbranch_vccnz .LBB126_1404
.LBB126_1413:
	s_and_b32 s6, s11, 3
	s_flbit_i32_b32 s14, s6
	s_min_u32 s14, s14, 32
	v_lshrrev_b16_e64 v0, 2, s11
	s_sub_i32 s15, s14, 29
	v_readfirstlane_b32 s7, v0
	s_lshl_b32 s15, s11, s15
	s_and_b32 s7, s7, 31
	s_sub_i32 s14, 30, s14
	s_and_b32 s15, s15, 3
	s_cmp_eq_u32 s7, 0
	s_cselect_b32 s7, s14, s7
	s_cselect_b32 s6, s15, s6
	s_lshl_b32 s6, s6, 21
	s_lshl_b32 s7, s7, 23
	s_or_b32 s6, s7, s6
	s_add_i32 s16, s6, 0x37800000
	s_bfe_u32 s6, s16, 0x80017
	s_cmpk_eq_i32 s6, 0xff
	v_mov_b32_e32 v0, 0xff
	s_cbranch_scc0 .LBB126_1405
	s_branch .LBB126_1406
.LBB126_1414:
	s_mov_b64 s[16:17], -1
	s_mov_b64 s[6:7], 0
                                        ; implicit-def: $sgpr14_sgpr15
.LBB126_1415:
	s_andn2_b64 vcc, exec, s[16:17]
	s_cbranch_vccnz .LBB126_1417
; %bb.1416:
	v_mov_b32_e32 v0, 0
	v_cmp_ne_u16_sdwa s[6:7], s11, v0 src0_sel:BYTE_0 src1_sel:DWORD
	s_mov_b64 s[14:15], 0
.LBB126_1417:
	s_andn2_b64 vcc, exec, s[6:7]
	v_pk_mov_b32 v[0:1], s[14:15], s[14:15] op_sel:[0,1]
	s_cbranch_vccnz .LBB126_1419
; %bb.1418:
	s_and_b32 s7, s11, 3
	s_flbit_i32_b32 s15, s7
	s_min_u32 s15, s15, 32
	v_lshrrev_b16_e64 v0, 2, s11
	s_sub_i32 s16, s15, 29
	v_readfirstlane_b32 s14, v0
	s_lshl_b32 s16, s11, s16
	s_lshl_b32 s6, s11, 24
	s_and_b32 s14, s14, 31
	s_sub_i32 s15, 30, s15
	s_and_b32 s16, s16, 3
	s_cmp_eq_u32 s14, 0
	s_cselect_b32 s14, s15, s14
	s_cselect_b32 s7, s16, s7
	s_lshl_b32 s14, s14, 23
	s_and_b32 s6, s6, 0x80000000
	s_add_i32 s14, s14, 0x37800000
	s_lshl_b32 s7, s7, 21
	s_or_b32 s6, s6, s14
	s_or_b32 s6, s6, s7
	v_trunc_f32_e32 v0, s6
	v_mul_f32_e32 v1, 0x2f800000, v0
	v_floor_f32_e32 v1, v1
	v_fmac_f32_e32 v0, 0xcf800000, v1
	v_cvt_u32_f32_e32 v0, v0
	v_cvt_u32_f32_e32 v1, v1
.LBB126_1419:
	global_store_dwordx2 v[4:5], v[0:1], off
	s_mov_b64 s[6:7], 0
	s_mov_b64 s[14:15], -1
.LBB126_1420:
	s_mov_b64 s[16:17], 0
.LBB126_1421:
	s_and_b64 vcc, exec, s[16:17]
	s_cbranch_vccz .LBB126_1463
; %bb.1422:
	v_cmp_gt_i16_e32 vcc, 27, v12
	s_mov_b64 s[14:15], -1
	s_cbranch_vccnz .LBB126_1442
; %bb.1423:
	v_cmp_lt_i16_e32 vcc, 27, v12
	s_cbranch_vccz .LBB126_1432
; %bb.1424:
	v_mov_b32_e32 v0, 0x80
	v_cmp_lt_i16_sdwa s[14:15], s11, v0 src0_sel:BYTE_0 src1_sel:DWORD
	s_and_b64 vcc, exec, s[14:15]
	s_cbranch_vccnz .LBB126_1426
; %bb.1425:
	v_cmp_ne_u16_sdwa s[14:15], s11, v0 src0_sel:BYTE_0 src1_sel:DWORD
	s_mov_b64 s[16:17], 0
	s_mov_b32 s18, 0
	s_branch .LBB126_1427
.LBB126_1426:
	s_mov_b64 s[16:17], -1
	s_mov_b64 s[14:15], 0
                                        ; implicit-def: $sgpr18
.LBB126_1427:
	s_andn2_b64 vcc, exec, s[16:17]
	s_cbranch_vccnz .LBB126_1429
; %bb.1428:
	v_mov_b32_e32 v0, 0
	s_mov_b32 s18, 0
	v_cmp_ne_u16_sdwa s[14:15], s11, v0 src0_sel:BYTE_0 src1_sel:DWORD
.LBB126_1429:
	s_andn2_b64 vcc, exec, s[14:15]
	v_mov_b32_e32 v0, s18
	s_cbranch_vccnz .LBB126_1431
; %bb.1430:
	s_and_b32 s15, s11, 3
	s_flbit_i32_b32 s17, s15
	s_min_u32 s17, s17, 32
	v_lshrrev_b16_e64 v0, 2, s11
	s_sub_i32 s18, s17, 29
	v_readfirstlane_b32 s16, v0
	s_lshl_b32 s18, s11, s18
	s_lshl_b32 s14, s11, 24
	s_and_b32 s16, s16, 31
	s_sub_i32 s17, 30, s17
	s_and_b32 s18, s18, 3
	s_cmp_eq_u32 s16, 0
	s_cselect_b32 s16, s17, s16
	s_cselect_b32 s15, s18, s15
	s_lshl_b32 s16, s16, 23
	s_and_b32 s14, s14, 0x80000000
	s_add_i32 s16, s16, 0x37800000
	s_lshl_b32 s15, s15, 21
	s_or_b32 s14, s14, s16
	s_or_b32 s14, s14, s15
	v_cvt_u32_f32_e32 v0, s14
.LBB126_1431:
	global_store_dword v[4:5], v0, off
	s_mov_b64 s[14:15], 0
.LBB126_1432:
	s_and_b64 vcc, exec, s[14:15]
	s_cbranch_vccz .LBB126_1441
; %bb.1433:
	v_mov_b32_e32 v0, 0x80
	v_cmp_lt_i16_sdwa s[14:15], s11, v0 src0_sel:BYTE_0 src1_sel:DWORD
	s_and_b64 vcc, exec, s[14:15]
	s_cbranch_vccnz .LBB126_1435
; %bb.1434:
	v_cmp_ne_u16_sdwa s[14:15], s11, v0 src0_sel:BYTE_0 src1_sel:DWORD
	s_mov_b64 s[16:17], 0
	s_mov_b32 s18, 0
	s_branch .LBB126_1436
.LBB126_1435:
	s_mov_b64 s[16:17], -1
	s_mov_b64 s[14:15], 0
                                        ; implicit-def: $sgpr18
.LBB126_1436:
	s_andn2_b64 vcc, exec, s[16:17]
	s_cbranch_vccnz .LBB126_1438
; %bb.1437:
	v_mov_b32_e32 v0, 0
	s_mov_b32 s18, 0
	v_cmp_ne_u16_sdwa s[14:15], s11, v0 src0_sel:BYTE_0 src1_sel:DWORD
.LBB126_1438:
	s_andn2_b64 vcc, exec, s[14:15]
	v_mov_b32_e32 v0, s18
	s_cbranch_vccnz .LBB126_1440
; %bb.1439:
	s_and_b32 s15, s11, 3
	s_flbit_i32_b32 s17, s15
	s_min_u32 s17, s17, 32
	v_lshrrev_b16_e64 v0, 2, s11
	s_sub_i32 s18, s17, 29
	v_readfirstlane_b32 s16, v0
	s_lshl_b32 s18, s11, s18
	s_lshl_b32 s14, s11, 24
	s_and_b32 s16, s16, 31
	s_sub_i32 s17, 30, s17
	s_and_b32 s18, s18, 3
	s_cmp_eq_u32 s16, 0
	s_cselect_b32 s16, s17, s16
	s_cselect_b32 s15, s18, s15
	s_lshl_b32 s16, s16, 23
	s_and_b32 s14, s14, 0x80000000
	s_add_i32 s16, s16, 0x37800000
	s_lshl_b32 s15, s15, 21
	s_or_b32 s14, s14, s16
	s_or_b32 s14, s14, s15
	v_cvt_u32_f32_e32 v0, s14
.LBB126_1440:
	global_store_short v[4:5], v0, off
.LBB126_1441:
	s_mov_b64 s[14:15], 0
.LBB126_1442:
	s_andn2_b64 vcc, exec, s[14:15]
	s_cbranch_vccnz .LBB126_1462
; %bb.1443:
	v_mov_b32_e32 v0, 0x80
	v_cmp_lt_i16_sdwa s[14:15], s11, v0 src0_sel:BYTE_0 src1_sel:DWORD
	s_and_b64 vcc, exec, s[14:15]
	s_cbranch_vccnz .LBB126_1446
; %bb.1444:
	v_cmp_eq_u16_sdwa s[14:15], s11, v0 src0_sel:BYTE_0 src1_sel:DWORD
	s_and_b64 vcc, exec, s[14:15]
	s_cbranch_vccz .LBB126_1447
; %bb.1445:
	s_mov_b64 s[14:15], 0
	s_mov_b32 s18, 0x7f800001
	s_branch .LBB126_1448
.LBB126_1446:
	s_mov_b64 s[16:17], -1
	s_mov_b64 s[14:15], 0
                                        ; implicit-def: $sgpr18
	s_branch .LBB126_1449
.LBB126_1447:
	s_mov_b64 s[14:15], -1
                                        ; implicit-def: $sgpr18
.LBB126_1448:
	s_mov_b64 s[16:17], 0
.LBB126_1449:
	s_and_b64 vcc, exec, s[16:17]
	s_cbranch_vccz .LBB126_1452
; %bb.1450:
	v_mov_b32_e32 v0, 0
	s_mov_b32 s18, 0
	v_cmp_ne_u16_sdwa s[14:15], s11, v0 src0_sel:BYTE_0 src1_sel:DWORD
	s_andn2_b64 vcc, exec, s[14:15]
	s_cbranch_vccz .LBB126_1453
.LBB126_1451:
	s_and_b32 s14, s18, 0x7fffffff
	s_cmp_gt_u32 s14, 0x437fffff
	v_mov_b32_e32 v1, 0x80
	s_cbranch_scc0 .LBB126_1454
	s_branch .LBB126_1461
.LBB126_1452:
	s_andn2_b64 vcc, exec, s[14:15]
	s_cbranch_vccnz .LBB126_1451
.LBB126_1453:
	s_and_b32 s15, s11, 3
	s_flbit_i32_b32 s17, s15
	s_min_u32 s17, s17, 32
	v_lshrrev_b16_e64 v0, 2, s11
	s_sub_i32 s18, s17, 29
	v_readfirstlane_b32 s16, v0
	s_lshl_b32 s18, s11, s18
	s_lshl_b32 s14, s11, 24
	s_and_b32 s16, s16, 31
	s_sub_i32 s17, 30, s17
	s_and_b32 s18, s18, 3
	s_cmp_eq_u32 s16, 0
	s_cselect_b32 s16, s17, s16
	s_cselect_b32 s15, s18, s15
	s_lshl_b32 s16, s16, 23
	s_and_b32 s14, s14, 0x80000000
	s_add_i32 s16, s16, 0x37800000
	s_lshl_b32 s15, s15, 21
	s_or_b32 s14, s14, s16
	s_or_b32 s18, s14, s15
	s_and_b32 s14, s18, 0x7fffffff
	s_cmp_gt_u32 s14, 0x437fffff
	v_mov_b32_e32 v1, 0x80
	s_cbranch_scc1 .LBB126_1461
.LBB126_1454:
	s_cmp_gt_u32 s14, 0x3bffffff
	s_cbranch_scc0 .LBB126_1456
; %bb.1455:
	s_bfe_u32 s14, s18, 0x10014
	s_add_i32 s14, s18, s14
	s_add_i32 s14, s14, 0x487ffff
	s_lshr_b32 s19, s14, 20
	s_mov_b64 s[16:17], 0
	s_mov_b64 s[14:15], -1
	s_branch .LBB126_1457
.LBB126_1456:
	s_mov_b64 s[16:17], -1
	s_mov_b64 s[14:15], 0
                                        ; implicit-def: $sgpr19
.LBB126_1457:
	s_andn2_b64 vcc, exec, s[16:17]
	v_mov_b32_e32 v0, s19
                                        ; implicit-def: $sgpr16
	s_cbranch_vccnz .LBB126_1459
; %bb.1458:
	v_mov_b32_e32 v0, 0x46000000
	v_add_f32_e64 v0, |s18|, v0
	v_and_b32_e32 v0, 0xff, v0
	s_mov_b32 s16, 0
	v_cmp_ne_u32_e64 s[14:15], 0, v0
.LBB126_1459:
	s_andn2_b64 vcc, exec, s[14:15]
	v_mov_b32_e32 v1, s16
	s_cbranch_vccnz .LBB126_1461
; %bb.1460:
	s_lshr_b32 s14, s18, 24
	s_and_b32 s14, s14, 0x80
	v_or_b32_e32 v1, s14, v0
.LBB126_1461:
	global_store_byte v[4:5], v1, off
.LBB126_1462:
	s_mov_b64 s[14:15], -1
.LBB126_1463:
	s_mov_b64 s[16:17], 0
.LBB126_1464:
	s_and_b64 vcc, exec, s[16:17]
	s_cbranch_vccz .LBB126_1532
; %bb.1465:
	v_cmp_lt_i16_e32 vcc, 22, v12
	s_mov_b64 s[12:13], -1
	s_cbranch_vccz .LBB126_1515
; %bb.1466:
	v_cmp_gt_i16_e32 vcc, 24, v12
	s_cbranch_vccnz .LBB126_1492
; %bb.1467:
	v_cmp_lt_i16_e32 vcc, 24, v12
	s_cbranch_vccz .LBB126_1469
; %bb.1468:
	v_mov_b32_e32 v0, s11
	global_store_byte v[4:5], v0, off
	s_mov_b64 s[12:13], 0
.LBB126_1469:
	s_andn2_b64 vcc, exec, s[12:13]
	s_cbranch_vccnz .LBB126_1491
; %bb.1470:
	v_mov_b32_e32 v0, 0x80
	v_cmp_lt_i16_sdwa s[12:13], s11, v0 src0_sel:BYTE_0 src1_sel:DWORD
	s_and_b64 vcc, exec, s[12:13]
	s_cbranch_vccnz .LBB126_1473
; %bb.1471:
	v_cmp_eq_u16_sdwa s[12:13], s11, v0 src0_sel:BYTE_0 src1_sel:DWORD
	s_and_b64 vcc, exec, s[12:13]
	s_cbranch_vccz .LBB126_1474
; %bb.1472:
	s_mov_b64 s[12:13], 0
	s_mov_b32 s16, 0x7f800001
	s_branch .LBB126_1475
.LBB126_1473:
	s_mov_b64 s[14:15], -1
	s_mov_b64 s[12:13], 0
                                        ; implicit-def: $sgpr16
	s_branch .LBB126_1476
.LBB126_1474:
	s_mov_b64 s[12:13], -1
                                        ; implicit-def: $sgpr16
.LBB126_1475:
	s_mov_b64 s[14:15], 0
.LBB126_1476:
	s_and_b64 vcc, exec, s[14:15]
	s_cbranch_vccz .LBB126_1481
; %bb.1477:
	v_mov_b32_e32 v0, 0
	s_mov_b32 s16, 0
	v_cmp_ne_u16_sdwa s[12:13], s11, v0 src0_sel:BYTE_0 src1_sel:DWORD
	s_andn2_b64 vcc, exec, s[12:13]
	s_cbranch_vccz .LBB126_1482
.LBB126_1478:
	s_and_b32 s14, s16, 0x7fffffff
	s_cmp_lt_u32 s14, 0x43f00000
	s_cbranch_scc0 .LBB126_1483
.LBB126_1479:
	s_cmp_gt_u32 s14, 0x3c7fffff
	s_cbranch_scc0 .LBB126_1484
; %bb.1480:
	s_bfe_u32 s12, s16, 0x10014
	s_add_i32 s12, s16, s12
	s_add_i32 s12, s12, 0x407ffff
	s_lshr_b32 s13, s12, 20
	s_and_b32 s12, s12, 0xff00000
	s_cmp_lg_u32 s12, 0x7f00000
	s_cselect_b32 s15, s13, 0x7e
	s_mov_b64 s[12:13], 0
	s_branch .LBB126_1485
.LBB126_1481:
	s_andn2_b64 vcc, exec, s[12:13]
	s_cbranch_vccnz .LBB126_1478
.LBB126_1482:
	s_and_b32 s13, s11, 3
	s_flbit_i32_b32 s15, s13
	s_min_u32 s15, s15, 32
	v_lshrrev_b16_e64 v0, 2, s11
	s_sub_i32 s16, s15, 29
	v_readfirstlane_b32 s14, v0
	s_lshl_b32 s16, s11, s16
	s_lshl_b32 s12, s11, 24
	s_and_b32 s14, s14, 31
	s_sub_i32 s15, 30, s15
	s_and_b32 s16, s16, 3
	s_cmp_eq_u32 s14, 0
	s_cselect_b32 s14, s15, s14
	s_cselect_b32 s13, s16, s13
	s_lshl_b32 s14, s14, 23
	s_and_b32 s12, s12, 0x80000000
	s_add_i32 s14, s14, 0x37800000
	s_lshl_b32 s13, s13, 21
	s_or_b32 s12, s12, s14
	s_or_b32 s16, s12, s13
	s_and_b32 s14, s16, 0x7fffffff
	s_cmp_lt_u32 s14, 0x43f00000
	s_cbranch_scc1 .LBB126_1479
.LBB126_1483:
	s_mov_b64 s[12:13], -1
                                        ; implicit-def: $vgpr0
	s_branch .LBB126_1488
.LBB126_1484:
	s_mov_b64 s[12:13], -1
                                        ; implicit-def: $sgpr15
.LBB126_1485:
	s_andn2_b64 vcc, exec, s[12:13]
	v_mov_b32_e32 v0, s15
	s_cbranch_vccnz .LBB126_1487
; %bb.1486:
	v_mov_b32_e32 v0, 0x46800000
	v_add_f32_e64 v0, |s16|, v0
.LBB126_1487:
	s_mov_b64 s[12:13], 0
.LBB126_1488:
	s_andn2_b64 vcc, exec, s[12:13]
	s_cbranch_vccnz .LBB126_1490
; %bb.1489:
	s_cmp_gt_u32 s14, 0x7f800000
	s_movk_i32 s12, 0x7f
	s_cselect_b32 s12, s12, 0x7e
	v_mov_b32_e32 v0, s12
.LBB126_1490:
	s_lshr_b32 s12, s16, 24
	s_and_b32 s12, s12, 0x80
	v_or_b32_e32 v0, s12, v0
	global_store_byte v[4:5], v0, off
.LBB126_1491:
	s_mov_b64 s[12:13], 0
.LBB126_1492:
	s_andn2_b64 vcc, exec, s[12:13]
	s_cbranch_vccnz .LBB126_1514
; %bb.1493:
	v_mov_b32_e32 v0, 0x80
	v_cmp_lt_i16_sdwa s[12:13], s11, v0 src0_sel:BYTE_0 src1_sel:DWORD
	s_and_b64 vcc, exec, s[12:13]
	s_cbranch_vccnz .LBB126_1496
; %bb.1494:
	v_cmp_eq_u16_sdwa s[12:13], s11, v0 src0_sel:BYTE_0 src1_sel:DWORD
	s_and_b64 vcc, exec, s[12:13]
	s_cbranch_vccz .LBB126_1497
; %bb.1495:
	s_mov_b64 s[12:13], 0
	s_mov_b32 s16, 0x7f800001
	s_branch .LBB126_1498
.LBB126_1496:
	s_mov_b64 s[14:15], -1
	s_mov_b64 s[12:13], 0
                                        ; implicit-def: $sgpr16
	s_branch .LBB126_1499
.LBB126_1497:
	s_mov_b64 s[12:13], -1
                                        ; implicit-def: $sgpr16
.LBB126_1498:
	s_mov_b64 s[14:15], 0
.LBB126_1499:
	s_and_b64 vcc, exec, s[14:15]
	s_cbranch_vccz .LBB126_1504
; %bb.1500:
	v_mov_b32_e32 v0, 0
	s_mov_b32 s16, 0
	v_cmp_ne_u16_sdwa s[12:13], s11, v0 src0_sel:BYTE_0 src1_sel:DWORD
	s_andn2_b64 vcc, exec, s[12:13]
	s_cbranch_vccz .LBB126_1505
.LBB126_1501:
	s_and_b32 s14, s16, 0x7fffffff
	s_cmp_lt_u32 s14, 0x47800000
	s_cbranch_scc0 .LBB126_1506
.LBB126_1502:
	s_cmp_gt_u32 s14, 0x387fffff
	s_cbranch_scc0 .LBB126_1507
; %bb.1503:
	s_bfe_u32 s12, s16, 0x10015
	s_add_i32 s12, s16, s12
	s_add_i32 s12, s12, 0x80fffff
	s_lshr_b32 s15, s12, 21
	s_mov_b64 s[12:13], 0
	s_branch .LBB126_1508
.LBB126_1504:
	s_andn2_b64 vcc, exec, s[12:13]
	s_cbranch_vccnz .LBB126_1501
.LBB126_1505:
	s_and_b32 s13, s11, 3
	s_flbit_i32_b32 s15, s13
	s_min_u32 s15, s15, 32
	v_lshrrev_b16_e64 v0, 2, s11
	s_sub_i32 s16, s15, 29
	v_readfirstlane_b32 s14, v0
	s_lshl_b32 s16, s11, s16
	s_lshl_b32 s12, s11, 24
	s_and_b32 s14, s14, 31
	s_sub_i32 s15, 30, s15
	s_and_b32 s16, s16, 3
	s_cmp_eq_u32 s14, 0
	s_cselect_b32 s14, s15, s14
	s_cselect_b32 s13, s16, s13
	s_lshl_b32 s14, s14, 23
	s_and_b32 s12, s12, 0x80000000
	s_add_i32 s14, s14, 0x37800000
	s_lshl_b32 s13, s13, 21
	s_or_b32 s12, s12, s14
	s_or_b32 s16, s12, s13
	s_and_b32 s14, s16, 0x7fffffff
	s_cmp_lt_u32 s14, 0x47800000
	s_cbranch_scc1 .LBB126_1502
.LBB126_1506:
	s_mov_b64 s[12:13], -1
                                        ; implicit-def: $vgpr0
	s_branch .LBB126_1511
.LBB126_1507:
	s_mov_b64 s[12:13], -1
                                        ; implicit-def: $sgpr15
.LBB126_1508:
	s_andn2_b64 vcc, exec, s[12:13]
	v_mov_b32_e32 v0, s15
	s_cbranch_vccnz .LBB126_1510
; %bb.1509:
	v_mov_b32_e32 v0, 0x43000000
	v_add_f32_e64 v0, |s16|, v0
.LBB126_1510:
	s_mov_b64 s[12:13], 0
.LBB126_1511:
	s_andn2_b64 vcc, exec, s[12:13]
	s_cbranch_vccnz .LBB126_1513
; %bb.1512:
	s_cmp_gt_u32 s14, 0x7f800000
	s_movk_i32 s12, 0x7f
	s_cselect_b32 s12, s12, 0x7c
	v_mov_b32_e32 v0, s12
.LBB126_1513:
	s_lshr_b32 s12, s16, 24
	s_and_b32 s12, s12, 0x80
	v_or_b32_e32 v0, s12, v0
	global_store_byte v[4:5], v0, off
.LBB126_1514:
	s_mov_b64 s[12:13], 0
	s_mov_b64 s[14:15], -1
.LBB126_1515:
	s_andn2_b64 vcc, exec, s[12:13]
	s_mov_b64 s[12:13], 0
	s_cbranch_vccnz .LBB126_1532
; %bb.1516:
	v_cmp_lt_i16_e32 vcc, 14, v12
	s_mov_b64 s[16:17], -1
	s_cbranch_vccz .LBB126_1530
; %bb.1517:
	v_cmp_eq_u16_e32 vcc, 15, v12
	s_mov_b64 s[6:7], -1
	s_cbranch_vccz .LBB126_1529
; %bb.1518:
	v_mov_b32_e32 v0, 0x80
	v_cmp_lt_i16_sdwa s[6:7], s11, v0 src0_sel:BYTE_0 src1_sel:DWORD
	s_and_b64 vcc, exec, s[6:7]
	s_cbranch_vccnz .LBB126_1521
; %bb.1519:
	v_cmp_eq_u16_sdwa s[6:7], s11, v0 src0_sel:BYTE_0 src1_sel:DWORD
	s_and_b64 vcc, exec, s[6:7]
	s_cbranch_vccz .LBB126_1522
; %bb.1520:
	s_mov_b64 s[6:7], 0
	s_mov_b32 s14, 0x7f800001
	s_branch .LBB126_1524
.LBB126_1521:
	s_mov_b64 s[12:13], -1
	s_mov_b64 s[6:7], 0
	s_branch .LBB126_1523
.LBB126_1522:
	s_mov_b64 s[6:7], -1
.LBB126_1523:
                                        ; implicit-def: $sgpr14
.LBB126_1524:
	s_and_b64 vcc, exec, s[12:13]
	s_cbranch_vccz .LBB126_1526
; %bb.1525:
	v_mov_b32_e32 v0, 0
	s_mov_b32 s14, 0
	v_cmp_ne_u16_sdwa s[6:7], s11, v0 src0_sel:BYTE_0 src1_sel:DWORD
.LBB126_1526:
	s_andn2_b64 vcc, exec, s[6:7]
	s_cbranch_vccnz .LBB126_1528
; %bb.1527:
	s_and_b32 s7, s11, 3
	s_flbit_i32_b32 s13, s7
	s_min_u32 s13, s13, 32
	v_lshrrev_b16_e64 v0, 2, s11
	s_sub_i32 s14, s13, 29
	v_readfirstlane_b32 s12, v0
	s_lshl_b32 s14, s11, s14
	s_lshl_b32 s6, s11, 24
	s_and_b32 s12, s12, 31
	s_sub_i32 s13, 30, s13
	s_and_b32 s14, s14, 3
	s_cmp_eq_u32 s12, 0
	s_cselect_b32 s12, s13, s12
	s_cselect_b32 s7, s14, s7
	s_lshl_b32 s12, s12, 23
	s_and_b32 s6, s6, 0x80000000
	s_add_i32 s12, s12, 0x37800000
	s_lshl_b32 s7, s7, 21
	s_or_b32 s6, s6, s12
	s_or_b32 s14, s6, s7
.LBB126_1528:
	s_bfe_u32 s6, s14, 0x10010
	s_add_i32 s6, s14, s6
	s_addk_i32 s6, 0x7fff
	s_lshr_b32 s12, s6, 16
	v_cmp_o_f32_e64 s[6:7], s14, s14
	s_and_b64 s[6:7], s[6:7], exec
	s_cselect_b32 s6, s12, 0x7fc0
	v_mov_b32_e32 v0, s6
	global_store_short v[4:5], v0, off
	s_mov_b64 s[6:7], 0
	s_mov_b64 s[14:15], -1
.LBB126_1529:
	s_mov_b64 s[16:17], 0
.LBB126_1530:
	s_mov_b64 s[12:13], 0
	s_and_b64 vcc, exec, s[16:17]
	s_cbranch_vccz .LBB126_1532
; %bb.1531:
	v_cmp_ne_u16_e64 s[6:7], 11, v12
	s_mov_b64 s[12:13], -1
.LBB126_1532:
	s_and_b64 vcc, exec, s[6:7]
	s_mov_b64 s[6:7], s[2:3]
	s_cbranch_vccnz .LBB126_1544
; %bb.1533:
	s_andn2_b64 vcc, exec, s[12:13]
	s_cbranch_vccnz .LBB126_1545
.LBB126_1534:
	v_mov_b32_e32 v0, 0x80
	v_cmp_lt_i16_sdwa s[12:13], s11, v0 src0_sel:BYTE_0 src1_sel:DWORD
	s_and_b64 vcc, exec, s[12:13]
	s_cbranch_vccnz .LBB126_1537
; %bb.1535:
	v_cmp_eq_u16_sdwa s[12:13], s11, v0 src0_sel:BYTE_0 src1_sel:DWORD
	s_and_b64 vcc, exec, s[12:13]
	s_cbranch_vccz .LBB126_1538
; %bb.1536:
	s_mov_b64 s[14:15], 0
	s_mov_b64 s[12:13], -1
	s_branch .LBB126_1539
.LBB126_1537:
	s_mov_b64 s[14:15], 0
                                        ; implicit-def: $sgpr12_sgpr13
	s_cbranch_execnz .LBB126_1540
	s_branch .LBB126_1541
.LBB126_1538:
	s_mov_b64 s[14:15], -1
                                        ; implicit-def: $sgpr12_sgpr13
.LBB126_1539:
	s_branch .LBB126_1541
.LBB126_1540:
	v_mov_b32_e32 v0, 0
	v_cmp_ne_u16_sdwa s[14:15], s11, v0 src0_sel:BYTE_0 src1_sel:DWORD
	s_mov_b64 s[12:13], 0
.LBB126_1541:
	s_andn2_b64 vcc, exec, s[14:15]
	s_cbranch_vccnz .LBB126_1543
; %bb.1542:
	s_and_b32 s12, s11, 3
	s_flbit_i32_b32 s14, s12
	s_min_u32 s14, s14, 32
	v_lshrrev_b16_e64 v0, 2, s11
	s_sub_i32 s15, s14, 29
	v_readfirstlane_b32 s13, v0
	s_lshl_b32 s15, s11, s15
	s_and_b32 s13, s13, 31
	s_sub_i32 s14, 30, s14
	s_and_b32 s15, s15, 3
	s_cmp_eq_u32 s13, 0
	s_cselect_b32 s13, s14, s13
	s_cselect_b32 s12, s15, s12
	s_lshl_b32 s13, s13, 23
	s_add_i32 s13, s13, 0x37800000
	s_lshl_b32 s12, s12, 21
	s_and_b32 s13, s13, 0x7f800000
	s_or_b32 s12, s13, s12
	s_cmp_lg_u32 s12, 0
	s_cselect_b64 s[12:13], -1, 0
.LBB126_1543:
	v_cndmask_b32_e64 v0, 0, 1, s[12:13]
	global_store_byte v[4:5], v0, off
	s_mov_b64 s[14:15], -1
	s_branch .LBB126_1546
.LBB126_1544:
	s_or_b64 s[6:7], s[2:3], exec
	s_trap 2
	s_cbranch_execz .LBB126_1534
.LBB126_1545:
.LBB126_1546:
	s_andn2_b64 vcc, exec, s[14:15]
	s_cbranch_vccnz .LBB126_2168
.LBB126_1547:
	s_lshl_b32 s10, s10, 7
	v_add_u32_e32 v6, s10, v6
	v_ashrrev_i32_e32 v0, 31, v6
	v_mov_b32_e32 v1, s9
	v_add_co_u32_e32 v4, vcc, s8, v6
	v_addc_co_u32_e32 v5, vcc, v1, v0, vcc
	s_and_b64 vcc, exec, s[0:1]
	s_cbranch_vccnz .LBB126_1556
; %bb.1548:
	v_cmp_lt_i16_e32 vcc, 25, v12
	s_mov_b64 s[18:19], -1
	s_mov_b64 s[14:15], 0
	s_mov_b64 s[16:17], 0
	;; [unrolled: 1-line block ×3, first 2 shown]
	s_cbranch_vccz .LBB126_1768
; %bb.1549:
	v_cmp_lt_i16_e32 vcc, 28, v12
	s_cbranch_vccz .LBB126_1725
; %bb.1550:
	v_cmp_lt_i16_e32 vcc, 43, v12
	;; [unrolled: 3-line block ×3, first 2 shown]
	s_cbranch_vccz .LBB126_1698
; %bb.1552:
	v_cmp_eq_u16_e32 vcc, 46, v12
	s_mov_b64 s[12:13], -1
	s_mov_b64 s[18:19], 0
	s_cbranch_vccz .LBB126_1698
; %bb.1553:
	v_mov_b32_e32 v0, 0x80
	v_cmp_lt_i16_sdwa s[12:13], s11, v0 src0_sel:BYTE_0 src1_sel:DWORD
	s_and_b64 vcc, exec, s[12:13]
	s_cbranch_vccnz .LBB126_1565
; %bb.1554:
	v_cmp_eq_u16_sdwa s[12:13], s11, v0 src0_sel:BYTE_0 src1_sel:DWORD
	s_and_b64 vcc, exec, s[12:13]
	s_cbranch_vccz .LBB126_1691
; %bb.1555:
	s_mov_b64 s[12:13], 0
	s_mov_b32 s20, 0x7f800001
	s_branch .LBB126_1693
.LBB126_1556:
	s_mov_b64 s[16:17], 0
	s_cbranch_execz .LBB126_1851
; %bb.1557:
	v_cmp_gt_i16_e32 vcc, 5, v12
	s_mov_b64 s[12:13], -1
	s_cbranch_vccnz .LBB126_1639
; %bb.1558:
	v_cmp_gt_i16_e32 vcc, 8, v12
	s_cbranch_vccnz .LBB126_1599
; %bb.1559:
	v_cmp_gt_i16_e32 vcc, 9, v12
	s_cbranch_vccnz .LBB126_1586
; %bb.1560:
	v_cmp_lt_i16_e32 vcc, 9, v12
	s_cbranch_vccz .LBB126_1573
; %bb.1561:
	v_mov_b32_e32 v0, 0x80
	v_cmp_lt_i16_sdwa s[12:13], s11, v0 src0_sel:BYTE_0 src1_sel:DWORD
	s_and_b64 vcc, exec, s[12:13]
	s_cbranch_vccnz .LBB126_1564
; %bb.1562:
	v_cmp_eq_u16_sdwa s[12:13], s11, v0 src0_sel:BYTE_0 src1_sel:DWORD
	s_and_b64 vcc, exec, s[12:13]
	s_cbranch_vccz .LBB126_1566
; %bb.1563:
	s_mov_b64 s[12:13], 0
	s_mov_b32 s15, 0x7ff80000
	s_brev_b32 s14, 4
	s_branch .LBB126_1567
.LBB126_1564:
	s_mov_b64 s[16:17], -1
	s_mov_b64 s[12:13], 0
                                        ; implicit-def: $sgpr14_sgpr15
	s_branch .LBB126_1568
.LBB126_1565:
	s_mov_b64 s[16:17], -1
	s_mov_b64 s[12:13], 0
	s_branch .LBB126_1692
.LBB126_1566:
	s_mov_b64 s[12:13], -1
                                        ; implicit-def: $sgpr14_sgpr15
.LBB126_1567:
	s_mov_b64 s[16:17], 0
.LBB126_1568:
	s_and_b64 vcc, exec, s[16:17]
	s_cbranch_vccz .LBB126_1570
; %bb.1569:
	v_mov_b32_e32 v0, 0
	v_cmp_ne_u16_sdwa s[12:13], s11, v0 src0_sel:BYTE_0 src1_sel:DWORD
	s_mov_b64 s[14:15], 0
.LBB126_1570:
	s_andn2_b64 vcc, exec, s[12:13]
	v_pk_mov_b32 v[0:1], s[14:15], s[14:15] op_sel:[0,1]
	s_cbranch_vccnz .LBB126_1572
; %bb.1571:
	s_and_b32 s13, s11, 3
	s_flbit_i32_b32 s15, s13
	s_min_u32 s15, s15, 32
	v_lshrrev_b16_e64 v0, 2, s11
	s_sub_i32 s16, s15, 29
	v_readfirstlane_b32 s14, v0
	s_lshl_b32 s16, s11, s16
	s_lshl_b32 s12, s11, 24
	s_and_b32 s14, s14, 31
	s_sub_i32 s15, 30, s15
	s_and_b32 s16, s16, 3
	s_cmp_eq_u32 s14, 0
	s_cselect_b32 s14, s15, s14
	s_cselect_b32 s13, s16, s13
	s_lshl_b32 s14, s14, 23
	s_and_b32 s12, s12, 0x80000000
	s_add_i32 s14, s14, 0x37800000
	s_lshl_b32 s13, s13, 21
	s_or_b32 s12, s12, s14
	s_or_b32 s12, s12, s13
	v_cvt_f64_f32_e32 v[0:1], s12
.LBB126_1572:
	v_mov_b32_e32 v2, 0
	v_mov_b32_e32 v3, v2
	global_store_dwordx4 v[4:5], v[0:3], off
	s_mov_b64 s[12:13], 0
.LBB126_1573:
	s_and_b64 vcc, exec, s[12:13]
	s_cbranch_vccz .LBB126_1585
; %bb.1574:
	v_mov_b32_e32 v0, 0x80
	v_cmp_lt_i16_sdwa s[12:13], s11, v0 src0_sel:BYTE_0 src1_sel:DWORD
	s_and_b64 vcc, exec, s[12:13]
	s_cbranch_vccnz .LBB126_1577
; %bb.1575:
	v_cmp_eq_u16_sdwa s[12:13], s11, v0 src0_sel:BYTE_0 src1_sel:DWORD
	s_and_b64 vcc, exec, s[12:13]
	s_cbranch_vccz .LBB126_1578
; %bb.1576:
	s_mov_b64 s[12:13], 0
	s_mov_b32 s16, 0x7f800001
	s_branch .LBB126_1579
.LBB126_1577:
	s_mov_b64 s[14:15], -1
	s_mov_b64 s[12:13], 0
                                        ; implicit-def: $sgpr16
	s_branch .LBB126_1580
.LBB126_1578:
	s_mov_b64 s[12:13], -1
                                        ; implicit-def: $sgpr16
.LBB126_1579:
	s_mov_b64 s[14:15], 0
.LBB126_1580:
	s_and_b64 vcc, exec, s[14:15]
	v_mov_b32_e32 v0, s16
	s_cbranch_vccz .LBB126_1582
; %bb.1581:
	s_mov_b32 s12, 0xffff
	v_mov_b32_e32 v0, s11
	v_mov_b32_e32 v1, 0
	v_and_b32_sdwa v0, s12, v0 dst_sel:DWORD dst_unused:UNUSED_PAD src0_sel:DWORD src1_sel:BYTE_0
	v_cmp_ne_u16_sdwa s[12:13], s11, v1 src0_sel:BYTE_0 src1_sel:DWORD
.LBB126_1582:
	s_andn2_b64 vcc, exec, s[12:13]
	s_cbranch_vccnz .LBB126_1584
; %bb.1583:
	s_and_b32 s13, s11, 3
	s_flbit_i32_b32 s15, s13
	s_min_u32 s15, s15, 32
	v_lshrrev_b16_e64 v0, 2, s11
	s_sub_i32 s16, s15, 29
	v_readfirstlane_b32 s14, v0
	s_lshl_b32 s16, s11, s16
	s_lshl_b32 s12, s11, 24
	s_and_b32 s14, s14, 31
	s_sub_i32 s15, 30, s15
	s_and_b32 s16, s16, 3
	s_cmp_eq_u32 s14, 0
	s_cselect_b32 s14, s15, s14
	s_cselect_b32 s13, s16, s13
	s_lshl_b32 s14, s14, 23
	s_and_b32 s12, s12, 0x80000000
	s_add_i32 s14, s14, 0x37800000
	s_lshl_b32 s13, s13, 21
	s_or_b32 s12, s12, s14
	s_or_b32 s12, s12, s13
	v_mov_b32_e32 v0, s12
.LBB126_1584:
	v_mov_b32_e32 v1, 0
	global_store_dwordx2 v[4:5], v[0:1], off
.LBB126_1585:
	s_mov_b64 s[12:13], 0
.LBB126_1586:
	s_andn2_b64 vcc, exec, s[12:13]
	s_cbranch_vccnz .LBB126_1598
; %bb.1587:
	v_mov_b32_e32 v0, 0x80
	v_cmp_lt_i16_sdwa s[12:13], s11, v0 src0_sel:BYTE_0 src1_sel:DWORD
	s_and_b64 vcc, exec, s[12:13]
	s_cbranch_vccnz .LBB126_1590
; %bb.1588:
	v_cmp_eq_u16_sdwa s[12:13], s11, v0 src0_sel:BYTE_0 src1_sel:DWORD
	s_and_b64 vcc, exec, s[12:13]
	s_cbranch_vccz .LBB126_1591
; %bb.1589:
	s_mov_b64 s[12:13], 0
	s_movk_i32 s16, 0x7e00
	s_branch .LBB126_1592
.LBB126_1590:
	s_mov_b64 s[14:15], -1
	s_mov_b64 s[12:13], 0
                                        ; implicit-def: $sgpr16
	s_branch .LBB126_1593
.LBB126_1591:
	s_mov_b64 s[12:13], -1
                                        ; implicit-def: $sgpr16
.LBB126_1592:
	s_mov_b64 s[14:15], 0
.LBB126_1593:
	s_and_b64 vcc, exec, s[14:15]
	v_mov_b32_e32 v0, s16
	s_cbranch_vccz .LBB126_1595
; %bb.1594:
	s_mov_b32 s12, 0xffff
	v_mov_b32_e32 v0, s11
	v_mov_b32_e32 v1, 0
	v_and_b32_sdwa v0, s12, v0 dst_sel:DWORD dst_unused:UNUSED_PAD src0_sel:DWORD src1_sel:BYTE_0
	v_cmp_ne_u16_sdwa s[12:13], s11, v1 src0_sel:BYTE_0 src1_sel:DWORD
.LBB126_1595:
	s_andn2_b64 vcc, exec, s[12:13]
	s_cbranch_vccnz .LBB126_1597
; %bb.1596:
	s_and_b32 s13, s11, 3
	s_flbit_i32_b32 s15, s13
	s_min_u32 s15, s15, 32
	v_lshrrev_b16_e64 v0, 2, s11
	s_sub_i32 s16, s15, 29
	v_readfirstlane_b32 s14, v0
	s_lshl_b32 s16, s11, s16
	s_lshl_b32 s12, s11, 24
	s_and_b32 s14, s14, 31
	s_sub_i32 s15, 30, s15
	s_and_b32 s16, s16, 3
	s_cmp_eq_u32 s14, 0
	s_cselect_b32 s14, s15, s14
	s_cselect_b32 s13, s16, s13
	s_lshl_b32 s14, s14, 23
	s_and_b32 s12, s12, 0x80000000
	s_add_i32 s14, s14, 0x37800000
	s_lshl_b32 s13, s13, 21
	s_or_b32 s12, s12, s14
	s_or_b32 s12, s12, s13
	v_cvt_f16_f32_e32 v0, s12
.LBB126_1597:
	global_store_dword v[4:5], v0, off
.LBB126_1598:
	s_mov_b64 s[12:13], 0
.LBB126_1599:
	s_andn2_b64 vcc, exec, s[12:13]
	s_cbranch_vccnz .LBB126_1638
; %bb.1600:
	v_cmp_gt_i16_e32 vcc, 6, v12
	s_mov_b64 s[12:13], -1
	s_cbranch_vccnz .LBB126_1626
; %bb.1601:
	v_cmp_lt_i16_e32 vcc, 6, v12
	s_cbranch_vccz .LBB126_1613
; %bb.1602:
	v_mov_b32_e32 v0, 0x80
	v_cmp_lt_i16_sdwa s[12:13], s11, v0 src0_sel:BYTE_0 src1_sel:DWORD
	s_and_b64 vcc, exec, s[12:13]
	s_cbranch_vccnz .LBB126_1605
; %bb.1603:
	v_cmp_eq_u16_sdwa s[12:13], s11, v0 src0_sel:BYTE_0 src1_sel:DWORD
	s_and_b64 vcc, exec, s[12:13]
	s_cbranch_vccz .LBB126_1606
; %bb.1604:
	s_mov_b64 s[12:13], 0
	s_mov_b32 s15, 0x7ff80000
	s_brev_b32 s14, 4
	s_branch .LBB126_1607
.LBB126_1605:
	s_mov_b64 s[16:17], -1
	s_mov_b64 s[12:13], 0
                                        ; implicit-def: $sgpr14_sgpr15
	s_branch .LBB126_1608
.LBB126_1606:
	s_mov_b64 s[12:13], -1
                                        ; implicit-def: $sgpr14_sgpr15
.LBB126_1607:
	s_mov_b64 s[16:17], 0
.LBB126_1608:
	s_and_b64 vcc, exec, s[16:17]
	s_cbranch_vccz .LBB126_1610
; %bb.1609:
	v_mov_b32_e32 v0, 0
	v_cmp_ne_u16_sdwa s[12:13], s11, v0 src0_sel:BYTE_0 src1_sel:DWORD
	s_mov_b64 s[14:15], 0
.LBB126_1610:
	s_andn2_b64 vcc, exec, s[12:13]
	v_pk_mov_b32 v[0:1], s[14:15], s[14:15] op_sel:[0,1]
	s_cbranch_vccnz .LBB126_1612
; %bb.1611:
	s_and_b32 s13, s11, 3
	s_flbit_i32_b32 s15, s13
	s_min_u32 s15, s15, 32
	v_lshrrev_b16_e64 v0, 2, s11
	s_sub_i32 s16, s15, 29
	v_readfirstlane_b32 s14, v0
	s_lshl_b32 s16, s11, s16
	s_lshl_b32 s12, s11, 24
	s_and_b32 s14, s14, 31
	s_sub_i32 s15, 30, s15
	s_and_b32 s16, s16, 3
	s_cmp_eq_u32 s14, 0
	s_cselect_b32 s14, s15, s14
	s_cselect_b32 s13, s16, s13
	s_lshl_b32 s14, s14, 23
	s_and_b32 s12, s12, 0x80000000
	s_add_i32 s14, s14, 0x37800000
	s_lshl_b32 s13, s13, 21
	s_or_b32 s12, s12, s14
	s_or_b32 s12, s12, s13
	v_cvt_f64_f32_e32 v[0:1], s12
.LBB126_1612:
	global_store_dwordx2 v[4:5], v[0:1], off
	s_mov_b64 s[12:13], 0
.LBB126_1613:
	s_and_b64 vcc, exec, s[12:13]
	s_cbranch_vccz .LBB126_1625
; %bb.1614:
	v_mov_b32_e32 v0, 0x80
	v_cmp_lt_i16_sdwa s[12:13], s11, v0 src0_sel:BYTE_0 src1_sel:DWORD
	s_and_b64 vcc, exec, s[12:13]
	s_cbranch_vccnz .LBB126_1617
; %bb.1615:
	v_cmp_eq_u16_sdwa s[12:13], s11, v0 src0_sel:BYTE_0 src1_sel:DWORD
	s_and_b64 vcc, exec, s[12:13]
	s_cbranch_vccz .LBB126_1618
; %bb.1616:
	s_mov_b64 s[12:13], 0
	s_mov_b32 s16, 0x7f800001
	s_branch .LBB126_1619
.LBB126_1617:
	s_mov_b64 s[14:15], -1
	s_mov_b64 s[12:13], 0
                                        ; implicit-def: $sgpr16
	s_branch .LBB126_1620
.LBB126_1618:
	s_mov_b64 s[12:13], -1
                                        ; implicit-def: $sgpr16
.LBB126_1619:
	s_mov_b64 s[14:15], 0
.LBB126_1620:
	s_and_b64 vcc, exec, s[14:15]
	v_mov_b32_e32 v0, s16
	s_cbranch_vccz .LBB126_1622
; %bb.1621:
	s_mov_b32 s12, 0xffff
	v_mov_b32_e32 v0, s11
	v_mov_b32_e32 v1, 0
	v_and_b32_sdwa v0, s12, v0 dst_sel:DWORD dst_unused:UNUSED_PAD src0_sel:DWORD src1_sel:BYTE_0
	v_cmp_ne_u16_sdwa s[12:13], s11, v1 src0_sel:BYTE_0 src1_sel:DWORD
.LBB126_1622:
	s_andn2_b64 vcc, exec, s[12:13]
	s_cbranch_vccnz .LBB126_1624
; %bb.1623:
	s_and_b32 s13, s11, 3
	s_flbit_i32_b32 s15, s13
	s_min_u32 s15, s15, 32
	v_lshrrev_b16_e64 v0, 2, s11
	s_sub_i32 s16, s15, 29
	v_readfirstlane_b32 s14, v0
	s_lshl_b32 s16, s11, s16
	s_lshl_b32 s12, s11, 24
	s_and_b32 s14, s14, 31
	s_sub_i32 s15, 30, s15
	s_and_b32 s16, s16, 3
	s_cmp_eq_u32 s14, 0
	s_cselect_b32 s14, s15, s14
	s_cselect_b32 s13, s16, s13
	s_lshl_b32 s14, s14, 23
	s_and_b32 s12, s12, 0x80000000
	s_add_i32 s14, s14, 0x37800000
	s_lshl_b32 s13, s13, 21
	s_or_b32 s12, s12, s14
	s_or_b32 s12, s12, s13
	v_mov_b32_e32 v0, s12
.LBB126_1624:
	global_store_dword v[4:5], v0, off
.LBB126_1625:
	s_mov_b64 s[12:13], 0
.LBB126_1626:
	s_andn2_b64 vcc, exec, s[12:13]
	s_cbranch_vccnz .LBB126_1638
; %bb.1627:
	v_mov_b32_e32 v0, 0xff
	v_and_b32_e32 v0, s11, v0
	s_movk_i32 s12, 0x80
	v_cmp_gt_i16_e32 vcc, s12, v0
	s_cbranch_vccnz .LBB126_1630
; %bb.1628:
	v_cmp_eq_u16_e32 vcc, s12, v0
	s_cbranch_vccz .LBB126_1631
; %bb.1629:
	s_mov_b64 s[12:13], 0
	s_movk_i32 s16, 0x7e00
	s_branch .LBB126_1632
.LBB126_1630:
	s_mov_b64 s[14:15], -1
	s_mov_b64 s[12:13], 0
                                        ; implicit-def: $sgpr16
	s_branch .LBB126_1633
.LBB126_1631:
	s_mov_b64 s[12:13], -1
                                        ; implicit-def: $sgpr16
.LBB126_1632:
	s_mov_b64 s[14:15], 0
.LBB126_1633:
	s_and_b64 vcc, exec, s[14:15]
	v_mov_b32_e32 v1, s16
	s_cbranch_vccz .LBB126_1635
; %bb.1634:
	v_cmp_ne_u16_e64 s[12:13], 0, v0
	v_mov_b32_e32 v1, v0
.LBB126_1635:
	s_andn2_b64 vcc, exec, s[12:13]
	s_cbranch_vccnz .LBB126_1637
; %bb.1636:
	s_and_b32 s13, s11, 3
	s_flbit_i32_b32 s15, s13
	s_min_u32 s15, s15, 32
	v_lshrrev_b16_e64 v0, 2, s11
	s_sub_i32 s16, s15, 29
	v_readfirstlane_b32 s14, v0
	s_lshl_b32 s16, s11, s16
	s_lshl_b32 s12, s11, 24
	s_and_b32 s14, s14, 31
	s_sub_i32 s15, 30, s15
	s_and_b32 s16, s16, 3
	s_cmp_eq_u32 s14, 0
	s_cselect_b32 s14, s15, s14
	s_cselect_b32 s13, s16, s13
	s_lshl_b32 s14, s14, 23
	s_and_b32 s12, s12, 0x80000000
	s_add_i32 s14, s14, 0x37800000
	s_lshl_b32 s13, s13, 21
	s_or_b32 s12, s12, s14
	s_or_b32 s12, s12, s13
	v_cvt_f16_f32_e32 v1, s12
.LBB126_1637:
	global_store_short v[4:5], v1, off
.LBB126_1638:
	s_mov_b64 s[12:13], 0
.LBB126_1639:
	s_andn2_b64 vcc, exec, s[12:13]
	s_cbranch_vccnz .LBB126_1690
; %bb.1640:
	v_cmp_gt_i16_e32 vcc, 2, v12
	s_mov_b64 s[12:13], -1
	s_cbranch_vccnz .LBB126_1671
; %bb.1641:
	v_cmp_gt_i16_e32 vcc, 3, v12
	s_cbranch_vccnz .LBB126_1661
; %bb.1642:
	v_cmp_lt_i16_e32 vcc, 3, v12
	s_cbranch_vccz .LBB126_1651
; %bb.1643:
	v_mov_b32_e32 v0, 0x80
	v_cmp_lt_i16_sdwa s[12:13], s11, v0 src0_sel:BYTE_0 src1_sel:DWORD
	s_and_b64 vcc, exec, s[12:13]
	s_cbranch_vccnz .LBB126_1645
; %bb.1644:
	v_cmp_ne_u16_sdwa s[12:13], s11, v0 src0_sel:BYTE_0 src1_sel:DWORD
	s_mov_b64 s[16:17], 0
	s_mov_b64 s[14:15], 0
	s_branch .LBB126_1646
.LBB126_1645:
	s_mov_b64 s[16:17], -1
	s_mov_b64 s[12:13], 0
                                        ; implicit-def: $sgpr14_sgpr15
.LBB126_1646:
	s_andn2_b64 vcc, exec, s[16:17]
	s_cbranch_vccnz .LBB126_1648
; %bb.1647:
	v_mov_b32_e32 v0, 0
	v_cmp_ne_u16_sdwa s[12:13], s11, v0 src0_sel:BYTE_0 src1_sel:DWORD
	s_mov_b64 s[14:15], 0
.LBB126_1648:
	s_andn2_b64 vcc, exec, s[12:13]
	v_pk_mov_b32 v[0:1], s[14:15], s[14:15] op_sel:[0,1]
	s_cbranch_vccnz .LBB126_1650
; %bb.1649:
	s_and_b32 s13, s11, 3
	s_flbit_i32_b32 s15, s13
	s_min_u32 s15, s15, 32
	v_lshrrev_b16_e64 v0, 2, s11
	s_sub_i32 s16, s15, 29
	v_readfirstlane_b32 s14, v0
	s_lshl_b32 s16, s11, s16
	s_lshl_b32 s12, s11, 24
	s_and_b32 s14, s14, 31
	s_sub_i32 s15, 30, s15
	s_and_b32 s16, s16, 3
	s_cmp_eq_u32 s14, 0
	s_cselect_b32 s14, s15, s14
	s_cselect_b32 s13, s16, s13
	s_lshl_b32 s14, s14, 23
	s_and_b32 s12, s12, 0x80000000
	s_add_i32 s14, s14, 0x37800000
	s_lshl_b32 s13, s13, 21
	s_or_b32 s12, s12, s14
	s_or_b32 s12, s12, s13
	v_trunc_f32_e32 v0, s12
	s_mov_b32 s12, 0x2f800000
	v_mul_f32_e64 v1, |v0|, s12
	v_floor_f32_e32 v1, v1
	s_mov_b32 s12, 0xcf800000
	v_fma_f32 v2, v1, s12, |v0|
	v_cvt_u32_f32_e32 v2, v2
	v_cvt_u32_f32_e32 v1, v1
	v_ashrrev_i32_e32 v3, 31, v0
	v_xor_b32_e32 v0, v2, v3
	v_xor_b32_e32 v1, v1, v3
	v_sub_co_u32_e32 v0, vcc, v0, v3
	v_subb_co_u32_e32 v1, vcc, v1, v3, vcc
.LBB126_1650:
	global_store_dwordx2 v[4:5], v[0:1], off
	s_mov_b64 s[12:13], 0
.LBB126_1651:
	s_and_b64 vcc, exec, s[12:13]
	s_cbranch_vccz .LBB126_1660
; %bb.1652:
	v_mov_b32_e32 v0, 0x80
	v_cmp_lt_i16_sdwa s[12:13], s11, v0 src0_sel:BYTE_0 src1_sel:DWORD
	s_and_b64 vcc, exec, s[12:13]
	s_cbranch_vccnz .LBB126_1654
; %bb.1653:
	v_cmp_ne_u16_sdwa s[12:13], s11, v0 src0_sel:BYTE_0 src1_sel:DWORD
	s_mov_b64 s[14:15], 0
	s_mov_b32 s16, 0
	s_branch .LBB126_1655
.LBB126_1654:
	s_mov_b64 s[14:15], -1
	s_mov_b64 s[12:13], 0
                                        ; implicit-def: $sgpr16
.LBB126_1655:
	s_andn2_b64 vcc, exec, s[14:15]
	s_cbranch_vccnz .LBB126_1657
; %bb.1656:
	v_mov_b32_e32 v0, 0
	s_mov_b32 s16, 0
	v_cmp_ne_u16_sdwa s[12:13], s11, v0 src0_sel:BYTE_0 src1_sel:DWORD
.LBB126_1657:
	s_andn2_b64 vcc, exec, s[12:13]
	v_mov_b32_e32 v0, s16
	s_cbranch_vccnz .LBB126_1659
; %bb.1658:
	s_and_b32 s13, s11, 3
	s_flbit_i32_b32 s15, s13
	s_min_u32 s15, s15, 32
	v_lshrrev_b16_e64 v0, 2, s11
	s_sub_i32 s16, s15, 29
	v_readfirstlane_b32 s14, v0
	s_lshl_b32 s16, s11, s16
	s_lshl_b32 s12, s11, 24
	s_and_b32 s14, s14, 31
	s_sub_i32 s15, 30, s15
	s_and_b32 s16, s16, 3
	s_cmp_eq_u32 s14, 0
	s_cselect_b32 s14, s15, s14
	s_cselect_b32 s13, s16, s13
	s_lshl_b32 s14, s14, 23
	s_and_b32 s12, s12, 0x80000000
	s_add_i32 s14, s14, 0x37800000
	s_lshl_b32 s13, s13, 21
	s_or_b32 s12, s12, s14
	s_or_b32 s12, s12, s13
	v_cvt_i32_f32_e32 v0, s12
.LBB126_1659:
	global_store_dword v[4:5], v0, off
.LBB126_1660:
	s_mov_b64 s[12:13], 0
.LBB126_1661:
	s_andn2_b64 vcc, exec, s[12:13]
	s_cbranch_vccnz .LBB126_1670
; %bb.1662:
	v_mov_b32_e32 v0, 0x80
	v_cmp_lt_i16_sdwa s[12:13], s11, v0 src0_sel:BYTE_0 src1_sel:DWORD
	s_and_b64 vcc, exec, s[12:13]
	s_cbranch_vccnz .LBB126_1664
; %bb.1663:
	v_cmp_ne_u16_sdwa s[12:13], s11, v0 src0_sel:BYTE_0 src1_sel:DWORD
	s_mov_b64 s[14:15], 0
	s_mov_b32 s16, 0
	s_branch .LBB126_1665
.LBB126_1664:
	s_mov_b64 s[14:15], -1
	s_mov_b64 s[12:13], 0
                                        ; implicit-def: $sgpr16
.LBB126_1665:
	s_andn2_b64 vcc, exec, s[14:15]
	s_cbranch_vccnz .LBB126_1667
; %bb.1666:
	v_mov_b32_e32 v0, 0
	s_mov_b32 s16, 0
	v_cmp_ne_u16_sdwa s[12:13], s11, v0 src0_sel:BYTE_0 src1_sel:DWORD
.LBB126_1667:
	s_andn2_b64 vcc, exec, s[12:13]
	v_mov_b32_e32 v0, s16
	s_cbranch_vccnz .LBB126_1669
; %bb.1668:
	s_and_b32 s13, s11, 3
	s_flbit_i32_b32 s15, s13
	s_min_u32 s15, s15, 32
	v_lshrrev_b16_e64 v0, 2, s11
	s_sub_i32 s16, s15, 29
	v_readfirstlane_b32 s14, v0
	s_lshl_b32 s16, s11, s16
	s_lshl_b32 s12, s11, 24
	s_and_b32 s14, s14, 31
	s_sub_i32 s15, 30, s15
	s_and_b32 s16, s16, 3
	s_cmp_eq_u32 s14, 0
	s_cselect_b32 s14, s15, s14
	s_cselect_b32 s13, s16, s13
	s_lshl_b32 s14, s14, 23
	s_and_b32 s12, s12, 0x80000000
	s_add_i32 s14, s14, 0x37800000
	s_lshl_b32 s13, s13, 21
	s_or_b32 s12, s12, s14
	s_or_b32 s12, s12, s13
	v_cvt_i32_f32_e32 v0, s12
.LBB126_1669:
	global_store_short v[4:5], v0, off
.LBB126_1670:
	s_mov_b64 s[12:13], 0
.LBB126_1671:
	s_andn2_b64 vcc, exec, s[12:13]
	s_cbranch_vccnz .LBB126_1690
; %bb.1672:
	v_cmp_lt_i16_e32 vcc, 0, v12
	s_mov_b64 s[12:13], -1
	s_cbranch_vccz .LBB126_1681
; %bb.1673:
	v_mov_b32_e32 v0, 0x80
	v_cmp_lt_i16_sdwa s[12:13], s11, v0 src0_sel:BYTE_0 src1_sel:DWORD
	s_and_b64 vcc, exec, s[12:13]
	s_cbranch_vccnz .LBB126_1675
; %bb.1674:
	v_cmp_ne_u16_sdwa s[12:13], s11, v0 src0_sel:BYTE_0 src1_sel:DWORD
	s_mov_b64 s[14:15], 0
	s_mov_b32 s16, 0
	s_branch .LBB126_1676
.LBB126_1675:
	s_mov_b64 s[14:15], -1
	s_mov_b64 s[12:13], 0
                                        ; implicit-def: $sgpr16
.LBB126_1676:
	s_andn2_b64 vcc, exec, s[14:15]
	s_cbranch_vccnz .LBB126_1678
; %bb.1677:
	v_mov_b32_e32 v0, 0
	s_mov_b32 s16, 0
	v_cmp_ne_u16_sdwa s[12:13], s11, v0 src0_sel:BYTE_0 src1_sel:DWORD
.LBB126_1678:
	s_andn2_b64 vcc, exec, s[12:13]
	v_mov_b32_e32 v0, s16
	s_cbranch_vccnz .LBB126_1680
; %bb.1679:
	s_and_b32 s13, s11, 3
	s_flbit_i32_b32 s15, s13
	s_min_u32 s15, s15, 32
	v_lshrrev_b16_e64 v0, 2, s11
	s_sub_i32 s16, s15, 29
	v_readfirstlane_b32 s14, v0
	s_lshl_b32 s16, s11, s16
	s_lshl_b32 s12, s11, 24
	s_and_b32 s14, s14, 31
	s_sub_i32 s15, 30, s15
	s_and_b32 s16, s16, 3
	s_cmp_eq_u32 s14, 0
	s_cselect_b32 s14, s15, s14
	s_cselect_b32 s13, s16, s13
	s_lshl_b32 s14, s14, 23
	s_and_b32 s12, s12, 0x80000000
	s_add_i32 s14, s14, 0x37800000
	s_lshl_b32 s13, s13, 21
	s_or_b32 s12, s12, s14
	s_or_b32 s12, s12, s13
	v_cvt_i32_f32_e32 v0, s12
.LBB126_1680:
	global_store_byte v[4:5], v0, off
	s_mov_b64 s[12:13], 0
.LBB126_1681:
	s_and_b64 vcc, exec, s[12:13]
	s_cbranch_vccz .LBB126_1690
; %bb.1682:
	v_mov_b32_e32 v0, 0x80
	v_cmp_lt_i16_sdwa s[12:13], s11, v0 src0_sel:BYTE_0 src1_sel:DWORD
	s_and_b64 vcc, exec, s[12:13]
	s_cbranch_vccnz .LBB126_1684
; %bb.1683:
	v_cmp_ne_u16_sdwa s[12:13], s11, v0 src0_sel:BYTE_0 src1_sel:DWORD
	s_mov_b64 s[14:15], 0
	s_mov_b32 s16, 0
	s_branch .LBB126_1685
.LBB126_1684:
	s_mov_b64 s[14:15], -1
	s_mov_b64 s[12:13], 0
                                        ; implicit-def: $sgpr16
.LBB126_1685:
	s_andn2_b64 vcc, exec, s[14:15]
	s_cbranch_vccnz .LBB126_1687
; %bb.1686:
	v_mov_b32_e32 v0, 0
	s_mov_b32 s16, 0
	v_cmp_ne_u16_sdwa s[12:13], s11, v0 src0_sel:BYTE_0 src1_sel:DWORD
.LBB126_1687:
	s_andn2_b64 vcc, exec, s[12:13]
	v_mov_b32_e32 v0, s16
	s_cbranch_vccnz .LBB126_1689
; %bb.1688:
	s_and_b32 s13, s11, 3
	s_flbit_i32_b32 s15, s13
	s_min_u32 s15, s15, 32
	v_lshrrev_b16_e64 v0, 2, s11
	s_sub_i32 s16, s15, 29
	v_readfirstlane_b32 s14, v0
	s_lshl_b32 s16, s11, s16
	s_lshl_b32 s12, s11, 24
	s_and_b32 s14, s14, 31
	s_sub_i32 s15, 30, s15
	s_and_b32 s16, s16, 3
	s_cmp_eq_u32 s14, 0
	s_cselect_b32 s14, s15, s14
	s_cselect_b32 s13, s16, s13
	s_lshl_b32 s14, s14, 23
	s_and_b32 s12, s12, 0x80000000
	s_add_i32 s14, s14, 0x37800000
	s_lshl_b32 s13, s13, 21
	s_or_b32 s12, s12, s14
	s_or_b32 s12, s12, s13
	v_trunc_f32_e32 v0, s12
	s_mov_b32 s12, 0x2f800000
	v_mul_f32_e64 v1, |v0|, s12
	v_floor_f32_e32 v1, v1
	s_mov_b32 s12, 0xcf800000
	v_fma_f32 v1, v1, s12, |v0|
	v_cvt_u32_f32_e32 v1, v1
	v_ashrrev_i32_e32 v0, 31, v0
	v_xor_b32_e32 v1, v1, v0
	v_sub_u32_e32 v0, v1, v0
.LBB126_1689:
	global_store_byte v[4:5], v0, off
.LBB126_1690:
	s_branch .LBB126_1852
.LBB126_1691:
	s_mov_b64 s[12:13], -1
.LBB126_1692:
                                        ; implicit-def: $sgpr20
.LBB126_1693:
	s_and_b64 vcc, exec, s[16:17]
	s_cbranch_vccz .LBB126_1695
; %bb.1694:
	v_mov_b32_e32 v0, 0
	s_mov_b32 s20, 0
	v_cmp_ne_u16_sdwa s[12:13], s11, v0 src0_sel:BYTE_0 src1_sel:DWORD
.LBB126_1695:
	s_andn2_b64 vcc, exec, s[12:13]
	s_cbranch_vccnz .LBB126_1697
; %bb.1696:
	s_and_b32 s13, s11, 3
	s_flbit_i32_b32 s17, s13
	s_min_u32 s17, s17, 32
	v_lshrrev_b16_e64 v0, 2, s11
	s_sub_i32 s20, s17, 29
	v_readfirstlane_b32 s16, v0
	s_lshl_b32 s20, s11, s20
	s_lshl_b32 s12, s11, 24
	s_and_b32 s16, s16, 31
	s_sub_i32 s17, 30, s17
	s_and_b32 s20, s20, 3
	s_cmp_eq_u32 s16, 0
	s_cselect_b32 s16, s17, s16
	s_cselect_b32 s13, s20, s13
	s_lshl_b32 s16, s16, 23
	s_and_b32 s12, s12, 0x80000000
	s_add_i32 s16, s16, 0x37800000
	s_lshl_b32 s13, s13, 21
	s_or_b32 s12, s12, s16
	s_or_b32 s20, s12, s13
.LBB126_1697:
	s_bfe_u32 s12, s20, 0x10010
	s_add_i32 s12, s20, s12
	s_addk_i32 s12, 0x7fff
	s_lshr_b32 s16, s12, 16
	v_cmp_o_f32_e64 s[12:13], s20, s20
	s_and_b64 s[12:13], s[12:13], exec
	s_cselect_b32 s12, s16, 0x7fc0
	v_mov_b32_e32 v0, s12
	s_mov_b64 s[12:13], 0
	s_mov_b64 s[16:17], -1
	global_store_dword v[4:5], v0, off
.LBB126_1698:
	s_and_b64 vcc, exec, s[18:19]
	s_cbranch_vccz .LBB126_1711
; %bb.1699:
	v_cmp_eq_u16_e32 vcc, 44, v12
	s_mov_b64 s[12:13], -1
	s_cbranch_vccz .LBB126_1711
; %bb.1700:
	v_mov_b32_e32 v0, 0xff
	v_and_b32_e32 v0, s11, v0
	s_movk_i32 s12, 0x80
	v_cmp_gt_i16_e32 vcc, s12, v0
	v_readfirstlane_b32 s19, v0
	s_cbranch_vccnz .LBB126_1703
; %bb.1701:
	v_mov_b32_e32 v0, 0x80
	v_cmp_eq_u16_e32 vcc, s19, v0
	s_cbranch_vccz .LBB126_1704
; %bb.1702:
	s_mov_b64 s[12:13], 0
	s_mov_b32 s18, 0x7f800001
	s_branch .LBB126_1705
.LBB126_1703:
	s_mov_b64 s[16:17], -1
	s_mov_b64 s[12:13], 0
                                        ; implicit-def: $sgpr18
	s_branch .LBB126_1706
.LBB126_1704:
	s_mov_b64 s[12:13], -1
                                        ; implicit-def: $sgpr18
.LBB126_1705:
	s_mov_b64 s[16:17], 0
.LBB126_1706:
	s_and_b64 vcc, exec, s[16:17]
	s_cbranch_vccz .LBB126_1716
; %bb.1707:
	s_and_b32 s18, 0xffff, s19
	v_cmp_ne_u16_e64 s[12:13], s19, 0
	s_andn2_b64 vcc, exec, s[12:13]
	s_cbranch_vccz .LBB126_1717
.LBB126_1708:
	s_bfe_u32 s12, s18, 0x80017
	s_cmpk_eq_i32 s12, 0xff
	v_mov_b32_e32 v0, 0xff
	s_cbranch_scc1 .LBB126_1710
.LBB126_1709:
	s_lshr_b32 s19, s18, 23
	s_bitcmp1_b32 s18, 22
	s_cselect_b64 s[16:17], -1, 0
	s_and_b32 s13, s18, 0x3fffff
	s_or_b32 s12, s12, s13
	s_cmp_lg_u32 s12, 0
	s_cselect_b64 s[12:13], -1, 0
	s_and_b64 s[12:13], s[16:17], s[12:13]
	v_cndmask_b32_e64 v0, 0, 1, s[12:13]
	v_add_u32_e32 v0, s19, v0
.LBB126_1710:
	s_mov_b64 s[12:13], 0
	s_mov_b64 s[16:17], -1
	global_store_byte v[4:5], v0, off
.LBB126_1711:
	s_mov_b64 s[18:19], 0
.LBB126_1712:
	s_and_b64 vcc, exec, s[18:19]
	s_cbranch_vccz .LBB126_1724
; %bb.1713:
	v_cmp_eq_u16_e32 vcc, 29, v12
	s_mov_b64 s[12:13], -1
	s_cbranch_vccz .LBB126_1724
; %bb.1714:
	v_mov_b32_e32 v0, 0x80
	v_cmp_lt_i16_sdwa s[12:13], s11, v0 src0_sel:BYTE_0 src1_sel:DWORD
	s_and_b64 vcc, exec, s[12:13]
	s_cbranch_vccnz .LBB126_1718
; %bb.1715:
	v_cmp_ne_u16_sdwa s[12:13], s11, v0 src0_sel:BYTE_0 src1_sel:DWORD
	s_mov_b64 s[18:19], 0
	s_mov_b64 s[16:17], 0
	s_branch .LBB126_1719
.LBB126_1716:
	s_andn2_b64 vcc, exec, s[12:13]
	s_cbranch_vccnz .LBB126_1708
.LBB126_1717:
	s_and_b32 s12, s11, 3
	s_flbit_i32_b32 s16, s12
	s_min_u32 s16, s16, 32
	v_lshrrev_b16_e64 v0, 2, s11
	s_sub_i32 s17, s16, 29
	v_readfirstlane_b32 s13, v0
	s_lshl_b32 s17, s11, s17
	s_and_b32 s13, s13, 31
	s_sub_i32 s16, 30, s16
	s_and_b32 s17, s17, 3
	s_cmp_eq_u32 s13, 0
	s_cselect_b32 s13, s16, s13
	s_cselect_b32 s12, s17, s12
	s_lshl_b32 s12, s12, 21
	s_lshl_b32 s13, s13, 23
	s_or_b32 s12, s13, s12
	s_add_i32 s18, s12, 0x37800000
	s_bfe_u32 s12, s18, 0x80017
	s_cmpk_eq_i32 s12, 0xff
	v_mov_b32_e32 v0, 0xff
	s_cbranch_scc0 .LBB126_1709
	s_branch .LBB126_1710
.LBB126_1718:
	s_mov_b64 s[18:19], -1
	s_mov_b64 s[12:13], 0
                                        ; implicit-def: $sgpr16_sgpr17
.LBB126_1719:
	s_andn2_b64 vcc, exec, s[18:19]
	s_cbranch_vccnz .LBB126_1721
; %bb.1720:
	v_mov_b32_e32 v0, 0
	v_cmp_ne_u16_sdwa s[12:13], s11, v0 src0_sel:BYTE_0 src1_sel:DWORD
	s_mov_b64 s[16:17], 0
.LBB126_1721:
	s_andn2_b64 vcc, exec, s[12:13]
	v_pk_mov_b32 v[0:1], s[16:17], s[16:17] op_sel:[0,1]
	s_cbranch_vccnz .LBB126_1723
; %bb.1722:
	s_and_b32 s13, s11, 3
	s_flbit_i32_b32 s17, s13
	s_min_u32 s17, s17, 32
	v_lshrrev_b16_e64 v0, 2, s11
	s_sub_i32 s18, s17, 29
	v_readfirstlane_b32 s16, v0
	s_lshl_b32 s18, s11, s18
	s_lshl_b32 s12, s11, 24
	s_and_b32 s16, s16, 31
	s_sub_i32 s17, 30, s17
	s_and_b32 s18, s18, 3
	s_cmp_eq_u32 s16, 0
	s_cselect_b32 s16, s17, s16
	s_cselect_b32 s13, s18, s13
	s_lshl_b32 s16, s16, 23
	s_and_b32 s12, s12, 0x80000000
	s_add_i32 s16, s16, 0x37800000
	s_lshl_b32 s13, s13, 21
	s_or_b32 s12, s12, s16
	s_or_b32 s12, s12, s13
	v_trunc_f32_e32 v0, s12
	v_mul_f32_e32 v1, 0x2f800000, v0
	v_floor_f32_e32 v1, v1
	v_fmac_f32_e32 v0, 0xcf800000, v1
	v_cvt_u32_f32_e32 v0, v0
	v_cvt_u32_f32_e32 v1, v1
.LBB126_1723:
	global_store_dwordx2 v[4:5], v[0:1], off
	s_mov_b64 s[12:13], 0
	s_mov_b64 s[16:17], -1
.LBB126_1724:
	s_mov_b64 s[18:19], 0
.LBB126_1725:
	s_and_b64 vcc, exec, s[18:19]
	s_cbranch_vccz .LBB126_1767
; %bb.1726:
	v_cmp_gt_i16_e32 vcc, 27, v12
	s_mov_b64 s[16:17], -1
	s_cbranch_vccnz .LBB126_1746
; %bb.1727:
	v_cmp_lt_i16_e32 vcc, 27, v12
	s_cbranch_vccz .LBB126_1736
; %bb.1728:
	v_mov_b32_e32 v0, 0x80
	v_cmp_lt_i16_sdwa s[16:17], s11, v0 src0_sel:BYTE_0 src1_sel:DWORD
	s_and_b64 vcc, exec, s[16:17]
	s_cbranch_vccnz .LBB126_1730
; %bb.1729:
	v_cmp_ne_u16_sdwa s[16:17], s11, v0 src0_sel:BYTE_0 src1_sel:DWORD
	s_mov_b64 s[18:19], 0
	s_mov_b32 s20, 0
	s_branch .LBB126_1731
.LBB126_1730:
	s_mov_b64 s[18:19], -1
	s_mov_b64 s[16:17], 0
                                        ; implicit-def: $sgpr20
.LBB126_1731:
	s_andn2_b64 vcc, exec, s[18:19]
	s_cbranch_vccnz .LBB126_1733
; %bb.1732:
	v_mov_b32_e32 v0, 0
	s_mov_b32 s20, 0
	v_cmp_ne_u16_sdwa s[16:17], s11, v0 src0_sel:BYTE_0 src1_sel:DWORD
.LBB126_1733:
	s_andn2_b64 vcc, exec, s[16:17]
	v_mov_b32_e32 v0, s20
	s_cbranch_vccnz .LBB126_1735
; %bb.1734:
	s_and_b32 s17, s11, 3
	s_flbit_i32_b32 s19, s17
	s_min_u32 s19, s19, 32
	v_lshrrev_b16_e64 v0, 2, s11
	s_sub_i32 s20, s19, 29
	v_readfirstlane_b32 s18, v0
	s_lshl_b32 s20, s11, s20
	s_lshl_b32 s16, s11, 24
	s_and_b32 s18, s18, 31
	s_sub_i32 s19, 30, s19
	s_and_b32 s20, s20, 3
	s_cmp_eq_u32 s18, 0
	s_cselect_b32 s18, s19, s18
	s_cselect_b32 s17, s20, s17
	s_lshl_b32 s18, s18, 23
	s_and_b32 s16, s16, 0x80000000
	s_add_i32 s18, s18, 0x37800000
	s_lshl_b32 s17, s17, 21
	s_or_b32 s16, s16, s18
	s_or_b32 s16, s16, s17
	v_cvt_u32_f32_e32 v0, s16
.LBB126_1735:
	global_store_dword v[4:5], v0, off
	s_mov_b64 s[16:17], 0
.LBB126_1736:
	s_and_b64 vcc, exec, s[16:17]
	s_cbranch_vccz .LBB126_1745
; %bb.1737:
	v_mov_b32_e32 v0, 0x80
	v_cmp_lt_i16_sdwa s[16:17], s11, v0 src0_sel:BYTE_0 src1_sel:DWORD
	s_and_b64 vcc, exec, s[16:17]
	s_cbranch_vccnz .LBB126_1739
; %bb.1738:
	v_cmp_ne_u16_sdwa s[16:17], s11, v0 src0_sel:BYTE_0 src1_sel:DWORD
	s_mov_b64 s[18:19], 0
	s_mov_b32 s20, 0
	s_branch .LBB126_1740
.LBB126_1739:
	s_mov_b64 s[18:19], -1
	s_mov_b64 s[16:17], 0
                                        ; implicit-def: $sgpr20
.LBB126_1740:
	s_andn2_b64 vcc, exec, s[18:19]
	s_cbranch_vccnz .LBB126_1742
; %bb.1741:
	v_mov_b32_e32 v0, 0
	s_mov_b32 s20, 0
	v_cmp_ne_u16_sdwa s[16:17], s11, v0 src0_sel:BYTE_0 src1_sel:DWORD
.LBB126_1742:
	s_andn2_b64 vcc, exec, s[16:17]
	v_mov_b32_e32 v0, s20
	s_cbranch_vccnz .LBB126_1744
; %bb.1743:
	s_and_b32 s17, s11, 3
	s_flbit_i32_b32 s19, s17
	s_min_u32 s19, s19, 32
	v_lshrrev_b16_e64 v0, 2, s11
	s_sub_i32 s20, s19, 29
	v_readfirstlane_b32 s18, v0
	s_lshl_b32 s20, s11, s20
	s_lshl_b32 s16, s11, 24
	s_and_b32 s18, s18, 31
	s_sub_i32 s19, 30, s19
	s_and_b32 s20, s20, 3
	s_cmp_eq_u32 s18, 0
	s_cselect_b32 s18, s19, s18
	s_cselect_b32 s17, s20, s17
	s_lshl_b32 s18, s18, 23
	s_and_b32 s16, s16, 0x80000000
	s_add_i32 s18, s18, 0x37800000
	s_lshl_b32 s17, s17, 21
	s_or_b32 s16, s16, s18
	s_or_b32 s16, s16, s17
	v_cvt_u32_f32_e32 v0, s16
.LBB126_1744:
	global_store_short v[4:5], v0, off
.LBB126_1745:
	s_mov_b64 s[16:17], 0
.LBB126_1746:
	s_andn2_b64 vcc, exec, s[16:17]
	s_cbranch_vccnz .LBB126_1766
; %bb.1747:
	v_mov_b32_e32 v0, 0x80
	v_cmp_lt_i16_sdwa s[16:17], s11, v0 src0_sel:BYTE_0 src1_sel:DWORD
	s_and_b64 vcc, exec, s[16:17]
	s_cbranch_vccnz .LBB126_1750
; %bb.1748:
	v_cmp_eq_u16_sdwa s[16:17], s11, v0 src0_sel:BYTE_0 src1_sel:DWORD
	s_and_b64 vcc, exec, s[16:17]
	s_cbranch_vccz .LBB126_1751
; %bb.1749:
	s_mov_b64 s[16:17], 0
	s_mov_b32 s20, 0x7f800001
	s_branch .LBB126_1752
.LBB126_1750:
	s_mov_b64 s[18:19], -1
	s_mov_b64 s[16:17], 0
                                        ; implicit-def: $sgpr20
	s_branch .LBB126_1753
.LBB126_1751:
	s_mov_b64 s[16:17], -1
                                        ; implicit-def: $sgpr20
.LBB126_1752:
	s_mov_b64 s[18:19], 0
.LBB126_1753:
	s_and_b64 vcc, exec, s[18:19]
	s_cbranch_vccz .LBB126_1756
; %bb.1754:
	v_mov_b32_e32 v0, 0
	s_mov_b32 s20, 0
	v_cmp_ne_u16_sdwa s[16:17], s11, v0 src0_sel:BYTE_0 src1_sel:DWORD
	s_andn2_b64 vcc, exec, s[16:17]
	s_cbranch_vccz .LBB126_1757
.LBB126_1755:
	s_and_b32 s16, s20, 0x7fffffff
	s_cmp_gt_u32 s16, 0x437fffff
	v_mov_b32_e32 v1, 0x80
	s_cbranch_scc0 .LBB126_1758
	s_branch .LBB126_1765
.LBB126_1756:
	s_andn2_b64 vcc, exec, s[16:17]
	s_cbranch_vccnz .LBB126_1755
.LBB126_1757:
	s_and_b32 s17, s11, 3
	s_flbit_i32_b32 s19, s17
	s_min_u32 s19, s19, 32
	v_lshrrev_b16_e64 v0, 2, s11
	s_sub_i32 s20, s19, 29
	v_readfirstlane_b32 s18, v0
	s_lshl_b32 s20, s11, s20
	s_lshl_b32 s16, s11, 24
	s_and_b32 s18, s18, 31
	s_sub_i32 s19, 30, s19
	s_and_b32 s20, s20, 3
	s_cmp_eq_u32 s18, 0
	s_cselect_b32 s18, s19, s18
	s_cselect_b32 s17, s20, s17
	s_lshl_b32 s18, s18, 23
	s_and_b32 s16, s16, 0x80000000
	s_add_i32 s18, s18, 0x37800000
	s_lshl_b32 s17, s17, 21
	s_or_b32 s16, s16, s18
	s_or_b32 s20, s16, s17
	s_and_b32 s16, s20, 0x7fffffff
	s_cmp_gt_u32 s16, 0x437fffff
	v_mov_b32_e32 v1, 0x80
	s_cbranch_scc1 .LBB126_1765
.LBB126_1758:
	s_cmp_gt_u32 s16, 0x3bffffff
	s_cbranch_scc0 .LBB126_1760
; %bb.1759:
	s_bfe_u32 s16, s20, 0x10014
	s_add_i32 s16, s20, s16
	s_add_i32 s16, s16, 0x487ffff
	s_lshr_b32 s21, s16, 20
	s_mov_b64 s[18:19], 0
	s_mov_b64 s[16:17], -1
	s_branch .LBB126_1761
.LBB126_1760:
	s_mov_b64 s[18:19], -1
	s_mov_b64 s[16:17], 0
                                        ; implicit-def: $sgpr21
.LBB126_1761:
	s_andn2_b64 vcc, exec, s[18:19]
	v_mov_b32_e32 v0, s21
                                        ; implicit-def: $sgpr18
	s_cbranch_vccnz .LBB126_1763
; %bb.1762:
	v_mov_b32_e32 v0, 0x46000000
	v_add_f32_e64 v0, |s20|, v0
	v_and_b32_e32 v0, 0xff, v0
	s_mov_b32 s18, 0
	v_cmp_ne_u32_e64 s[16:17], 0, v0
.LBB126_1763:
	s_andn2_b64 vcc, exec, s[16:17]
	v_mov_b32_e32 v1, s18
	s_cbranch_vccnz .LBB126_1765
; %bb.1764:
	s_lshr_b32 s16, s20, 24
	s_and_b32 s16, s16, 0x80
	v_or_b32_e32 v1, s16, v0
.LBB126_1765:
	global_store_byte v[4:5], v1, off
.LBB126_1766:
	s_mov_b64 s[16:17], -1
.LBB126_1767:
	s_mov_b64 s[18:19], 0
.LBB126_1768:
	s_and_b64 vcc, exec, s[18:19]
	s_cbranch_vccz .LBB126_1836
; %bb.1769:
	v_cmp_lt_i16_e32 vcc, 22, v12
	s_mov_b64 s[14:15], -1
	s_cbranch_vccz .LBB126_1819
; %bb.1770:
	v_cmp_gt_i16_e32 vcc, 24, v12
	s_cbranch_vccnz .LBB126_1796
; %bb.1771:
	v_cmp_lt_i16_e32 vcc, 24, v12
	s_cbranch_vccz .LBB126_1773
; %bb.1772:
	v_mov_b32_e32 v0, s11
	global_store_byte v[4:5], v0, off
	s_mov_b64 s[14:15], 0
.LBB126_1773:
	s_andn2_b64 vcc, exec, s[14:15]
	s_cbranch_vccnz .LBB126_1795
; %bb.1774:
	v_mov_b32_e32 v0, 0x80
	v_cmp_lt_i16_sdwa s[14:15], s11, v0 src0_sel:BYTE_0 src1_sel:DWORD
	s_and_b64 vcc, exec, s[14:15]
	s_cbranch_vccnz .LBB126_1777
; %bb.1775:
	v_cmp_eq_u16_sdwa s[14:15], s11, v0 src0_sel:BYTE_0 src1_sel:DWORD
	s_and_b64 vcc, exec, s[14:15]
	s_cbranch_vccz .LBB126_1778
; %bb.1776:
	s_mov_b64 s[14:15], 0
	s_mov_b32 s18, 0x7f800001
	s_branch .LBB126_1779
.LBB126_1777:
	s_mov_b64 s[16:17], -1
	s_mov_b64 s[14:15], 0
                                        ; implicit-def: $sgpr18
	s_branch .LBB126_1780
.LBB126_1778:
	s_mov_b64 s[14:15], -1
                                        ; implicit-def: $sgpr18
.LBB126_1779:
	s_mov_b64 s[16:17], 0
.LBB126_1780:
	s_and_b64 vcc, exec, s[16:17]
	s_cbranch_vccz .LBB126_1785
; %bb.1781:
	v_mov_b32_e32 v0, 0
	s_mov_b32 s18, 0
	v_cmp_ne_u16_sdwa s[14:15], s11, v0 src0_sel:BYTE_0 src1_sel:DWORD
	s_andn2_b64 vcc, exec, s[14:15]
	s_cbranch_vccz .LBB126_1786
.LBB126_1782:
	s_and_b32 s16, s18, 0x7fffffff
	s_cmp_lt_u32 s16, 0x43f00000
	s_cbranch_scc0 .LBB126_1787
.LBB126_1783:
	s_cmp_gt_u32 s16, 0x3c7fffff
	s_cbranch_scc0 .LBB126_1788
; %bb.1784:
	s_bfe_u32 s14, s18, 0x10014
	s_add_i32 s14, s18, s14
	s_add_i32 s14, s14, 0x407ffff
	s_lshr_b32 s15, s14, 20
	s_and_b32 s14, s14, 0xff00000
	s_cmp_lg_u32 s14, 0x7f00000
	s_cselect_b32 s17, s15, 0x7e
	s_mov_b64 s[14:15], 0
	s_branch .LBB126_1789
.LBB126_1785:
	s_andn2_b64 vcc, exec, s[14:15]
	s_cbranch_vccnz .LBB126_1782
.LBB126_1786:
	s_and_b32 s15, s11, 3
	s_flbit_i32_b32 s17, s15
	s_min_u32 s17, s17, 32
	v_lshrrev_b16_e64 v0, 2, s11
	s_sub_i32 s18, s17, 29
	v_readfirstlane_b32 s16, v0
	s_lshl_b32 s18, s11, s18
	s_lshl_b32 s14, s11, 24
	s_and_b32 s16, s16, 31
	s_sub_i32 s17, 30, s17
	s_and_b32 s18, s18, 3
	s_cmp_eq_u32 s16, 0
	s_cselect_b32 s16, s17, s16
	s_cselect_b32 s15, s18, s15
	s_lshl_b32 s16, s16, 23
	s_and_b32 s14, s14, 0x80000000
	s_add_i32 s16, s16, 0x37800000
	s_lshl_b32 s15, s15, 21
	s_or_b32 s14, s14, s16
	s_or_b32 s18, s14, s15
	s_and_b32 s16, s18, 0x7fffffff
	s_cmp_lt_u32 s16, 0x43f00000
	s_cbranch_scc1 .LBB126_1783
.LBB126_1787:
	s_mov_b64 s[14:15], -1
                                        ; implicit-def: $vgpr0
	s_branch .LBB126_1792
.LBB126_1788:
	s_mov_b64 s[14:15], -1
                                        ; implicit-def: $sgpr17
.LBB126_1789:
	s_andn2_b64 vcc, exec, s[14:15]
	v_mov_b32_e32 v0, s17
	s_cbranch_vccnz .LBB126_1791
; %bb.1790:
	v_mov_b32_e32 v0, 0x46800000
	v_add_f32_e64 v0, |s18|, v0
.LBB126_1791:
	s_mov_b64 s[14:15], 0
.LBB126_1792:
	s_andn2_b64 vcc, exec, s[14:15]
	s_cbranch_vccnz .LBB126_1794
; %bb.1793:
	s_cmp_gt_u32 s16, 0x7f800000
	s_movk_i32 s14, 0x7f
	s_cselect_b32 s14, s14, 0x7e
	v_mov_b32_e32 v0, s14
.LBB126_1794:
	s_lshr_b32 s14, s18, 24
	s_and_b32 s14, s14, 0x80
	v_or_b32_e32 v0, s14, v0
	global_store_byte v[4:5], v0, off
.LBB126_1795:
	s_mov_b64 s[14:15], 0
.LBB126_1796:
	s_andn2_b64 vcc, exec, s[14:15]
	s_cbranch_vccnz .LBB126_1818
; %bb.1797:
	v_mov_b32_e32 v0, 0x80
	v_cmp_lt_i16_sdwa s[14:15], s11, v0 src0_sel:BYTE_0 src1_sel:DWORD
	s_and_b64 vcc, exec, s[14:15]
	s_cbranch_vccnz .LBB126_1800
; %bb.1798:
	v_cmp_eq_u16_sdwa s[14:15], s11, v0 src0_sel:BYTE_0 src1_sel:DWORD
	s_and_b64 vcc, exec, s[14:15]
	s_cbranch_vccz .LBB126_1801
; %bb.1799:
	s_mov_b64 s[14:15], 0
	s_mov_b32 s18, 0x7f800001
	s_branch .LBB126_1802
.LBB126_1800:
	s_mov_b64 s[16:17], -1
	s_mov_b64 s[14:15], 0
                                        ; implicit-def: $sgpr18
	s_branch .LBB126_1803
.LBB126_1801:
	s_mov_b64 s[14:15], -1
                                        ; implicit-def: $sgpr18
.LBB126_1802:
	s_mov_b64 s[16:17], 0
.LBB126_1803:
	s_and_b64 vcc, exec, s[16:17]
	s_cbranch_vccz .LBB126_1808
; %bb.1804:
	v_mov_b32_e32 v0, 0
	s_mov_b32 s18, 0
	v_cmp_ne_u16_sdwa s[14:15], s11, v0 src0_sel:BYTE_0 src1_sel:DWORD
	s_andn2_b64 vcc, exec, s[14:15]
	s_cbranch_vccz .LBB126_1809
.LBB126_1805:
	s_and_b32 s16, s18, 0x7fffffff
	s_cmp_lt_u32 s16, 0x47800000
	s_cbranch_scc0 .LBB126_1810
.LBB126_1806:
	s_cmp_gt_u32 s16, 0x387fffff
	s_cbranch_scc0 .LBB126_1811
; %bb.1807:
	s_bfe_u32 s14, s18, 0x10015
	s_add_i32 s14, s18, s14
	s_add_i32 s14, s14, 0x80fffff
	s_lshr_b32 s17, s14, 21
	s_mov_b64 s[14:15], 0
	s_branch .LBB126_1812
.LBB126_1808:
	s_andn2_b64 vcc, exec, s[14:15]
	s_cbranch_vccnz .LBB126_1805
.LBB126_1809:
	s_and_b32 s15, s11, 3
	s_flbit_i32_b32 s17, s15
	s_min_u32 s17, s17, 32
	v_lshrrev_b16_e64 v0, 2, s11
	s_sub_i32 s18, s17, 29
	v_readfirstlane_b32 s16, v0
	s_lshl_b32 s18, s11, s18
	s_lshl_b32 s14, s11, 24
	s_and_b32 s16, s16, 31
	s_sub_i32 s17, 30, s17
	s_and_b32 s18, s18, 3
	s_cmp_eq_u32 s16, 0
	s_cselect_b32 s16, s17, s16
	s_cselect_b32 s15, s18, s15
	s_lshl_b32 s16, s16, 23
	s_and_b32 s14, s14, 0x80000000
	s_add_i32 s16, s16, 0x37800000
	s_lshl_b32 s15, s15, 21
	s_or_b32 s14, s14, s16
	s_or_b32 s18, s14, s15
	s_and_b32 s16, s18, 0x7fffffff
	s_cmp_lt_u32 s16, 0x47800000
	s_cbranch_scc1 .LBB126_1806
.LBB126_1810:
	s_mov_b64 s[14:15], -1
                                        ; implicit-def: $vgpr0
	s_branch .LBB126_1815
.LBB126_1811:
	s_mov_b64 s[14:15], -1
                                        ; implicit-def: $sgpr17
.LBB126_1812:
	s_andn2_b64 vcc, exec, s[14:15]
	v_mov_b32_e32 v0, s17
	s_cbranch_vccnz .LBB126_1814
; %bb.1813:
	v_mov_b32_e32 v0, 0x43000000
	v_add_f32_e64 v0, |s18|, v0
.LBB126_1814:
	s_mov_b64 s[14:15], 0
.LBB126_1815:
	s_andn2_b64 vcc, exec, s[14:15]
	s_cbranch_vccnz .LBB126_1817
; %bb.1816:
	s_cmp_gt_u32 s16, 0x7f800000
	s_movk_i32 s14, 0x7f
	s_cselect_b32 s14, s14, 0x7c
	v_mov_b32_e32 v0, s14
.LBB126_1817:
	s_lshr_b32 s14, s18, 24
	s_and_b32 s14, s14, 0x80
	v_or_b32_e32 v0, s14, v0
	global_store_byte v[4:5], v0, off
.LBB126_1818:
	s_mov_b64 s[14:15], 0
	s_mov_b64 s[16:17], -1
.LBB126_1819:
	s_andn2_b64 vcc, exec, s[14:15]
	s_mov_b64 s[14:15], 0
	s_cbranch_vccnz .LBB126_1836
; %bb.1820:
	v_cmp_lt_i16_e32 vcc, 14, v12
	s_mov_b64 s[18:19], -1
	s_cbranch_vccz .LBB126_1834
; %bb.1821:
	v_cmp_eq_u16_e32 vcc, 15, v12
	s_mov_b64 s[12:13], -1
	s_cbranch_vccz .LBB126_1833
; %bb.1822:
	v_mov_b32_e32 v0, 0x80
	v_cmp_lt_i16_sdwa s[12:13], s11, v0 src0_sel:BYTE_0 src1_sel:DWORD
	s_and_b64 vcc, exec, s[12:13]
	s_cbranch_vccnz .LBB126_1825
; %bb.1823:
	v_cmp_eq_u16_sdwa s[12:13], s11, v0 src0_sel:BYTE_0 src1_sel:DWORD
	s_and_b64 vcc, exec, s[12:13]
	s_cbranch_vccz .LBB126_1826
; %bb.1824:
	s_mov_b64 s[12:13], 0
	s_mov_b32 s16, 0x7f800001
	s_branch .LBB126_1828
.LBB126_1825:
	s_mov_b64 s[14:15], -1
	s_mov_b64 s[12:13], 0
	s_branch .LBB126_1827
.LBB126_1826:
	s_mov_b64 s[12:13], -1
.LBB126_1827:
                                        ; implicit-def: $sgpr16
.LBB126_1828:
	s_and_b64 vcc, exec, s[14:15]
	s_cbranch_vccz .LBB126_1830
; %bb.1829:
	v_mov_b32_e32 v0, 0
	s_mov_b32 s16, 0
	v_cmp_ne_u16_sdwa s[12:13], s11, v0 src0_sel:BYTE_0 src1_sel:DWORD
.LBB126_1830:
	s_andn2_b64 vcc, exec, s[12:13]
	s_cbranch_vccnz .LBB126_1832
; %bb.1831:
	s_and_b32 s13, s11, 3
	s_flbit_i32_b32 s15, s13
	s_min_u32 s15, s15, 32
	v_lshrrev_b16_e64 v0, 2, s11
	s_sub_i32 s16, s15, 29
	v_readfirstlane_b32 s14, v0
	s_lshl_b32 s16, s11, s16
	s_lshl_b32 s12, s11, 24
	s_and_b32 s14, s14, 31
	s_sub_i32 s15, 30, s15
	s_and_b32 s16, s16, 3
	s_cmp_eq_u32 s14, 0
	s_cselect_b32 s14, s15, s14
	s_cselect_b32 s13, s16, s13
	s_lshl_b32 s14, s14, 23
	s_and_b32 s12, s12, 0x80000000
	s_add_i32 s14, s14, 0x37800000
	s_lshl_b32 s13, s13, 21
	s_or_b32 s12, s12, s14
	s_or_b32 s16, s12, s13
.LBB126_1832:
	s_bfe_u32 s12, s16, 0x10010
	s_add_i32 s12, s16, s12
	s_addk_i32 s12, 0x7fff
	s_lshr_b32 s14, s12, 16
	v_cmp_o_f32_e64 s[12:13], s16, s16
	s_and_b64 s[12:13], s[12:13], exec
	s_cselect_b32 s12, s14, 0x7fc0
	v_mov_b32_e32 v0, s12
	global_store_short v[4:5], v0, off
	s_mov_b64 s[12:13], 0
	s_mov_b64 s[16:17], -1
.LBB126_1833:
	s_mov_b64 s[18:19], 0
.LBB126_1834:
	s_mov_b64 s[14:15], 0
	s_and_b64 vcc, exec, s[18:19]
	s_cbranch_vccz .LBB126_1836
; %bb.1835:
	v_cmp_ne_u16_e64 s[12:13], 11, v12
	s_mov_b64 s[14:15], -1
.LBB126_1836:
	s_and_b64 vcc, exec, s[12:13]
	s_cbranch_vccnz .LBB126_1849
; %bb.1837:
	s_andn2_b64 vcc, exec, s[14:15]
	s_cbranch_vccnz .LBB126_1850
.LBB126_1838:
	v_mov_b32_e32 v0, 0x80
	v_cmp_lt_i16_sdwa s[12:13], s11, v0 src0_sel:BYTE_0 src1_sel:DWORD
	s_and_b64 vcc, exec, s[12:13]
	s_cbranch_vccnz .LBB126_1841
; %bb.1839:
	v_cmp_eq_u16_sdwa s[12:13], s11, v0 src0_sel:BYTE_0 src1_sel:DWORD
	s_and_b64 vcc, exec, s[12:13]
	s_cbranch_vccz .LBB126_1842
; %bb.1840:
	s_mov_b64 s[14:15], 0
	s_mov_b64 s[12:13], -1
	s_branch .LBB126_1843
.LBB126_1841:
	s_mov_b64 s[16:17], -1
	s_mov_b64 s[14:15], 0
                                        ; implicit-def: $sgpr12_sgpr13
	s_branch .LBB126_1844
.LBB126_1842:
	s_mov_b64 s[14:15], -1
                                        ; implicit-def: $sgpr12_sgpr13
.LBB126_1843:
	s_mov_b64 s[16:17], 0
.LBB126_1844:
	s_and_b64 vcc, exec, s[16:17]
	s_cbranch_vccz .LBB126_1846
; %bb.1845:
	v_mov_b32_e32 v0, 0
	v_cmp_ne_u16_sdwa s[14:15], s11, v0 src0_sel:BYTE_0 src1_sel:DWORD
	s_mov_b64 s[12:13], 0
.LBB126_1846:
	s_andn2_b64 vcc, exec, s[14:15]
	s_cbranch_vccnz .LBB126_1848
; %bb.1847:
	s_and_b32 s12, s11, 3
	s_flbit_i32_b32 s14, s12
	s_min_u32 s14, s14, 32
	v_lshrrev_b16_e64 v0, 2, s11
	s_sub_i32 s15, s14, 29
	v_readfirstlane_b32 s13, v0
	s_lshl_b32 s15, s11, s15
	s_and_b32 s13, s13, 31
	s_sub_i32 s14, 30, s14
	s_and_b32 s15, s15, 3
	s_cmp_eq_u32 s13, 0
	s_cselect_b32 s13, s14, s13
	s_cselect_b32 s12, s15, s12
	s_lshl_b32 s13, s13, 23
	s_add_i32 s13, s13, 0x37800000
	s_lshl_b32 s12, s12, 21
	s_and_b32 s13, s13, 0x7f800000
	s_or_b32 s12, s13, s12
	s_cmp_lg_u32 s12, 0
	s_cselect_b64 s[12:13], -1, 0
.LBB126_1848:
	v_cndmask_b32_e64 v0, 0, 1, s[12:13]
	global_store_byte v[4:5], v0, off
	s_mov_b64 s[16:17], -1
	s_branch .LBB126_1851
.LBB126_1849:
	s_trap 2
	s_or_b64 s[6:7], s[6:7], exec
	s_cbranch_execz .LBB126_1838
.LBB126_1850:
.LBB126_1851:
	s_andn2_b64 vcc, exec, s[16:17]
	s_cbranch_vccnz .LBB126_2168
.LBB126_1852:
	v_add_u32_e32 v6, s10, v6
	v_ashrrev_i32_e32 v0, 31, v6
	v_mov_b32_e32 v1, s9
	v_add_co_u32_e32 v4, vcc, s8, v6
	v_addc_co_u32_e32 v5, vcc, v1, v0, vcc
	s_and_b64 vcc, exec, s[0:1]
	s_cbranch_vccnz .LBB126_1861
; %bb.1853:
	v_cmp_lt_i16_e32 vcc, 25, v12
	s_mov_b64 s[18:19], -1
	s_mov_b64 s[14:15], 0
	s_mov_b64 s[16:17], 0
	;; [unrolled: 1-line block ×3, first 2 shown]
	s_cbranch_vccz .LBB126_1952
; %bb.1854:
	v_cmp_lt_i16_e32 vcc, 28, v12
	s_cbranch_vccz .LBB126_1909
; %bb.1855:
	v_cmp_lt_i16_e32 vcc, 43, v12
	;; [unrolled: 3-line block ×3, first 2 shown]
	s_cbranch_vccz .LBB126_1881
; %bb.1857:
	v_cmp_eq_u16_e32 vcc, 46, v12
	s_mov_b64 s[12:13], -1
	s_mov_b64 s[18:19], 0
	s_cbranch_vccz .LBB126_1881
; %bb.1858:
	v_mov_b32_e32 v0, 0x80
	v_cmp_lt_i16_sdwa s[12:13], s11, v0 src0_sel:BYTE_0 src1_sel:DWORD
	s_and_b64 vcc, exec, s[12:13]
	s_cbranch_vccnz .LBB126_1873
; %bb.1859:
	v_cmp_eq_u16_sdwa s[12:13], s11, v0 src0_sel:BYTE_0 src1_sel:DWORD
	s_and_b64 vcc, exec, s[12:13]
	s_cbranch_vccz .LBB126_1874
; %bb.1860:
	s_mov_b64 s[12:13], 0
	s_mov_b32 s20, 0x7f800001
	s_branch .LBB126_1876
.LBB126_1861:
	s_mov_b64 s[16:17], 0
	s_cbranch_execnz .LBB126_2034
.LBB126_1862:
	s_andn2_b64 vcc, exec, s[16:17]
	s_cbranch_vccnz .LBB126_2168
.LBB126_1863:
	v_add_u32_e32 v0, s10, v6
	v_ashrrev_i32_e32 v1, 31, v0
	v_mov_b32_e32 v2, s9
	v_add_co_u32_e32 v4, vcc, s8, v0
	v_addc_co_u32_e32 v5, vcc, v2, v1, vcc
	s_and_b64 vcc, exec, s[0:1]
	s_cbranch_vccnz .LBB126_1872
; %bb.1864:
	v_cmp_lt_i16_e32 vcc, 25, v12
	s_mov_b64 s[12:13], -1
	s_mov_b64 s[8:9], 0
	s_mov_b64 s[0:1], 0
	s_cbranch_vccz .LBB126_2392
; %bb.1865:
	v_cmp_lt_i16_e32 vcc, 28, v12
	s_cbranch_vccz .LBB126_2350
; %bb.1866:
	v_cmp_lt_i16_e32 vcc, 43, v12
	;; [unrolled: 3-line block ×3, first 2 shown]
	s_cbranch_vccz .LBB126_2323
; %bb.1868:
	v_cmp_eq_u16_e32 vcc, 46, v12
	s_mov_b64 s[0:1], -1
	s_cbranch_vccz .LBB126_2322
; %bb.1869:
	v_mov_b32_e32 v0, 0x80
	v_cmp_lt_i16_sdwa s[0:1], s11, v0 src0_sel:BYTE_0 src1_sel:DWORD
	s_and_b64 vcc, exec, s[0:1]
	s_cbranch_vccnz .LBB126_1887
; %bb.1870:
	v_cmp_eq_u16_sdwa s[0:1], s11, v0 src0_sel:BYTE_0 src1_sel:DWORD
	s_and_b64 vcc, exec, s[0:1]
	s_cbranch_vccz .LBB126_2315
; %bb.1871:
	s_mov_b64 s[0:1], 0
	s_mov_b32 s10, 0x7f800001
	s_branch .LBB126_2316
.LBB126_1872:
	s_mov_b64 s[8:9], 0
	s_mov_b64 s[0:1], -1
	s_branch .LBB126_2169
.LBB126_1873:
	s_mov_b64 s[16:17], -1
	s_mov_b64 s[12:13], 0
	s_branch .LBB126_1875
.LBB126_1874:
	s_mov_b64 s[12:13], -1
.LBB126_1875:
                                        ; implicit-def: $sgpr20
.LBB126_1876:
	s_and_b64 vcc, exec, s[16:17]
	s_cbranch_vccz .LBB126_1878
; %bb.1877:
	v_mov_b32_e32 v0, 0
	s_mov_b32 s20, 0
	v_cmp_ne_u16_sdwa s[12:13], s11, v0 src0_sel:BYTE_0 src1_sel:DWORD
.LBB126_1878:
	s_andn2_b64 vcc, exec, s[12:13]
	s_cbranch_vccnz .LBB126_1880
; %bb.1879:
	s_and_b32 s13, s11, 3
	s_flbit_i32_b32 s17, s13
	s_min_u32 s17, s17, 32
	v_lshrrev_b16_e64 v0, 2, s11
	s_sub_i32 s20, s17, 29
	v_readfirstlane_b32 s16, v0
	s_lshl_b32 s20, s11, s20
	s_lshl_b32 s12, s11, 24
	s_and_b32 s16, s16, 31
	s_sub_i32 s17, 30, s17
	s_and_b32 s20, s20, 3
	s_cmp_eq_u32 s16, 0
	s_cselect_b32 s16, s17, s16
	s_cselect_b32 s13, s20, s13
	s_lshl_b32 s16, s16, 23
	s_and_b32 s12, s12, 0x80000000
	s_add_i32 s16, s16, 0x37800000
	s_lshl_b32 s13, s13, 21
	s_or_b32 s12, s12, s16
	s_or_b32 s20, s12, s13
.LBB126_1880:
	s_bfe_u32 s12, s20, 0x10010
	s_add_i32 s12, s20, s12
	s_addk_i32 s12, 0x7fff
	s_lshr_b32 s16, s12, 16
	v_cmp_o_f32_e64 s[12:13], s20, s20
	s_and_b64 s[12:13], s[12:13], exec
	s_cselect_b32 s12, s16, 0x7fc0
	v_mov_b32_e32 v0, s12
	s_mov_b64 s[12:13], 0
	s_mov_b64 s[16:17], -1
	global_store_dword v[4:5], v0, off
.LBB126_1881:
	s_and_b64 vcc, exec, s[18:19]
	s_cbranch_vccz .LBB126_1895
; %bb.1882:
	v_cmp_eq_u16_e32 vcc, 44, v12
	s_mov_b64 s[12:13], -1
	s_cbranch_vccz .LBB126_1895
; %bb.1883:
	v_mov_b32_e32 v0, 0xff
	v_and_b32_e32 v0, s11, v0
	s_movk_i32 s12, 0x80
	v_cmp_gt_i16_e32 vcc, s12, v0
	v_readfirstlane_b32 s19, v0
	s_cbranch_vccnz .LBB126_1886
; %bb.1884:
	v_mov_b32_e32 v0, 0x80
	v_cmp_eq_u16_e32 vcc, s19, v0
	s_cbranch_vccz .LBB126_1888
; %bb.1885:
	s_mov_b64 s[12:13], 0
	s_mov_b32 s18, 0x7f800001
	s_branch .LBB126_1889
.LBB126_1886:
	s_mov_b64 s[16:17], -1
	s_mov_b64 s[12:13], 0
                                        ; implicit-def: $sgpr18
	s_branch .LBB126_1890
.LBB126_1887:
	s_mov_b64 s[0:1], 0
                                        ; implicit-def: $sgpr10
	s_branch .LBB126_2317
.LBB126_1888:
	s_mov_b64 s[12:13], -1
                                        ; implicit-def: $sgpr18
.LBB126_1889:
	s_mov_b64 s[16:17], 0
.LBB126_1890:
	s_and_b64 vcc, exec, s[16:17]
	s_cbranch_vccz .LBB126_1900
; %bb.1891:
	s_and_b32 s18, 0xffff, s19
	v_cmp_ne_u16_e64 s[12:13], s19, 0
	s_andn2_b64 vcc, exec, s[12:13]
	s_cbranch_vccz .LBB126_1901
.LBB126_1892:
	s_bfe_u32 s12, s18, 0x80017
	s_cmpk_eq_i32 s12, 0xff
	v_mov_b32_e32 v0, 0xff
	s_cbranch_scc1 .LBB126_1894
.LBB126_1893:
	s_lshr_b32 s19, s18, 23
	s_bitcmp1_b32 s18, 22
	s_cselect_b64 s[16:17], -1, 0
	s_and_b32 s13, s18, 0x3fffff
	s_or_b32 s12, s12, s13
	s_cmp_lg_u32 s12, 0
	s_cselect_b64 s[12:13], -1, 0
	s_and_b64 s[12:13], s[16:17], s[12:13]
	v_cndmask_b32_e64 v0, 0, 1, s[12:13]
	v_add_u32_e32 v0, s19, v0
.LBB126_1894:
	s_mov_b64 s[12:13], 0
	s_mov_b64 s[16:17], -1
	global_store_byte v[4:5], v0, off
.LBB126_1895:
	s_mov_b64 s[18:19], 0
.LBB126_1896:
	s_and_b64 vcc, exec, s[18:19]
	s_cbranch_vccz .LBB126_1908
; %bb.1897:
	v_cmp_eq_u16_e32 vcc, 29, v12
	s_mov_b64 s[12:13], -1
	s_cbranch_vccz .LBB126_1908
; %bb.1898:
	v_mov_b32_e32 v0, 0x80
	v_cmp_lt_i16_sdwa s[12:13], s11, v0 src0_sel:BYTE_0 src1_sel:DWORD
	s_and_b64 vcc, exec, s[12:13]
	s_cbranch_vccnz .LBB126_1902
; %bb.1899:
	v_cmp_ne_u16_sdwa s[12:13], s11, v0 src0_sel:BYTE_0 src1_sel:DWORD
	s_mov_b64 s[18:19], 0
	s_mov_b64 s[16:17], 0
	s_branch .LBB126_1903
.LBB126_1900:
	s_andn2_b64 vcc, exec, s[12:13]
	s_cbranch_vccnz .LBB126_1892
.LBB126_1901:
	s_and_b32 s12, s11, 3
	s_flbit_i32_b32 s16, s12
	s_min_u32 s16, s16, 32
	v_lshrrev_b16_e64 v0, 2, s11
	s_sub_i32 s17, s16, 29
	v_readfirstlane_b32 s13, v0
	s_lshl_b32 s17, s11, s17
	s_and_b32 s13, s13, 31
	s_sub_i32 s16, 30, s16
	s_and_b32 s17, s17, 3
	s_cmp_eq_u32 s13, 0
	s_cselect_b32 s13, s16, s13
	s_cselect_b32 s12, s17, s12
	s_lshl_b32 s12, s12, 21
	s_lshl_b32 s13, s13, 23
	s_or_b32 s12, s13, s12
	s_add_i32 s18, s12, 0x37800000
	s_bfe_u32 s12, s18, 0x80017
	s_cmpk_eq_i32 s12, 0xff
	v_mov_b32_e32 v0, 0xff
	s_cbranch_scc0 .LBB126_1893
	s_branch .LBB126_1894
.LBB126_1902:
	s_mov_b64 s[18:19], -1
	s_mov_b64 s[12:13], 0
                                        ; implicit-def: $sgpr16_sgpr17
.LBB126_1903:
	s_andn2_b64 vcc, exec, s[18:19]
	s_cbranch_vccnz .LBB126_1905
; %bb.1904:
	v_mov_b32_e32 v0, 0
	v_cmp_ne_u16_sdwa s[12:13], s11, v0 src0_sel:BYTE_0 src1_sel:DWORD
	s_mov_b64 s[16:17], 0
.LBB126_1905:
	s_andn2_b64 vcc, exec, s[12:13]
	v_pk_mov_b32 v[0:1], s[16:17], s[16:17] op_sel:[0,1]
	s_cbranch_vccnz .LBB126_1907
; %bb.1906:
	s_and_b32 s13, s11, 3
	s_flbit_i32_b32 s17, s13
	s_min_u32 s17, s17, 32
	v_lshrrev_b16_e64 v0, 2, s11
	s_sub_i32 s18, s17, 29
	v_readfirstlane_b32 s16, v0
	s_lshl_b32 s18, s11, s18
	s_lshl_b32 s12, s11, 24
	s_and_b32 s16, s16, 31
	s_sub_i32 s17, 30, s17
	s_and_b32 s18, s18, 3
	s_cmp_eq_u32 s16, 0
	s_cselect_b32 s16, s17, s16
	s_cselect_b32 s13, s18, s13
	s_lshl_b32 s16, s16, 23
	s_and_b32 s12, s12, 0x80000000
	s_add_i32 s16, s16, 0x37800000
	s_lshl_b32 s13, s13, 21
	s_or_b32 s12, s12, s16
	s_or_b32 s12, s12, s13
	v_trunc_f32_e32 v0, s12
	v_mul_f32_e32 v1, 0x2f800000, v0
	v_floor_f32_e32 v1, v1
	v_fmac_f32_e32 v0, 0xcf800000, v1
	v_cvt_u32_f32_e32 v0, v0
	v_cvt_u32_f32_e32 v1, v1
.LBB126_1907:
	global_store_dwordx2 v[4:5], v[0:1], off
	s_mov_b64 s[12:13], 0
	s_mov_b64 s[16:17], -1
.LBB126_1908:
	s_mov_b64 s[18:19], 0
.LBB126_1909:
	s_and_b64 vcc, exec, s[18:19]
	s_cbranch_vccz .LBB126_1951
; %bb.1910:
	v_cmp_gt_i16_e32 vcc, 27, v12
	s_mov_b64 s[16:17], -1
	s_cbranch_vccnz .LBB126_1930
; %bb.1911:
	v_cmp_lt_i16_e32 vcc, 27, v12
	s_cbranch_vccz .LBB126_1920
; %bb.1912:
	v_mov_b32_e32 v0, 0x80
	v_cmp_lt_i16_sdwa s[16:17], s11, v0 src0_sel:BYTE_0 src1_sel:DWORD
	s_and_b64 vcc, exec, s[16:17]
	s_cbranch_vccnz .LBB126_1914
; %bb.1913:
	v_cmp_ne_u16_sdwa s[16:17], s11, v0 src0_sel:BYTE_0 src1_sel:DWORD
	s_mov_b64 s[18:19], 0
	s_mov_b32 s20, 0
	s_branch .LBB126_1915
.LBB126_1914:
	s_mov_b64 s[18:19], -1
	s_mov_b64 s[16:17], 0
                                        ; implicit-def: $sgpr20
.LBB126_1915:
	s_andn2_b64 vcc, exec, s[18:19]
	s_cbranch_vccnz .LBB126_1917
; %bb.1916:
	v_mov_b32_e32 v0, 0
	s_mov_b32 s20, 0
	v_cmp_ne_u16_sdwa s[16:17], s11, v0 src0_sel:BYTE_0 src1_sel:DWORD
.LBB126_1917:
	s_andn2_b64 vcc, exec, s[16:17]
	v_mov_b32_e32 v0, s20
	s_cbranch_vccnz .LBB126_1919
; %bb.1918:
	s_and_b32 s17, s11, 3
	s_flbit_i32_b32 s19, s17
	s_min_u32 s19, s19, 32
	v_lshrrev_b16_e64 v0, 2, s11
	s_sub_i32 s20, s19, 29
	v_readfirstlane_b32 s18, v0
	s_lshl_b32 s20, s11, s20
	s_lshl_b32 s16, s11, 24
	s_and_b32 s18, s18, 31
	s_sub_i32 s19, 30, s19
	s_and_b32 s20, s20, 3
	s_cmp_eq_u32 s18, 0
	s_cselect_b32 s18, s19, s18
	s_cselect_b32 s17, s20, s17
	s_lshl_b32 s18, s18, 23
	s_and_b32 s16, s16, 0x80000000
	s_add_i32 s18, s18, 0x37800000
	s_lshl_b32 s17, s17, 21
	s_or_b32 s16, s16, s18
	s_or_b32 s16, s16, s17
	v_cvt_u32_f32_e32 v0, s16
.LBB126_1919:
	global_store_dword v[4:5], v0, off
	s_mov_b64 s[16:17], 0
.LBB126_1920:
	s_and_b64 vcc, exec, s[16:17]
	s_cbranch_vccz .LBB126_1929
; %bb.1921:
	v_mov_b32_e32 v0, 0x80
	v_cmp_lt_i16_sdwa s[16:17], s11, v0 src0_sel:BYTE_0 src1_sel:DWORD
	s_and_b64 vcc, exec, s[16:17]
	s_cbranch_vccnz .LBB126_1923
; %bb.1922:
	v_cmp_ne_u16_sdwa s[16:17], s11, v0 src0_sel:BYTE_0 src1_sel:DWORD
	s_mov_b64 s[18:19], 0
	s_mov_b32 s20, 0
	s_branch .LBB126_1924
.LBB126_1923:
	s_mov_b64 s[18:19], -1
	s_mov_b64 s[16:17], 0
                                        ; implicit-def: $sgpr20
.LBB126_1924:
	s_andn2_b64 vcc, exec, s[18:19]
	s_cbranch_vccnz .LBB126_1926
; %bb.1925:
	v_mov_b32_e32 v0, 0
	s_mov_b32 s20, 0
	v_cmp_ne_u16_sdwa s[16:17], s11, v0 src0_sel:BYTE_0 src1_sel:DWORD
.LBB126_1926:
	s_andn2_b64 vcc, exec, s[16:17]
	v_mov_b32_e32 v0, s20
	s_cbranch_vccnz .LBB126_1928
; %bb.1927:
	s_and_b32 s17, s11, 3
	s_flbit_i32_b32 s19, s17
	s_min_u32 s19, s19, 32
	v_lshrrev_b16_e64 v0, 2, s11
	s_sub_i32 s20, s19, 29
	v_readfirstlane_b32 s18, v0
	s_lshl_b32 s20, s11, s20
	s_lshl_b32 s16, s11, 24
	s_and_b32 s18, s18, 31
	s_sub_i32 s19, 30, s19
	s_and_b32 s20, s20, 3
	s_cmp_eq_u32 s18, 0
	s_cselect_b32 s18, s19, s18
	s_cselect_b32 s17, s20, s17
	s_lshl_b32 s18, s18, 23
	s_and_b32 s16, s16, 0x80000000
	s_add_i32 s18, s18, 0x37800000
	s_lshl_b32 s17, s17, 21
	s_or_b32 s16, s16, s18
	s_or_b32 s16, s16, s17
	v_cvt_u32_f32_e32 v0, s16
.LBB126_1928:
	global_store_short v[4:5], v0, off
.LBB126_1929:
	s_mov_b64 s[16:17], 0
.LBB126_1930:
	s_andn2_b64 vcc, exec, s[16:17]
	s_cbranch_vccnz .LBB126_1950
; %bb.1931:
	v_mov_b32_e32 v0, 0x80
	v_cmp_lt_i16_sdwa s[16:17], s11, v0 src0_sel:BYTE_0 src1_sel:DWORD
	s_and_b64 vcc, exec, s[16:17]
	s_cbranch_vccnz .LBB126_1934
; %bb.1932:
	v_cmp_eq_u16_sdwa s[16:17], s11, v0 src0_sel:BYTE_0 src1_sel:DWORD
	s_and_b64 vcc, exec, s[16:17]
	s_cbranch_vccz .LBB126_1935
; %bb.1933:
	s_mov_b64 s[16:17], 0
	s_mov_b32 s20, 0x7f800001
	s_branch .LBB126_1936
.LBB126_1934:
	s_mov_b64 s[18:19], -1
	s_mov_b64 s[16:17], 0
                                        ; implicit-def: $sgpr20
	s_branch .LBB126_1937
.LBB126_1935:
	s_mov_b64 s[16:17], -1
                                        ; implicit-def: $sgpr20
.LBB126_1936:
	s_mov_b64 s[18:19], 0
.LBB126_1937:
	s_and_b64 vcc, exec, s[18:19]
	s_cbranch_vccz .LBB126_1940
; %bb.1938:
	v_mov_b32_e32 v0, 0
	s_mov_b32 s20, 0
	v_cmp_ne_u16_sdwa s[16:17], s11, v0 src0_sel:BYTE_0 src1_sel:DWORD
	s_andn2_b64 vcc, exec, s[16:17]
	s_cbranch_vccz .LBB126_1941
.LBB126_1939:
	s_and_b32 s16, s20, 0x7fffffff
	s_cmp_gt_u32 s16, 0x437fffff
	v_mov_b32_e32 v1, 0x80
	s_cbranch_scc0 .LBB126_1942
	s_branch .LBB126_1949
.LBB126_1940:
	s_andn2_b64 vcc, exec, s[16:17]
	s_cbranch_vccnz .LBB126_1939
.LBB126_1941:
	s_and_b32 s17, s11, 3
	s_flbit_i32_b32 s19, s17
	s_min_u32 s19, s19, 32
	v_lshrrev_b16_e64 v0, 2, s11
	s_sub_i32 s20, s19, 29
	v_readfirstlane_b32 s18, v0
	s_lshl_b32 s20, s11, s20
	s_lshl_b32 s16, s11, 24
	s_and_b32 s18, s18, 31
	s_sub_i32 s19, 30, s19
	s_and_b32 s20, s20, 3
	s_cmp_eq_u32 s18, 0
	s_cselect_b32 s18, s19, s18
	s_cselect_b32 s17, s20, s17
	s_lshl_b32 s18, s18, 23
	s_and_b32 s16, s16, 0x80000000
	s_add_i32 s18, s18, 0x37800000
	s_lshl_b32 s17, s17, 21
	s_or_b32 s16, s16, s18
	s_or_b32 s20, s16, s17
	s_and_b32 s16, s20, 0x7fffffff
	s_cmp_gt_u32 s16, 0x437fffff
	v_mov_b32_e32 v1, 0x80
	s_cbranch_scc1 .LBB126_1949
.LBB126_1942:
	s_cmp_gt_u32 s16, 0x3bffffff
	s_cbranch_scc0 .LBB126_1944
; %bb.1943:
	s_bfe_u32 s16, s20, 0x10014
	s_add_i32 s16, s20, s16
	s_add_i32 s16, s16, 0x487ffff
	s_lshr_b32 s21, s16, 20
	s_mov_b64 s[18:19], 0
	s_mov_b64 s[16:17], -1
	s_branch .LBB126_1945
.LBB126_1944:
	s_mov_b64 s[18:19], -1
	s_mov_b64 s[16:17], 0
                                        ; implicit-def: $sgpr21
.LBB126_1945:
	s_andn2_b64 vcc, exec, s[18:19]
	v_mov_b32_e32 v0, s21
                                        ; implicit-def: $sgpr18
	s_cbranch_vccnz .LBB126_1947
; %bb.1946:
	v_mov_b32_e32 v0, 0x46000000
	v_add_f32_e64 v0, |s20|, v0
	v_and_b32_e32 v0, 0xff, v0
	s_mov_b32 s18, 0
	v_cmp_ne_u32_e64 s[16:17], 0, v0
.LBB126_1947:
	s_andn2_b64 vcc, exec, s[16:17]
	v_mov_b32_e32 v1, s18
	s_cbranch_vccnz .LBB126_1949
; %bb.1948:
	s_lshr_b32 s16, s20, 24
	s_and_b32 s16, s16, 0x80
	v_or_b32_e32 v1, s16, v0
.LBB126_1949:
	global_store_byte v[4:5], v1, off
.LBB126_1950:
	s_mov_b64 s[16:17], -1
.LBB126_1951:
	s_mov_b64 s[18:19], 0
.LBB126_1952:
	s_and_b64 vcc, exec, s[18:19]
	s_cbranch_vccz .LBB126_2020
; %bb.1953:
	v_cmp_lt_i16_e32 vcc, 22, v12
	s_mov_b64 s[14:15], -1
	s_cbranch_vccz .LBB126_2003
; %bb.1954:
	v_cmp_gt_i16_e32 vcc, 24, v12
	s_cbranch_vccnz .LBB126_1980
; %bb.1955:
	v_cmp_lt_i16_e32 vcc, 24, v12
	s_cbranch_vccz .LBB126_1957
; %bb.1956:
	v_mov_b32_e32 v0, s11
	global_store_byte v[4:5], v0, off
	s_mov_b64 s[14:15], 0
.LBB126_1957:
	s_andn2_b64 vcc, exec, s[14:15]
	s_cbranch_vccnz .LBB126_1979
; %bb.1958:
	v_mov_b32_e32 v0, 0x80
	v_cmp_lt_i16_sdwa s[14:15], s11, v0 src0_sel:BYTE_0 src1_sel:DWORD
	s_and_b64 vcc, exec, s[14:15]
	s_cbranch_vccnz .LBB126_1961
; %bb.1959:
	v_cmp_eq_u16_sdwa s[14:15], s11, v0 src0_sel:BYTE_0 src1_sel:DWORD
	s_and_b64 vcc, exec, s[14:15]
	s_cbranch_vccz .LBB126_1962
; %bb.1960:
	s_mov_b64 s[14:15], 0
	s_mov_b32 s18, 0x7f800001
	s_branch .LBB126_1963
.LBB126_1961:
	s_mov_b64 s[16:17], -1
	s_mov_b64 s[14:15], 0
                                        ; implicit-def: $sgpr18
	s_branch .LBB126_1964
.LBB126_1962:
	s_mov_b64 s[14:15], -1
                                        ; implicit-def: $sgpr18
.LBB126_1963:
	s_mov_b64 s[16:17], 0
.LBB126_1964:
	s_and_b64 vcc, exec, s[16:17]
	s_cbranch_vccz .LBB126_1969
; %bb.1965:
	v_mov_b32_e32 v0, 0
	s_mov_b32 s18, 0
	v_cmp_ne_u16_sdwa s[14:15], s11, v0 src0_sel:BYTE_0 src1_sel:DWORD
	s_andn2_b64 vcc, exec, s[14:15]
	s_cbranch_vccz .LBB126_1970
.LBB126_1966:
	s_and_b32 s16, s18, 0x7fffffff
	s_cmp_lt_u32 s16, 0x43f00000
	s_cbranch_scc0 .LBB126_1971
.LBB126_1967:
	s_cmp_gt_u32 s16, 0x3c7fffff
	s_cbranch_scc0 .LBB126_1972
; %bb.1968:
	s_bfe_u32 s14, s18, 0x10014
	s_add_i32 s14, s18, s14
	s_add_i32 s14, s14, 0x407ffff
	s_lshr_b32 s15, s14, 20
	s_and_b32 s14, s14, 0xff00000
	s_cmp_lg_u32 s14, 0x7f00000
	s_cselect_b32 s17, s15, 0x7e
	s_mov_b64 s[14:15], 0
	s_branch .LBB126_1973
.LBB126_1969:
	s_andn2_b64 vcc, exec, s[14:15]
	s_cbranch_vccnz .LBB126_1966
.LBB126_1970:
	s_and_b32 s15, s11, 3
	s_flbit_i32_b32 s17, s15
	s_min_u32 s17, s17, 32
	v_lshrrev_b16_e64 v0, 2, s11
	s_sub_i32 s18, s17, 29
	v_readfirstlane_b32 s16, v0
	s_lshl_b32 s18, s11, s18
	s_lshl_b32 s14, s11, 24
	s_and_b32 s16, s16, 31
	s_sub_i32 s17, 30, s17
	s_and_b32 s18, s18, 3
	s_cmp_eq_u32 s16, 0
	s_cselect_b32 s16, s17, s16
	s_cselect_b32 s15, s18, s15
	s_lshl_b32 s16, s16, 23
	s_and_b32 s14, s14, 0x80000000
	s_add_i32 s16, s16, 0x37800000
	s_lshl_b32 s15, s15, 21
	s_or_b32 s14, s14, s16
	s_or_b32 s18, s14, s15
	s_and_b32 s16, s18, 0x7fffffff
	s_cmp_lt_u32 s16, 0x43f00000
	s_cbranch_scc1 .LBB126_1967
.LBB126_1971:
	s_mov_b64 s[14:15], -1
                                        ; implicit-def: $vgpr0
	s_branch .LBB126_1976
.LBB126_1972:
	s_mov_b64 s[14:15], -1
                                        ; implicit-def: $sgpr17
.LBB126_1973:
	s_andn2_b64 vcc, exec, s[14:15]
	v_mov_b32_e32 v0, s17
	s_cbranch_vccnz .LBB126_1975
; %bb.1974:
	v_mov_b32_e32 v0, 0x46800000
	v_add_f32_e64 v0, |s18|, v0
.LBB126_1975:
	s_mov_b64 s[14:15], 0
.LBB126_1976:
	s_andn2_b64 vcc, exec, s[14:15]
	s_cbranch_vccnz .LBB126_1978
; %bb.1977:
	s_cmp_gt_u32 s16, 0x7f800000
	s_movk_i32 s14, 0x7f
	s_cselect_b32 s14, s14, 0x7e
	v_mov_b32_e32 v0, s14
.LBB126_1978:
	s_lshr_b32 s14, s18, 24
	s_and_b32 s14, s14, 0x80
	v_or_b32_e32 v0, s14, v0
	global_store_byte v[4:5], v0, off
.LBB126_1979:
	s_mov_b64 s[14:15], 0
.LBB126_1980:
	s_andn2_b64 vcc, exec, s[14:15]
	s_cbranch_vccnz .LBB126_2002
; %bb.1981:
	v_mov_b32_e32 v0, 0x80
	v_cmp_lt_i16_sdwa s[14:15], s11, v0 src0_sel:BYTE_0 src1_sel:DWORD
	s_and_b64 vcc, exec, s[14:15]
	s_cbranch_vccnz .LBB126_1984
; %bb.1982:
	v_cmp_eq_u16_sdwa s[14:15], s11, v0 src0_sel:BYTE_0 src1_sel:DWORD
	s_and_b64 vcc, exec, s[14:15]
	s_cbranch_vccz .LBB126_1985
; %bb.1983:
	s_mov_b64 s[14:15], 0
	s_mov_b32 s18, 0x7f800001
	s_branch .LBB126_1986
.LBB126_1984:
	s_mov_b64 s[16:17], -1
	s_mov_b64 s[14:15], 0
                                        ; implicit-def: $sgpr18
	s_branch .LBB126_1987
.LBB126_1985:
	s_mov_b64 s[14:15], -1
                                        ; implicit-def: $sgpr18
.LBB126_1986:
	s_mov_b64 s[16:17], 0
.LBB126_1987:
	s_and_b64 vcc, exec, s[16:17]
	s_cbranch_vccz .LBB126_1992
; %bb.1988:
	v_mov_b32_e32 v0, 0
	s_mov_b32 s18, 0
	v_cmp_ne_u16_sdwa s[14:15], s11, v0 src0_sel:BYTE_0 src1_sel:DWORD
	s_andn2_b64 vcc, exec, s[14:15]
	s_cbranch_vccz .LBB126_1993
.LBB126_1989:
	s_and_b32 s16, s18, 0x7fffffff
	s_cmp_lt_u32 s16, 0x47800000
	s_cbranch_scc0 .LBB126_1994
.LBB126_1990:
	s_cmp_gt_u32 s16, 0x387fffff
	s_cbranch_scc0 .LBB126_1995
; %bb.1991:
	s_bfe_u32 s14, s18, 0x10015
	s_add_i32 s14, s18, s14
	s_add_i32 s14, s14, 0x80fffff
	s_lshr_b32 s17, s14, 21
	s_mov_b64 s[14:15], 0
	s_branch .LBB126_1996
.LBB126_1992:
	s_andn2_b64 vcc, exec, s[14:15]
	s_cbranch_vccnz .LBB126_1989
.LBB126_1993:
	s_and_b32 s15, s11, 3
	s_flbit_i32_b32 s17, s15
	s_min_u32 s17, s17, 32
	v_lshrrev_b16_e64 v0, 2, s11
	s_sub_i32 s18, s17, 29
	v_readfirstlane_b32 s16, v0
	s_lshl_b32 s18, s11, s18
	s_lshl_b32 s14, s11, 24
	s_and_b32 s16, s16, 31
	s_sub_i32 s17, 30, s17
	s_and_b32 s18, s18, 3
	s_cmp_eq_u32 s16, 0
	s_cselect_b32 s16, s17, s16
	s_cselect_b32 s15, s18, s15
	s_lshl_b32 s16, s16, 23
	s_and_b32 s14, s14, 0x80000000
	s_add_i32 s16, s16, 0x37800000
	s_lshl_b32 s15, s15, 21
	s_or_b32 s14, s14, s16
	s_or_b32 s18, s14, s15
	s_and_b32 s16, s18, 0x7fffffff
	s_cmp_lt_u32 s16, 0x47800000
	s_cbranch_scc1 .LBB126_1990
.LBB126_1994:
	s_mov_b64 s[14:15], -1
                                        ; implicit-def: $vgpr0
	s_branch .LBB126_1999
.LBB126_1995:
	s_mov_b64 s[14:15], -1
                                        ; implicit-def: $sgpr17
.LBB126_1996:
	s_andn2_b64 vcc, exec, s[14:15]
	v_mov_b32_e32 v0, s17
	s_cbranch_vccnz .LBB126_1998
; %bb.1997:
	v_mov_b32_e32 v0, 0x43000000
	v_add_f32_e64 v0, |s18|, v0
.LBB126_1998:
	s_mov_b64 s[14:15], 0
.LBB126_1999:
	s_andn2_b64 vcc, exec, s[14:15]
	s_cbranch_vccnz .LBB126_2001
; %bb.2000:
	s_cmp_gt_u32 s16, 0x7f800000
	s_movk_i32 s14, 0x7f
	s_cselect_b32 s14, s14, 0x7c
	v_mov_b32_e32 v0, s14
.LBB126_2001:
	s_lshr_b32 s14, s18, 24
	s_and_b32 s14, s14, 0x80
	v_or_b32_e32 v0, s14, v0
	global_store_byte v[4:5], v0, off
.LBB126_2002:
	s_mov_b64 s[14:15], 0
	s_mov_b64 s[16:17], -1
.LBB126_2003:
	s_andn2_b64 vcc, exec, s[14:15]
	s_mov_b64 s[14:15], 0
	s_cbranch_vccnz .LBB126_2020
; %bb.2004:
	v_cmp_lt_i16_e32 vcc, 14, v12
	s_mov_b64 s[18:19], -1
	s_cbranch_vccz .LBB126_2018
; %bb.2005:
	v_cmp_eq_u16_e32 vcc, 15, v12
	s_mov_b64 s[12:13], -1
	s_cbranch_vccz .LBB126_2017
; %bb.2006:
	v_mov_b32_e32 v0, 0x80
	v_cmp_lt_i16_sdwa s[12:13], s11, v0 src0_sel:BYTE_0 src1_sel:DWORD
	s_and_b64 vcc, exec, s[12:13]
	s_cbranch_vccnz .LBB126_2009
; %bb.2007:
	v_cmp_eq_u16_sdwa s[12:13], s11, v0 src0_sel:BYTE_0 src1_sel:DWORD
	s_and_b64 vcc, exec, s[12:13]
	s_cbranch_vccz .LBB126_2010
; %bb.2008:
	s_mov_b64 s[12:13], 0
	s_mov_b32 s16, 0x7f800001
	s_branch .LBB126_2012
.LBB126_2009:
	s_mov_b64 s[14:15], -1
	s_mov_b64 s[12:13], 0
	s_branch .LBB126_2011
.LBB126_2010:
	s_mov_b64 s[12:13], -1
.LBB126_2011:
                                        ; implicit-def: $sgpr16
.LBB126_2012:
	s_and_b64 vcc, exec, s[14:15]
	s_cbranch_vccz .LBB126_2014
; %bb.2013:
	v_mov_b32_e32 v0, 0
	s_mov_b32 s16, 0
	v_cmp_ne_u16_sdwa s[12:13], s11, v0 src0_sel:BYTE_0 src1_sel:DWORD
.LBB126_2014:
	s_andn2_b64 vcc, exec, s[12:13]
	s_cbranch_vccnz .LBB126_2016
; %bb.2015:
	s_and_b32 s13, s11, 3
	s_flbit_i32_b32 s15, s13
	s_min_u32 s15, s15, 32
	v_lshrrev_b16_e64 v0, 2, s11
	s_sub_i32 s16, s15, 29
	v_readfirstlane_b32 s14, v0
	s_lshl_b32 s16, s11, s16
	s_lshl_b32 s12, s11, 24
	s_and_b32 s14, s14, 31
	s_sub_i32 s15, 30, s15
	s_and_b32 s16, s16, 3
	s_cmp_eq_u32 s14, 0
	s_cselect_b32 s14, s15, s14
	s_cselect_b32 s13, s16, s13
	s_lshl_b32 s14, s14, 23
	s_and_b32 s12, s12, 0x80000000
	s_add_i32 s14, s14, 0x37800000
	s_lshl_b32 s13, s13, 21
	s_or_b32 s12, s12, s14
	s_or_b32 s16, s12, s13
.LBB126_2016:
	s_bfe_u32 s12, s16, 0x10010
	s_add_i32 s12, s16, s12
	s_addk_i32 s12, 0x7fff
	s_lshr_b32 s14, s12, 16
	v_cmp_o_f32_e64 s[12:13], s16, s16
	s_and_b64 s[12:13], s[12:13], exec
	s_cselect_b32 s12, s14, 0x7fc0
	v_mov_b32_e32 v0, s12
	global_store_short v[4:5], v0, off
	s_mov_b64 s[12:13], 0
	s_mov_b64 s[16:17], -1
.LBB126_2017:
	s_mov_b64 s[18:19], 0
.LBB126_2018:
	s_mov_b64 s[14:15], 0
	s_and_b64 vcc, exec, s[18:19]
	s_cbranch_vccz .LBB126_2020
; %bb.2019:
	v_cmp_ne_u16_e64 s[12:13], 11, v12
	s_mov_b64 s[14:15], -1
.LBB126_2020:
	s_and_b64 vcc, exec, s[12:13]
	s_cbranch_vccnz .LBB126_2041
; %bb.2021:
	s_andn2_b64 vcc, exec, s[14:15]
	s_cbranch_vccnz .LBB126_2033
.LBB126_2022:
	v_mov_b32_e32 v0, 0x80
	v_cmp_lt_i16_sdwa s[12:13], s11, v0 src0_sel:BYTE_0 src1_sel:DWORD
	s_and_b64 vcc, exec, s[12:13]
	s_cbranch_vccnz .LBB126_2025
; %bb.2023:
	v_cmp_eq_u16_sdwa s[12:13], s11, v0 src0_sel:BYTE_0 src1_sel:DWORD
	s_and_b64 vcc, exec, s[12:13]
	s_cbranch_vccz .LBB126_2026
; %bb.2024:
	s_mov_b64 s[14:15], 0
	s_mov_b64 s[12:13], -1
	s_branch .LBB126_2027
.LBB126_2025:
	s_mov_b64 s[16:17], -1
	s_mov_b64 s[14:15], 0
                                        ; implicit-def: $sgpr12_sgpr13
	s_branch .LBB126_2028
.LBB126_2026:
	s_mov_b64 s[14:15], -1
                                        ; implicit-def: $sgpr12_sgpr13
.LBB126_2027:
	s_mov_b64 s[16:17], 0
.LBB126_2028:
	s_and_b64 vcc, exec, s[16:17]
	s_cbranch_vccz .LBB126_2030
; %bb.2029:
	v_mov_b32_e32 v0, 0
	v_cmp_ne_u16_sdwa s[14:15], s11, v0 src0_sel:BYTE_0 src1_sel:DWORD
	s_mov_b64 s[12:13], 0
.LBB126_2030:
	s_andn2_b64 vcc, exec, s[14:15]
	s_cbranch_vccnz .LBB126_2032
; %bb.2031:
	s_and_b32 s12, s11, 3
	s_flbit_i32_b32 s14, s12
	s_min_u32 s14, s14, 32
	v_lshrrev_b16_e64 v0, 2, s11
	s_sub_i32 s15, s14, 29
	v_readfirstlane_b32 s13, v0
	s_lshl_b32 s15, s11, s15
	s_and_b32 s13, s13, 31
	s_sub_i32 s14, 30, s14
	s_and_b32 s15, s15, 3
	s_cmp_eq_u32 s13, 0
	s_cselect_b32 s13, s14, s13
	s_cselect_b32 s12, s15, s12
	s_lshl_b32 s13, s13, 23
	s_add_i32 s13, s13, 0x37800000
	s_lshl_b32 s12, s12, 21
	s_and_b32 s13, s13, 0x7f800000
	s_or_b32 s12, s13, s12
	s_cmp_lg_u32 s12, 0
	s_cselect_b64 s[12:13], -1, 0
.LBB126_2032:
	v_cndmask_b32_e64 v0, 0, 1, s[12:13]
	global_store_byte v[4:5], v0, off
	s_mov_b64 s[16:17], -1
.LBB126_2033:
	s_branch .LBB126_1862
.LBB126_2034:
	v_cmp_gt_i16_e32 vcc, 5, v12
	s_mov_b64 s[12:13], -1
	s_cbranch_vccnz .LBB126_2116
; %bb.2035:
	v_cmp_gt_i16_e32 vcc, 8, v12
	s_cbranch_vccnz .LBB126_2076
; %bb.2036:
	v_cmp_gt_i16_e32 vcc, 9, v12
	s_cbranch_vccnz .LBB126_2063
; %bb.2037:
	v_cmp_lt_i16_e32 vcc, 9, v12
	s_cbranch_vccz .LBB126_2050
; %bb.2038:
	v_mov_b32_e32 v0, 0x80
	v_cmp_lt_i16_sdwa s[12:13], s11, v0 src0_sel:BYTE_0 src1_sel:DWORD
	s_and_b64 vcc, exec, s[12:13]
	s_cbranch_vccnz .LBB126_2042
; %bb.2039:
	v_cmp_eq_u16_sdwa s[12:13], s11, v0 src0_sel:BYTE_0 src1_sel:DWORD
	s_and_b64 vcc, exec, s[12:13]
	s_cbranch_vccz .LBB126_2043
; %bb.2040:
	s_mov_b64 s[12:13], 0
	s_mov_b32 s15, 0x7ff80000
	s_brev_b32 s14, 4
	s_branch .LBB126_2044
.LBB126_2041:
	s_trap 2
	s_or_b64 s[6:7], s[6:7], exec
	s_cbranch_execz .LBB126_2022
	s_branch .LBB126_2033
.LBB126_2042:
	s_mov_b64 s[16:17], -1
	s_mov_b64 s[12:13], 0
                                        ; implicit-def: $sgpr14_sgpr15
	s_branch .LBB126_2045
.LBB126_2043:
	s_mov_b64 s[12:13], -1
                                        ; implicit-def: $sgpr14_sgpr15
.LBB126_2044:
	s_mov_b64 s[16:17], 0
.LBB126_2045:
	s_and_b64 vcc, exec, s[16:17]
	s_cbranch_vccz .LBB126_2047
; %bb.2046:
	v_mov_b32_e32 v0, 0
	v_cmp_ne_u16_sdwa s[12:13], s11, v0 src0_sel:BYTE_0 src1_sel:DWORD
	s_mov_b64 s[14:15], 0
.LBB126_2047:
	s_andn2_b64 vcc, exec, s[12:13]
	v_pk_mov_b32 v[0:1], s[14:15], s[14:15] op_sel:[0,1]
	s_cbranch_vccnz .LBB126_2049
; %bb.2048:
	s_and_b32 s13, s11, 3
	s_flbit_i32_b32 s15, s13
	s_min_u32 s15, s15, 32
	v_lshrrev_b16_e64 v0, 2, s11
	s_sub_i32 s16, s15, 29
	v_readfirstlane_b32 s14, v0
	s_lshl_b32 s16, s11, s16
	s_lshl_b32 s12, s11, 24
	s_and_b32 s14, s14, 31
	s_sub_i32 s15, 30, s15
	s_and_b32 s16, s16, 3
	s_cmp_eq_u32 s14, 0
	s_cselect_b32 s14, s15, s14
	s_cselect_b32 s13, s16, s13
	s_lshl_b32 s14, s14, 23
	s_and_b32 s12, s12, 0x80000000
	s_add_i32 s14, s14, 0x37800000
	s_lshl_b32 s13, s13, 21
	s_or_b32 s12, s12, s14
	s_or_b32 s12, s12, s13
	v_cvt_f64_f32_e32 v[0:1], s12
.LBB126_2049:
	v_mov_b32_e32 v2, 0
	v_mov_b32_e32 v3, v2
	global_store_dwordx4 v[4:5], v[0:3], off
	s_mov_b64 s[12:13], 0
.LBB126_2050:
	s_and_b64 vcc, exec, s[12:13]
	s_cbranch_vccz .LBB126_2062
; %bb.2051:
	v_mov_b32_e32 v0, 0x80
	v_cmp_lt_i16_sdwa s[12:13], s11, v0 src0_sel:BYTE_0 src1_sel:DWORD
	s_and_b64 vcc, exec, s[12:13]
	s_cbranch_vccnz .LBB126_2054
; %bb.2052:
	v_cmp_eq_u16_sdwa s[12:13], s11, v0 src0_sel:BYTE_0 src1_sel:DWORD
	s_and_b64 vcc, exec, s[12:13]
	s_cbranch_vccz .LBB126_2055
; %bb.2053:
	s_mov_b64 s[12:13], 0
	s_mov_b32 s16, 0x7f800001
	s_branch .LBB126_2056
.LBB126_2054:
	s_mov_b64 s[14:15], -1
	s_mov_b64 s[12:13], 0
                                        ; implicit-def: $sgpr16
	s_branch .LBB126_2057
.LBB126_2055:
	s_mov_b64 s[12:13], -1
                                        ; implicit-def: $sgpr16
.LBB126_2056:
	s_mov_b64 s[14:15], 0
.LBB126_2057:
	s_and_b64 vcc, exec, s[14:15]
	v_mov_b32_e32 v0, s16
	s_cbranch_vccz .LBB126_2059
; %bb.2058:
	s_mov_b32 s12, 0xffff
	v_mov_b32_e32 v0, s11
	v_mov_b32_e32 v1, 0
	v_and_b32_sdwa v0, s12, v0 dst_sel:DWORD dst_unused:UNUSED_PAD src0_sel:DWORD src1_sel:BYTE_0
	v_cmp_ne_u16_sdwa s[12:13], s11, v1 src0_sel:BYTE_0 src1_sel:DWORD
.LBB126_2059:
	s_andn2_b64 vcc, exec, s[12:13]
	s_cbranch_vccnz .LBB126_2061
; %bb.2060:
	s_and_b32 s13, s11, 3
	s_flbit_i32_b32 s15, s13
	s_min_u32 s15, s15, 32
	v_lshrrev_b16_e64 v0, 2, s11
	s_sub_i32 s16, s15, 29
	v_readfirstlane_b32 s14, v0
	s_lshl_b32 s16, s11, s16
	s_lshl_b32 s12, s11, 24
	s_and_b32 s14, s14, 31
	s_sub_i32 s15, 30, s15
	s_and_b32 s16, s16, 3
	s_cmp_eq_u32 s14, 0
	s_cselect_b32 s14, s15, s14
	s_cselect_b32 s13, s16, s13
	s_lshl_b32 s14, s14, 23
	s_and_b32 s12, s12, 0x80000000
	s_add_i32 s14, s14, 0x37800000
	s_lshl_b32 s13, s13, 21
	s_or_b32 s12, s12, s14
	s_or_b32 s12, s12, s13
	v_mov_b32_e32 v0, s12
.LBB126_2061:
	v_mov_b32_e32 v1, 0
	global_store_dwordx2 v[4:5], v[0:1], off
.LBB126_2062:
	s_mov_b64 s[12:13], 0
.LBB126_2063:
	s_andn2_b64 vcc, exec, s[12:13]
	s_cbranch_vccnz .LBB126_2075
; %bb.2064:
	v_mov_b32_e32 v0, 0x80
	v_cmp_lt_i16_sdwa s[12:13], s11, v0 src0_sel:BYTE_0 src1_sel:DWORD
	s_and_b64 vcc, exec, s[12:13]
	s_cbranch_vccnz .LBB126_2067
; %bb.2065:
	v_cmp_eq_u16_sdwa s[12:13], s11, v0 src0_sel:BYTE_0 src1_sel:DWORD
	s_and_b64 vcc, exec, s[12:13]
	s_cbranch_vccz .LBB126_2068
; %bb.2066:
	s_mov_b64 s[12:13], 0
	s_movk_i32 s16, 0x7e00
	s_branch .LBB126_2069
.LBB126_2067:
	s_mov_b64 s[14:15], -1
	s_mov_b64 s[12:13], 0
                                        ; implicit-def: $sgpr16
	s_branch .LBB126_2070
.LBB126_2068:
	s_mov_b64 s[12:13], -1
                                        ; implicit-def: $sgpr16
.LBB126_2069:
	s_mov_b64 s[14:15], 0
.LBB126_2070:
	s_and_b64 vcc, exec, s[14:15]
	v_mov_b32_e32 v0, s16
	s_cbranch_vccz .LBB126_2072
; %bb.2071:
	s_mov_b32 s12, 0xffff
	v_mov_b32_e32 v0, s11
	v_mov_b32_e32 v1, 0
	v_and_b32_sdwa v0, s12, v0 dst_sel:DWORD dst_unused:UNUSED_PAD src0_sel:DWORD src1_sel:BYTE_0
	v_cmp_ne_u16_sdwa s[12:13], s11, v1 src0_sel:BYTE_0 src1_sel:DWORD
.LBB126_2072:
	s_andn2_b64 vcc, exec, s[12:13]
	s_cbranch_vccnz .LBB126_2074
; %bb.2073:
	s_and_b32 s13, s11, 3
	s_flbit_i32_b32 s15, s13
	s_min_u32 s15, s15, 32
	v_lshrrev_b16_e64 v0, 2, s11
	s_sub_i32 s16, s15, 29
	v_readfirstlane_b32 s14, v0
	s_lshl_b32 s16, s11, s16
	s_lshl_b32 s12, s11, 24
	s_and_b32 s14, s14, 31
	s_sub_i32 s15, 30, s15
	s_and_b32 s16, s16, 3
	s_cmp_eq_u32 s14, 0
	s_cselect_b32 s14, s15, s14
	s_cselect_b32 s13, s16, s13
	s_lshl_b32 s14, s14, 23
	s_and_b32 s12, s12, 0x80000000
	s_add_i32 s14, s14, 0x37800000
	s_lshl_b32 s13, s13, 21
	s_or_b32 s12, s12, s14
	s_or_b32 s12, s12, s13
	v_cvt_f16_f32_e32 v0, s12
.LBB126_2074:
	global_store_dword v[4:5], v0, off
.LBB126_2075:
	s_mov_b64 s[12:13], 0
.LBB126_2076:
	s_andn2_b64 vcc, exec, s[12:13]
	s_cbranch_vccnz .LBB126_2115
; %bb.2077:
	v_cmp_gt_i16_e32 vcc, 6, v12
	s_mov_b64 s[12:13], -1
	s_cbranch_vccnz .LBB126_2103
; %bb.2078:
	v_cmp_lt_i16_e32 vcc, 6, v12
	s_cbranch_vccz .LBB126_2090
; %bb.2079:
	v_mov_b32_e32 v0, 0x80
	v_cmp_lt_i16_sdwa s[12:13], s11, v0 src0_sel:BYTE_0 src1_sel:DWORD
	s_and_b64 vcc, exec, s[12:13]
	s_cbranch_vccnz .LBB126_2082
; %bb.2080:
	v_cmp_eq_u16_sdwa s[12:13], s11, v0 src0_sel:BYTE_0 src1_sel:DWORD
	s_and_b64 vcc, exec, s[12:13]
	s_cbranch_vccz .LBB126_2083
; %bb.2081:
	s_mov_b64 s[12:13], 0
	s_mov_b32 s15, 0x7ff80000
	s_brev_b32 s14, 4
	s_branch .LBB126_2084
.LBB126_2082:
	s_mov_b64 s[16:17], -1
	s_mov_b64 s[12:13], 0
                                        ; implicit-def: $sgpr14_sgpr15
	s_branch .LBB126_2085
.LBB126_2083:
	s_mov_b64 s[12:13], -1
                                        ; implicit-def: $sgpr14_sgpr15
.LBB126_2084:
	s_mov_b64 s[16:17], 0
.LBB126_2085:
	s_and_b64 vcc, exec, s[16:17]
	s_cbranch_vccz .LBB126_2087
; %bb.2086:
	v_mov_b32_e32 v0, 0
	v_cmp_ne_u16_sdwa s[12:13], s11, v0 src0_sel:BYTE_0 src1_sel:DWORD
	s_mov_b64 s[14:15], 0
.LBB126_2087:
	s_andn2_b64 vcc, exec, s[12:13]
	v_pk_mov_b32 v[0:1], s[14:15], s[14:15] op_sel:[0,1]
	s_cbranch_vccnz .LBB126_2089
; %bb.2088:
	s_and_b32 s13, s11, 3
	s_flbit_i32_b32 s15, s13
	s_min_u32 s15, s15, 32
	v_lshrrev_b16_e64 v0, 2, s11
	s_sub_i32 s16, s15, 29
	v_readfirstlane_b32 s14, v0
	s_lshl_b32 s16, s11, s16
	s_lshl_b32 s12, s11, 24
	s_and_b32 s14, s14, 31
	s_sub_i32 s15, 30, s15
	s_and_b32 s16, s16, 3
	s_cmp_eq_u32 s14, 0
	s_cselect_b32 s14, s15, s14
	s_cselect_b32 s13, s16, s13
	s_lshl_b32 s14, s14, 23
	s_and_b32 s12, s12, 0x80000000
	s_add_i32 s14, s14, 0x37800000
	s_lshl_b32 s13, s13, 21
	s_or_b32 s12, s12, s14
	s_or_b32 s12, s12, s13
	v_cvt_f64_f32_e32 v[0:1], s12
.LBB126_2089:
	global_store_dwordx2 v[4:5], v[0:1], off
	s_mov_b64 s[12:13], 0
.LBB126_2090:
	s_and_b64 vcc, exec, s[12:13]
	s_cbranch_vccz .LBB126_2102
; %bb.2091:
	v_mov_b32_e32 v0, 0x80
	v_cmp_lt_i16_sdwa s[12:13], s11, v0 src0_sel:BYTE_0 src1_sel:DWORD
	s_and_b64 vcc, exec, s[12:13]
	s_cbranch_vccnz .LBB126_2094
; %bb.2092:
	v_cmp_eq_u16_sdwa s[12:13], s11, v0 src0_sel:BYTE_0 src1_sel:DWORD
	s_and_b64 vcc, exec, s[12:13]
	s_cbranch_vccz .LBB126_2095
; %bb.2093:
	s_mov_b64 s[12:13], 0
	s_mov_b32 s16, 0x7f800001
	s_branch .LBB126_2096
.LBB126_2094:
	s_mov_b64 s[14:15], -1
	s_mov_b64 s[12:13], 0
                                        ; implicit-def: $sgpr16
	s_branch .LBB126_2097
.LBB126_2095:
	s_mov_b64 s[12:13], -1
                                        ; implicit-def: $sgpr16
.LBB126_2096:
	s_mov_b64 s[14:15], 0
.LBB126_2097:
	s_and_b64 vcc, exec, s[14:15]
	v_mov_b32_e32 v0, s16
	s_cbranch_vccz .LBB126_2099
; %bb.2098:
	s_mov_b32 s12, 0xffff
	v_mov_b32_e32 v0, s11
	v_mov_b32_e32 v1, 0
	v_and_b32_sdwa v0, s12, v0 dst_sel:DWORD dst_unused:UNUSED_PAD src0_sel:DWORD src1_sel:BYTE_0
	v_cmp_ne_u16_sdwa s[12:13], s11, v1 src0_sel:BYTE_0 src1_sel:DWORD
.LBB126_2099:
	s_andn2_b64 vcc, exec, s[12:13]
	s_cbranch_vccnz .LBB126_2101
; %bb.2100:
	s_and_b32 s13, s11, 3
	s_flbit_i32_b32 s15, s13
	s_min_u32 s15, s15, 32
	v_lshrrev_b16_e64 v0, 2, s11
	s_sub_i32 s16, s15, 29
	v_readfirstlane_b32 s14, v0
	s_lshl_b32 s16, s11, s16
	s_lshl_b32 s12, s11, 24
	s_and_b32 s14, s14, 31
	s_sub_i32 s15, 30, s15
	s_and_b32 s16, s16, 3
	s_cmp_eq_u32 s14, 0
	s_cselect_b32 s14, s15, s14
	s_cselect_b32 s13, s16, s13
	s_lshl_b32 s14, s14, 23
	s_and_b32 s12, s12, 0x80000000
	s_add_i32 s14, s14, 0x37800000
	s_lshl_b32 s13, s13, 21
	s_or_b32 s12, s12, s14
	s_or_b32 s12, s12, s13
	v_mov_b32_e32 v0, s12
.LBB126_2101:
	global_store_dword v[4:5], v0, off
.LBB126_2102:
	s_mov_b64 s[12:13], 0
.LBB126_2103:
	s_andn2_b64 vcc, exec, s[12:13]
	s_cbranch_vccnz .LBB126_2115
; %bb.2104:
	v_mov_b32_e32 v0, 0xff
	v_and_b32_e32 v0, s11, v0
	s_movk_i32 s12, 0x80
	v_cmp_gt_i16_e32 vcc, s12, v0
	s_cbranch_vccnz .LBB126_2107
; %bb.2105:
	v_cmp_eq_u16_e32 vcc, s12, v0
	s_cbranch_vccz .LBB126_2108
; %bb.2106:
	s_mov_b64 s[12:13], 0
	s_movk_i32 s16, 0x7e00
	s_branch .LBB126_2109
.LBB126_2107:
	s_mov_b64 s[14:15], -1
	s_mov_b64 s[12:13], 0
                                        ; implicit-def: $sgpr16
	s_branch .LBB126_2110
.LBB126_2108:
	s_mov_b64 s[12:13], -1
                                        ; implicit-def: $sgpr16
.LBB126_2109:
	s_mov_b64 s[14:15], 0
.LBB126_2110:
	s_and_b64 vcc, exec, s[14:15]
	v_mov_b32_e32 v1, s16
	s_cbranch_vccz .LBB126_2112
; %bb.2111:
	v_cmp_ne_u16_e64 s[12:13], 0, v0
	v_mov_b32_e32 v1, v0
.LBB126_2112:
	s_andn2_b64 vcc, exec, s[12:13]
	s_cbranch_vccnz .LBB126_2114
; %bb.2113:
	s_and_b32 s13, s11, 3
	s_flbit_i32_b32 s15, s13
	s_min_u32 s15, s15, 32
	v_lshrrev_b16_e64 v0, 2, s11
	s_sub_i32 s16, s15, 29
	v_readfirstlane_b32 s14, v0
	s_lshl_b32 s16, s11, s16
	s_lshl_b32 s12, s11, 24
	s_and_b32 s14, s14, 31
	s_sub_i32 s15, 30, s15
	s_and_b32 s16, s16, 3
	s_cmp_eq_u32 s14, 0
	s_cselect_b32 s14, s15, s14
	s_cselect_b32 s13, s16, s13
	s_lshl_b32 s14, s14, 23
	s_and_b32 s12, s12, 0x80000000
	s_add_i32 s14, s14, 0x37800000
	s_lshl_b32 s13, s13, 21
	s_or_b32 s12, s12, s14
	s_or_b32 s12, s12, s13
	v_cvt_f16_f32_e32 v1, s12
.LBB126_2114:
	global_store_short v[4:5], v1, off
.LBB126_2115:
	s_mov_b64 s[12:13], 0
.LBB126_2116:
	s_andn2_b64 vcc, exec, s[12:13]
	s_cbranch_vccnz .LBB126_2167
; %bb.2117:
	v_cmp_gt_i16_e32 vcc, 2, v12
	s_mov_b64 s[12:13], -1
	s_cbranch_vccnz .LBB126_2148
; %bb.2118:
	v_cmp_gt_i16_e32 vcc, 3, v12
	s_cbranch_vccnz .LBB126_2138
; %bb.2119:
	v_cmp_lt_i16_e32 vcc, 3, v12
	s_cbranch_vccz .LBB126_2128
; %bb.2120:
	v_mov_b32_e32 v0, 0x80
	v_cmp_lt_i16_sdwa s[12:13], s11, v0 src0_sel:BYTE_0 src1_sel:DWORD
	s_and_b64 vcc, exec, s[12:13]
	s_cbranch_vccnz .LBB126_2122
; %bb.2121:
	v_cmp_ne_u16_sdwa s[12:13], s11, v0 src0_sel:BYTE_0 src1_sel:DWORD
	s_mov_b64 s[16:17], 0
	s_mov_b64 s[14:15], 0
	s_branch .LBB126_2123
.LBB126_2122:
	s_mov_b64 s[16:17], -1
	s_mov_b64 s[12:13], 0
                                        ; implicit-def: $sgpr14_sgpr15
.LBB126_2123:
	s_andn2_b64 vcc, exec, s[16:17]
	s_cbranch_vccnz .LBB126_2125
; %bb.2124:
	v_mov_b32_e32 v0, 0
	v_cmp_ne_u16_sdwa s[12:13], s11, v0 src0_sel:BYTE_0 src1_sel:DWORD
	s_mov_b64 s[14:15], 0
.LBB126_2125:
	s_andn2_b64 vcc, exec, s[12:13]
	v_pk_mov_b32 v[0:1], s[14:15], s[14:15] op_sel:[0,1]
	s_cbranch_vccnz .LBB126_2127
; %bb.2126:
	s_and_b32 s13, s11, 3
	s_flbit_i32_b32 s15, s13
	s_min_u32 s15, s15, 32
	v_lshrrev_b16_e64 v0, 2, s11
	s_sub_i32 s16, s15, 29
	v_readfirstlane_b32 s14, v0
	s_lshl_b32 s16, s11, s16
	s_lshl_b32 s12, s11, 24
	s_and_b32 s14, s14, 31
	s_sub_i32 s15, 30, s15
	s_and_b32 s16, s16, 3
	s_cmp_eq_u32 s14, 0
	s_cselect_b32 s14, s15, s14
	s_cselect_b32 s13, s16, s13
	s_lshl_b32 s14, s14, 23
	s_and_b32 s12, s12, 0x80000000
	s_add_i32 s14, s14, 0x37800000
	s_lshl_b32 s13, s13, 21
	s_or_b32 s12, s12, s14
	s_or_b32 s12, s12, s13
	v_trunc_f32_e32 v0, s12
	s_mov_b32 s12, 0x2f800000
	v_mul_f32_e64 v1, |v0|, s12
	v_floor_f32_e32 v1, v1
	s_mov_b32 s12, 0xcf800000
	v_fma_f32 v2, v1, s12, |v0|
	v_cvt_u32_f32_e32 v2, v2
	v_cvt_u32_f32_e32 v1, v1
	v_ashrrev_i32_e32 v3, 31, v0
	v_xor_b32_e32 v0, v2, v3
	v_xor_b32_e32 v1, v1, v3
	v_sub_co_u32_e32 v0, vcc, v0, v3
	v_subb_co_u32_e32 v1, vcc, v1, v3, vcc
.LBB126_2127:
	global_store_dwordx2 v[4:5], v[0:1], off
	s_mov_b64 s[12:13], 0
.LBB126_2128:
	s_and_b64 vcc, exec, s[12:13]
	s_cbranch_vccz .LBB126_2137
; %bb.2129:
	v_mov_b32_e32 v0, 0x80
	v_cmp_lt_i16_sdwa s[12:13], s11, v0 src0_sel:BYTE_0 src1_sel:DWORD
	s_and_b64 vcc, exec, s[12:13]
	s_cbranch_vccnz .LBB126_2131
; %bb.2130:
	v_cmp_ne_u16_sdwa s[12:13], s11, v0 src0_sel:BYTE_0 src1_sel:DWORD
	s_mov_b64 s[14:15], 0
	s_mov_b32 s16, 0
	s_branch .LBB126_2132
.LBB126_2131:
	s_mov_b64 s[14:15], -1
	s_mov_b64 s[12:13], 0
                                        ; implicit-def: $sgpr16
.LBB126_2132:
	s_andn2_b64 vcc, exec, s[14:15]
	s_cbranch_vccnz .LBB126_2134
; %bb.2133:
	v_mov_b32_e32 v0, 0
	s_mov_b32 s16, 0
	v_cmp_ne_u16_sdwa s[12:13], s11, v0 src0_sel:BYTE_0 src1_sel:DWORD
.LBB126_2134:
	s_andn2_b64 vcc, exec, s[12:13]
	v_mov_b32_e32 v0, s16
	s_cbranch_vccnz .LBB126_2136
; %bb.2135:
	s_and_b32 s13, s11, 3
	s_flbit_i32_b32 s15, s13
	s_min_u32 s15, s15, 32
	v_lshrrev_b16_e64 v0, 2, s11
	s_sub_i32 s16, s15, 29
	v_readfirstlane_b32 s14, v0
	s_lshl_b32 s16, s11, s16
	s_lshl_b32 s12, s11, 24
	s_and_b32 s14, s14, 31
	s_sub_i32 s15, 30, s15
	s_and_b32 s16, s16, 3
	s_cmp_eq_u32 s14, 0
	s_cselect_b32 s14, s15, s14
	s_cselect_b32 s13, s16, s13
	s_lshl_b32 s14, s14, 23
	s_and_b32 s12, s12, 0x80000000
	s_add_i32 s14, s14, 0x37800000
	s_lshl_b32 s13, s13, 21
	s_or_b32 s12, s12, s14
	s_or_b32 s12, s12, s13
	v_cvt_i32_f32_e32 v0, s12
.LBB126_2136:
	global_store_dword v[4:5], v0, off
.LBB126_2137:
	s_mov_b64 s[12:13], 0
.LBB126_2138:
	s_andn2_b64 vcc, exec, s[12:13]
	s_cbranch_vccnz .LBB126_2147
; %bb.2139:
	v_mov_b32_e32 v0, 0x80
	v_cmp_lt_i16_sdwa s[12:13], s11, v0 src0_sel:BYTE_0 src1_sel:DWORD
	s_and_b64 vcc, exec, s[12:13]
	s_cbranch_vccnz .LBB126_2141
; %bb.2140:
	v_cmp_ne_u16_sdwa s[12:13], s11, v0 src0_sel:BYTE_0 src1_sel:DWORD
	s_mov_b64 s[14:15], 0
	s_mov_b32 s16, 0
	s_branch .LBB126_2142
.LBB126_2141:
	s_mov_b64 s[14:15], -1
	s_mov_b64 s[12:13], 0
                                        ; implicit-def: $sgpr16
.LBB126_2142:
	s_andn2_b64 vcc, exec, s[14:15]
	s_cbranch_vccnz .LBB126_2144
; %bb.2143:
	v_mov_b32_e32 v0, 0
	s_mov_b32 s16, 0
	v_cmp_ne_u16_sdwa s[12:13], s11, v0 src0_sel:BYTE_0 src1_sel:DWORD
.LBB126_2144:
	s_andn2_b64 vcc, exec, s[12:13]
	v_mov_b32_e32 v0, s16
	s_cbranch_vccnz .LBB126_2146
; %bb.2145:
	s_and_b32 s13, s11, 3
	s_flbit_i32_b32 s15, s13
	s_min_u32 s15, s15, 32
	v_lshrrev_b16_e64 v0, 2, s11
	s_sub_i32 s16, s15, 29
	v_readfirstlane_b32 s14, v0
	s_lshl_b32 s16, s11, s16
	s_lshl_b32 s12, s11, 24
	s_and_b32 s14, s14, 31
	s_sub_i32 s15, 30, s15
	s_and_b32 s16, s16, 3
	s_cmp_eq_u32 s14, 0
	s_cselect_b32 s14, s15, s14
	s_cselect_b32 s13, s16, s13
	s_lshl_b32 s14, s14, 23
	s_and_b32 s12, s12, 0x80000000
	s_add_i32 s14, s14, 0x37800000
	s_lshl_b32 s13, s13, 21
	s_or_b32 s12, s12, s14
	s_or_b32 s12, s12, s13
	v_cvt_i32_f32_e32 v0, s12
.LBB126_2146:
	global_store_short v[4:5], v0, off
.LBB126_2147:
	s_mov_b64 s[12:13], 0
.LBB126_2148:
	s_andn2_b64 vcc, exec, s[12:13]
	s_cbranch_vccnz .LBB126_2167
; %bb.2149:
	v_cmp_lt_i16_e32 vcc, 0, v12
	s_mov_b64 s[12:13], -1
	s_cbranch_vccz .LBB126_2158
; %bb.2150:
	v_mov_b32_e32 v0, 0x80
	v_cmp_lt_i16_sdwa s[12:13], s11, v0 src0_sel:BYTE_0 src1_sel:DWORD
	s_and_b64 vcc, exec, s[12:13]
	s_cbranch_vccnz .LBB126_2152
; %bb.2151:
	v_cmp_ne_u16_sdwa s[12:13], s11, v0 src0_sel:BYTE_0 src1_sel:DWORD
	s_mov_b64 s[14:15], 0
	s_mov_b32 s16, 0
	s_branch .LBB126_2153
.LBB126_2152:
	s_mov_b64 s[14:15], -1
	s_mov_b64 s[12:13], 0
                                        ; implicit-def: $sgpr16
.LBB126_2153:
	s_andn2_b64 vcc, exec, s[14:15]
	s_cbranch_vccnz .LBB126_2155
; %bb.2154:
	v_mov_b32_e32 v0, 0
	s_mov_b32 s16, 0
	v_cmp_ne_u16_sdwa s[12:13], s11, v0 src0_sel:BYTE_0 src1_sel:DWORD
.LBB126_2155:
	s_andn2_b64 vcc, exec, s[12:13]
	v_mov_b32_e32 v0, s16
	s_cbranch_vccnz .LBB126_2157
; %bb.2156:
	s_and_b32 s13, s11, 3
	s_flbit_i32_b32 s15, s13
	s_min_u32 s15, s15, 32
	v_lshrrev_b16_e64 v0, 2, s11
	s_sub_i32 s16, s15, 29
	v_readfirstlane_b32 s14, v0
	s_lshl_b32 s16, s11, s16
	s_lshl_b32 s12, s11, 24
	s_and_b32 s14, s14, 31
	s_sub_i32 s15, 30, s15
	s_and_b32 s16, s16, 3
	s_cmp_eq_u32 s14, 0
	s_cselect_b32 s14, s15, s14
	s_cselect_b32 s13, s16, s13
	s_lshl_b32 s14, s14, 23
	s_and_b32 s12, s12, 0x80000000
	s_add_i32 s14, s14, 0x37800000
	s_lshl_b32 s13, s13, 21
	s_or_b32 s12, s12, s14
	s_or_b32 s12, s12, s13
	v_cvt_i32_f32_e32 v0, s12
.LBB126_2157:
	global_store_byte v[4:5], v0, off
	s_mov_b64 s[12:13], 0
.LBB126_2158:
	s_and_b64 vcc, exec, s[12:13]
	s_cbranch_vccz .LBB126_2167
; %bb.2159:
	v_mov_b32_e32 v0, 0x80
	v_cmp_lt_i16_sdwa s[12:13], s11, v0 src0_sel:BYTE_0 src1_sel:DWORD
	s_and_b64 vcc, exec, s[12:13]
	s_cbranch_vccnz .LBB126_2161
; %bb.2160:
	v_cmp_ne_u16_sdwa s[12:13], s11, v0 src0_sel:BYTE_0 src1_sel:DWORD
	s_mov_b64 s[14:15], 0
	s_mov_b32 s16, 0
	s_branch .LBB126_2162
.LBB126_2161:
	s_mov_b64 s[14:15], -1
	s_mov_b64 s[12:13], 0
                                        ; implicit-def: $sgpr16
.LBB126_2162:
	s_andn2_b64 vcc, exec, s[14:15]
	s_cbranch_vccnz .LBB126_2164
; %bb.2163:
	v_mov_b32_e32 v0, 0
	s_mov_b32 s16, 0
	v_cmp_ne_u16_sdwa s[12:13], s11, v0 src0_sel:BYTE_0 src1_sel:DWORD
.LBB126_2164:
	s_andn2_b64 vcc, exec, s[12:13]
	v_mov_b32_e32 v0, s16
	s_cbranch_vccnz .LBB126_2166
; %bb.2165:
	s_and_b32 s13, s11, 3
	s_flbit_i32_b32 s15, s13
	s_min_u32 s15, s15, 32
	v_lshrrev_b16_e64 v0, 2, s11
	s_sub_i32 s16, s15, 29
	v_readfirstlane_b32 s14, v0
	s_lshl_b32 s16, s11, s16
	s_lshl_b32 s12, s11, 24
	s_and_b32 s14, s14, 31
	s_sub_i32 s15, 30, s15
	s_and_b32 s16, s16, 3
	s_cmp_eq_u32 s14, 0
	s_cselect_b32 s14, s15, s14
	s_cselect_b32 s13, s16, s13
	s_lshl_b32 s14, s14, 23
	s_and_b32 s12, s12, 0x80000000
	s_add_i32 s14, s14, 0x37800000
	s_lshl_b32 s13, s13, 21
	s_or_b32 s12, s12, s14
	s_or_b32 s12, s12, s13
	v_trunc_f32_e32 v0, s12
	s_mov_b32 s12, 0x2f800000
	v_mul_f32_e64 v1, |v0|, s12
	v_floor_f32_e32 v1, v1
	s_mov_b32 s12, 0xcf800000
	v_fma_f32 v1, v1, s12, |v0|
	v_cvt_u32_f32_e32 v1, v1
	v_ashrrev_i32_e32 v0, 31, v0
	v_xor_b32_e32 v1, v1, v0
	v_sub_u32_e32 v0, v1, v0
.LBB126_2166:
	global_store_byte v[4:5], v0, off
.LBB126_2167:
	s_branch .LBB126_1863
.LBB126_2168:
	s_mov_b64 s[0:1], 0
	s_mov_b64 s[8:9], 0
                                        ; implicit-def: $vgpr12
                                        ; implicit-def: $vgpr4_vgpr5
.LBB126_2169:
	s_andn2_b64 s[2:3], s[2:3], exec
	s_and_b64 s[6:7], s[6:7], exec
	s_and_b64 s[12:13], s[0:1], exec
	;; [unrolled: 1-line block ×3, first 2 shown]
	s_or_b64 s[2:3], s[2:3], s[6:7]
.LBB126_2170:
	s_or_b64 exec, exec, s[4:5]
	s_and_saveexec_b64 s[4:5], s[2:3]
	s_cbranch_execz .LBB126_2173
; %bb.2171:
	; divergent unreachable
	s_or_b64 exec, exec, s[4:5]
	s_and_saveexec_b64 s[2:3], s[0:1]
	s_cbranch_execnz .LBB126_2174
.LBB126_2172:
	s_or_b64 exec, exec, s[2:3]
	s_and_saveexec_b64 s[0:1], s[12:13]
	s_cbranch_execnz .LBB126_2182
	s_branch .LBB126_2311
.LBB126_2173:
	s_or_b64 exec, exec, s[4:5]
	s_and_saveexec_b64 s[2:3], s[0:1]
	s_cbranch_execz .LBB126_2172
.LBB126_2174:
	v_mov_b32_e32 v0, 0x80
	v_cmp_lt_i16_sdwa s[0:1], s11, v0 src0_sel:BYTE_0 src1_sel:DWORD
	s_and_b64 vcc, exec, s[0:1]
	s_cbranch_vccnz .LBB126_2177
; %bb.2175:
	v_cmp_eq_u16_sdwa s[0:1], s11, v0 src0_sel:BYTE_0 src1_sel:DWORD
	s_and_b64 vcc, exec, s[0:1]
	s_cbranch_vccz .LBB126_2189
; %bb.2176:
	s_mov_b64 s[4:5], 0
	s_mov_b64 s[0:1], -1
	s_branch .LBB126_2179
.LBB126_2177:
	s_mov_b64 s[4:5], 0
                                        ; implicit-def: $sgpr0_sgpr1
	s_cbranch_execz .LBB126_2179
; %bb.2178:
	v_mov_b32_e32 v0, 0
	v_cmp_ne_u16_sdwa s[4:5], s11, v0 src0_sel:BYTE_0 src1_sel:DWORD
	s_mov_b64 s[0:1], 0
.LBB126_2179:
	s_andn2_b64 vcc, exec, s[4:5]
	s_cbranch_vccnz .LBB126_2181
; %bb.2180:
	s_and_b32 s0, s11, 3
	s_flbit_i32_b32 s4, s0
	s_min_u32 s4, s4, 32
	v_lshrrev_b16_e64 v0, 2, s11
	s_sub_i32 s5, s4, 29
	v_readfirstlane_b32 s1, v0
	s_lshl_b32 s5, s11, s5
	s_and_b32 s1, s1, 31
	s_sub_i32 s4, 30, s4
	s_and_b32 s5, s5, 3
	s_cmp_eq_u32 s1, 0
	s_cselect_b32 s1, s4, s1
	s_cselect_b32 s0, s5, s0
	s_lshl_b32 s1, s1, 23
	s_add_i32 s1, s1, 0x37800000
	s_lshl_b32 s0, s0, 21
	s_and_b32 s1, s1, 0x7f800000
	s_or_b32 s0, s1, s0
	s_cmp_lg_u32 s0, 0
	s_cselect_b64 s[0:1], -1, 0
.LBB126_2181:
	v_cndmask_b32_e64 v0, 0, 1, s[0:1]
	global_store_byte v[4:5], v0, off
	s_or_b64 exec, exec, s[2:3]
	s_and_saveexec_b64 s[0:1], s[12:13]
	s_cbranch_execz .LBB126_2311
.LBB126_2182:
	v_cmp_gt_i16_e32 vcc, 5, v12
	s_mov_b64 s[0:1], -1
	s_cbranch_vccnz .LBB126_2264
; %bb.2183:
	v_cmp_gt_i16_e32 vcc, 8, v12
	s_cbranch_vccnz .LBB126_2216
; %bb.2184:
	v_cmp_gt_i16_e32 vcc, 9, v12
	s_cbranch_vccnz .LBB126_2211
; %bb.2185:
	v_cmp_lt_i16_e32 vcc, 9, v12
	s_cbranch_vccz .LBB126_2198
; %bb.2186:
	v_mov_b32_e32 v0, 0x80
	v_cmp_lt_i16_sdwa s[0:1], s11, v0 src0_sel:BYTE_0 src1_sel:DWORD
	s_and_b64 vcc, exec, s[0:1]
	s_cbranch_vccnz .LBB126_2190
; %bb.2187:
	v_cmp_eq_u16_sdwa s[0:1], s11, v0 src0_sel:BYTE_0 src1_sel:DWORD
	s_and_b64 vcc, exec, s[0:1]
	s_cbranch_vccz .LBB126_2191
; %bb.2188:
	s_mov_b64 s[0:1], 0
	s_mov_b32 s3, 0x7ff80000
	s_brev_b32 s2, 4
	s_branch .LBB126_2192
.LBB126_2189:
	s_mov_b64 s[4:5], -1
                                        ; implicit-def: $sgpr0_sgpr1
	s_branch .LBB126_2179
.LBB126_2190:
	s_mov_b64 s[4:5], -1
	s_mov_b64 s[0:1], 0
                                        ; implicit-def: $sgpr2_sgpr3
	s_branch .LBB126_2193
.LBB126_2191:
	s_mov_b64 s[0:1], -1
                                        ; implicit-def: $sgpr2_sgpr3
.LBB126_2192:
	s_mov_b64 s[4:5], 0
.LBB126_2193:
	s_and_b64 vcc, exec, s[4:5]
	s_cbranch_vccz .LBB126_2195
; %bb.2194:
	v_mov_b32_e32 v0, 0
	v_cmp_ne_u16_sdwa s[0:1], s11, v0 src0_sel:BYTE_0 src1_sel:DWORD
	s_mov_b64 s[2:3], 0
.LBB126_2195:
	s_andn2_b64 vcc, exec, s[0:1]
	v_pk_mov_b32 v[0:1], s[2:3], s[2:3] op_sel:[0,1]
	s_cbranch_vccnz .LBB126_2197
; %bb.2196:
	s_and_b32 s1, s11, 3
	s_flbit_i32_b32 s3, s1
	s_min_u32 s3, s3, 32
	v_lshrrev_b16_e64 v0, 2, s11
	s_sub_i32 s4, s3, 29
	v_readfirstlane_b32 s2, v0
	s_lshl_b32 s4, s11, s4
	s_lshl_b32 s0, s11, 24
	s_and_b32 s2, s2, 31
	s_sub_i32 s3, 30, s3
	s_and_b32 s4, s4, 3
	s_cmp_eq_u32 s2, 0
	s_cselect_b32 s2, s3, s2
	s_cselect_b32 s1, s4, s1
	s_lshl_b32 s2, s2, 23
	s_and_b32 s0, s0, 0x80000000
	s_add_i32 s2, s2, 0x37800000
	s_lshl_b32 s1, s1, 21
	s_or_b32 s0, s0, s2
	s_or_b32 s0, s0, s1
	v_cvt_f64_f32_e32 v[0:1], s0
.LBB126_2197:
	v_mov_b32_e32 v2, 0
	v_mov_b32_e32 v3, v2
	global_store_dwordx4 v[4:5], v[0:3], off
	s_mov_b64 s[0:1], 0
.LBB126_2198:
	s_and_b64 vcc, exec, s[0:1]
	s_cbranch_vccz .LBB126_2210
; %bb.2199:
	v_mov_b32_e32 v0, 0x80
	v_cmp_lt_i16_sdwa s[0:1], s11, v0 src0_sel:BYTE_0 src1_sel:DWORD
	s_and_b64 vcc, exec, s[0:1]
	s_cbranch_vccnz .LBB126_2202
; %bb.2200:
	v_cmp_eq_u16_sdwa s[0:1], s11, v0 src0_sel:BYTE_0 src1_sel:DWORD
	s_and_b64 vcc, exec, s[0:1]
	s_cbranch_vccz .LBB126_2203
; %bb.2201:
	s_mov_b64 s[0:1], 0
	s_mov_b32 s4, 0x7f800001
	s_branch .LBB126_2204
.LBB126_2202:
	s_mov_b64 s[2:3], -1
	s_mov_b64 s[0:1], 0
                                        ; implicit-def: $sgpr4
	s_branch .LBB126_2205
.LBB126_2203:
	s_mov_b64 s[0:1], -1
                                        ; implicit-def: $sgpr4
.LBB126_2204:
	s_mov_b64 s[2:3], 0
.LBB126_2205:
	s_and_b64 vcc, exec, s[2:3]
	v_mov_b32_e32 v0, s4
	s_cbranch_vccz .LBB126_2207
; %bb.2206:
	s_mov_b32 s0, 0xffff
	v_mov_b32_e32 v0, s11
	v_mov_b32_e32 v1, 0
	v_and_b32_sdwa v0, s0, v0 dst_sel:DWORD dst_unused:UNUSED_PAD src0_sel:DWORD src1_sel:BYTE_0
	v_cmp_ne_u16_sdwa s[0:1], s11, v1 src0_sel:BYTE_0 src1_sel:DWORD
.LBB126_2207:
	s_andn2_b64 vcc, exec, s[0:1]
	s_cbranch_vccnz .LBB126_2209
; %bb.2208:
	s_and_b32 s1, s11, 3
	s_flbit_i32_b32 s3, s1
	s_min_u32 s3, s3, 32
	v_lshrrev_b16_e64 v0, 2, s11
	s_sub_i32 s4, s3, 29
	v_readfirstlane_b32 s2, v0
	s_lshl_b32 s4, s11, s4
	s_lshl_b32 s0, s11, 24
	s_and_b32 s2, s2, 31
	s_sub_i32 s3, 30, s3
	s_and_b32 s4, s4, 3
	s_cmp_eq_u32 s2, 0
	s_cselect_b32 s2, s3, s2
	s_cselect_b32 s1, s4, s1
	s_lshl_b32 s2, s2, 23
	s_and_b32 s0, s0, 0x80000000
	s_add_i32 s2, s2, 0x37800000
	s_lshl_b32 s1, s1, 21
	s_or_b32 s0, s0, s2
	s_or_b32 s0, s0, s1
	v_mov_b32_e32 v0, s0
.LBB126_2209:
	v_mov_b32_e32 v1, 0
	global_store_dwordx2 v[4:5], v[0:1], off
.LBB126_2210:
	s_mov_b64 s[0:1], 0
.LBB126_2211:
	s_andn2_b64 vcc, exec, s[0:1]
	s_cbranch_vccnz .LBB126_2215
; %bb.2212:
	v_mov_b32_e32 v0, 0x80
	v_cmp_lt_i16_sdwa s[0:1], s11, v0 src0_sel:BYTE_0 src1_sel:DWORD
	s_and_b64 vcc, exec, s[0:1]
	s_cbranch_vccnz .LBB126_2222
; %bb.2213:
	v_cmp_eq_u16_sdwa s[0:1], s11, v0 src0_sel:BYTE_0 src1_sel:DWORD
	s_and_b64 vcc, exec, s[0:1]
	s_cbranch_vccz .LBB126_2223
; %bb.2214:
	s_mov_b64 s[0:1], 0
	s_movk_i32 s4, 0x7e00
	s_branch .LBB126_2224
.LBB126_2215:
	s_mov_b64 s[0:1], 0
.LBB126_2216:
	s_andn2_b64 vcc, exec, s[0:1]
	s_cbranch_vccnz .LBB126_2263
.LBB126_2217:
	v_cmp_gt_i16_e32 vcc, 6, v12
	s_mov_b64 s[0:1], -1
	s_cbranch_vccnz .LBB126_2251
; %bb.2218:
	v_cmp_lt_i16_e32 vcc, 6, v12
	s_cbranch_vccz .LBB126_2238
; %bb.2219:
	v_mov_b32_e32 v0, 0x80
	v_cmp_lt_i16_sdwa s[0:1], s11, v0 src0_sel:BYTE_0 src1_sel:DWORD
	s_and_b64 vcc, exec, s[0:1]
	s_cbranch_vccnz .LBB126_2230
; %bb.2220:
	v_cmp_eq_u16_sdwa s[0:1], s11, v0 src0_sel:BYTE_0 src1_sel:DWORD
	s_and_b64 vcc, exec, s[0:1]
	s_cbranch_vccz .LBB126_2231
; %bb.2221:
	s_mov_b64 s[0:1], 0
	s_mov_b32 s3, 0x7ff80000
	s_brev_b32 s2, 4
	s_branch .LBB126_2232
.LBB126_2222:
	s_mov_b64 s[2:3], -1
	s_mov_b64 s[0:1], 0
                                        ; implicit-def: $sgpr4
	s_branch .LBB126_2225
.LBB126_2223:
	s_mov_b64 s[0:1], -1
                                        ; implicit-def: $sgpr4
.LBB126_2224:
	s_mov_b64 s[2:3], 0
.LBB126_2225:
	s_and_b64 vcc, exec, s[2:3]
	v_mov_b32_e32 v0, s4
	s_cbranch_vccz .LBB126_2227
; %bb.2226:
	s_mov_b32 s0, 0xffff
	v_mov_b32_e32 v0, s11
	v_mov_b32_e32 v1, 0
	v_and_b32_sdwa v0, s0, v0 dst_sel:DWORD dst_unused:UNUSED_PAD src0_sel:DWORD src1_sel:BYTE_0
	v_cmp_ne_u16_sdwa s[0:1], s11, v1 src0_sel:BYTE_0 src1_sel:DWORD
.LBB126_2227:
	s_andn2_b64 vcc, exec, s[0:1]
	s_cbranch_vccnz .LBB126_2229
; %bb.2228:
	s_and_b32 s1, s11, 3
	s_flbit_i32_b32 s3, s1
	s_min_u32 s3, s3, 32
	v_lshrrev_b16_e64 v0, 2, s11
	s_sub_i32 s4, s3, 29
	v_readfirstlane_b32 s2, v0
	s_lshl_b32 s4, s11, s4
	s_lshl_b32 s0, s11, 24
	s_and_b32 s2, s2, 31
	s_sub_i32 s3, 30, s3
	s_and_b32 s4, s4, 3
	s_cmp_eq_u32 s2, 0
	s_cselect_b32 s2, s3, s2
	s_cselect_b32 s1, s4, s1
	s_lshl_b32 s2, s2, 23
	s_and_b32 s0, s0, 0x80000000
	s_add_i32 s2, s2, 0x37800000
	s_lshl_b32 s1, s1, 21
	s_or_b32 s0, s0, s2
	s_or_b32 s0, s0, s1
	v_cvt_f16_f32_e32 v0, s0
.LBB126_2229:
	global_store_dword v[4:5], v0, off
	s_cbranch_execz .LBB126_2217
	s_branch .LBB126_2263
.LBB126_2230:
	s_mov_b64 s[4:5], -1
	s_mov_b64 s[0:1], 0
                                        ; implicit-def: $sgpr2_sgpr3
	s_branch .LBB126_2233
.LBB126_2231:
	s_mov_b64 s[0:1], -1
                                        ; implicit-def: $sgpr2_sgpr3
.LBB126_2232:
	s_mov_b64 s[4:5], 0
.LBB126_2233:
	s_and_b64 vcc, exec, s[4:5]
	s_cbranch_vccz .LBB126_2235
; %bb.2234:
	v_mov_b32_e32 v0, 0
	v_cmp_ne_u16_sdwa s[0:1], s11, v0 src0_sel:BYTE_0 src1_sel:DWORD
	s_mov_b64 s[2:3], 0
.LBB126_2235:
	s_andn2_b64 vcc, exec, s[0:1]
	v_pk_mov_b32 v[0:1], s[2:3], s[2:3] op_sel:[0,1]
	s_cbranch_vccnz .LBB126_2237
; %bb.2236:
	s_and_b32 s1, s11, 3
	s_flbit_i32_b32 s3, s1
	s_min_u32 s3, s3, 32
	v_lshrrev_b16_e64 v0, 2, s11
	s_sub_i32 s4, s3, 29
	v_readfirstlane_b32 s2, v0
	s_lshl_b32 s4, s11, s4
	s_lshl_b32 s0, s11, 24
	s_and_b32 s2, s2, 31
	s_sub_i32 s3, 30, s3
	s_and_b32 s4, s4, 3
	s_cmp_eq_u32 s2, 0
	s_cselect_b32 s2, s3, s2
	s_cselect_b32 s1, s4, s1
	s_lshl_b32 s2, s2, 23
	s_and_b32 s0, s0, 0x80000000
	s_add_i32 s2, s2, 0x37800000
	s_lshl_b32 s1, s1, 21
	s_or_b32 s0, s0, s2
	s_or_b32 s0, s0, s1
	v_cvt_f64_f32_e32 v[0:1], s0
.LBB126_2237:
	global_store_dwordx2 v[4:5], v[0:1], off
	s_mov_b64 s[0:1], 0
.LBB126_2238:
	s_and_b64 vcc, exec, s[0:1]
	s_cbranch_vccz .LBB126_2250
; %bb.2239:
	v_mov_b32_e32 v0, 0x80
	v_cmp_lt_i16_sdwa s[0:1], s11, v0 src0_sel:BYTE_0 src1_sel:DWORD
	s_and_b64 vcc, exec, s[0:1]
	s_cbranch_vccnz .LBB126_2242
; %bb.2240:
	v_cmp_eq_u16_sdwa s[0:1], s11, v0 src0_sel:BYTE_0 src1_sel:DWORD
	s_and_b64 vcc, exec, s[0:1]
	s_cbranch_vccz .LBB126_2243
; %bb.2241:
	s_mov_b64 s[0:1], 0
	s_mov_b32 s4, 0x7f800001
	s_branch .LBB126_2244
.LBB126_2242:
	s_mov_b64 s[2:3], -1
	s_mov_b64 s[0:1], 0
                                        ; implicit-def: $sgpr4
	s_branch .LBB126_2245
.LBB126_2243:
	s_mov_b64 s[0:1], -1
                                        ; implicit-def: $sgpr4
.LBB126_2244:
	s_mov_b64 s[2:3], 0
.LBB126_2245:
	s_and_b64 vcc, exec, s[2:3]
	v_mov_b32_e32 v0, s4
	s_cbranch_vccz .LBB126_2247
; %bb.2246:
	s_mov_b32 s0, 0xffff
	v_mov_b32_e32 v0, s11
	v_mov_b32_e32 v1, 0
	v_and_b32_sdwa v0, s0, v0 dst_sel:DWORD dst_unused:UNUSED_PAD src0_sel:DWORD src1_sel:BYTE_0
	v_cmp_ne_u16_sdwa s[0:1], s11, v1 src0_sel:BYTE_0 src1_sel:DWORD
.LBB126_2247:
	s_andn2_b64 vcc, exec, s[0:1]
	s_cbranch_vccnz .LBB126_2249
; %bb.2248:
	s_and_b32 s1, s11, 3
	s_flbit_i32_b32 s3, s1
	s_min_u32 s3, s3, 32
	v_lshrrev_b16_e64 v0, 2, s11
	s_sub_i32 s4, s3, 29
	v_readfirstlane_b32 s2, v0
	s_lshl_b32 s4, s11, s4
	s_lshl_b32 s0, s11, 24
	s_and_b32 s2, s2, 31
	s_sub_i32 s3, 30, s3
	s_and_b32 s4, s4, 3
	s_cmp_eq_u32 s2, 0
	s_cselect_b32 s2, s3, s2
	s_cselect_b32 s1, s4, s1
	s_lshl_b32 s2, s2, 23
	s_and_b32 s0, s0, 0x80000000
	s_add_i32 s2, s2, 0x37800000
	s_lshl_b32 s1, s1, 21
	s_or_b32 s0, s0, s2
	s_or_b32 s0, s0, s1
	v_mov_b32_e32 v0, s0
.LBB126_2249:
	global_store_dword v[4:5], v0, off
.LBB126_2250:
	s_mov_b64 s[0:1], 0
.LBB126_2251:
	s_andn2_b64 vcc, exec, s[0:1]
	s_cbranch_vccnz .LBB126_2263
; %bb.2252:
	v_mov_b32_e32 v0, 0xff
	v_and_b32_e32 v0, s11, v0
	s_movk_i32 s0, 0x80
	v_cmp_gt_i16_e32 vcc, s0, v0
	s_cbranch_vccnz .LBB126_2255
; %bb.2253:
	v_cmp_eq_u16_e32 vcc, s0, v0
	s_cbranch_vccz .LBB126_2256
; %bb.2254:
	s_mov_b64 s[0:1], 0
	s_movk_i32 s4, 0x7e00
	s_branch .LBB126_2257
.LBB126_2255:
	s_mov_b64 s[2:3], -1
	s_mov_b64 s[0:1], 0
                                        ; implicit-def: $sgpr4
	s_branch .LBB126_2258
.LBB126_2256:
	s_mov_b64 s[0:1], -1
                                        ; implicit-def: $sgpr4
.LBB126_2257:
	s_mov_b64 s[2:3], 0
.LBB126_2258:
	s_and_b64 vcc, exec, s[2:3]
	v_mov_b32_e32 v1, s4
	s_cbranch_vccz .LBB126_2260
; %bb.2259:
	v_cmp_ne_u16_e64 s[0:1], 0, v0
	v_mov_b32_e32 v1, v0
.LBB126_2260:
	s_andn2_b64 vcc, exec, s[0:1]
	s_cbranch_vccnz .LBB126_2262
; %bb.2261:
	s_and_b32 s1, s11, 3
	s_flbit_i32_b32 s3, s1
	s_min_u32 s3, s3, 32
	v_lshrrev_b16_e64 v0, 2, s11
	s_sub_i32 s4, s3, 29
	v_readfirstlane_b32 s2, v0
	s_lshl_b32 s4, s11, s4
	s_lshl_b32 s0, s11, 24
	s_and_b32 s2, s2, 31
	s_sub_i32 s3, 30, s3
	s_and_b32 s4, s4, 3
	s_cmp_eq_u32 s2, 0
	s_cselect_b32 s2, s3, s2
	s_cselect_b32 s1, s4, s1
	s_lshl_b32 s2, s2, 23
	s_and_b32 s0, s0, 0x80000000
	s_add_i32 s2, s2, 0x37800000
	s_lshl_b32 s1, s1, 21
	s_or_b32 s0, s0, s2
	s_or_b32 s0, s0, s1
	v_cvt_f16_f32_e32 v1, s0
.LBB126_2262:
	global_store_short v[4:5], v1, off
.LBB126_2263:
	s_mov_b64 s[0:1], 0
.LBB126_2264:
	s_andn2_b64 vcc, exec, s[0:1]
	s_cbranch_vccnz .LBB126_2311
; %bb.2265:
	v_cmp_gt_i16_e32 vcc, 2, v12
	s_mov_b64 s[0:1], -1
	s_cbranch_vccnz .LBB126_2290
; %bb.2266:
	v_cmp_gt_i16_e32 vcc, 3, v12
	s_cbranch_vccnz .LBB126_2286
; %bb.2267:
	v_cmp_lt_i16_e32 vcc, 3, v12
	s_cbranch_vccz .LBB126_2276
; %bb.2268:
	v_mov_b32_e32 v0, 0x80
	v_cmp_lt_i16_sdwa s[0:1], s11, v0 src0_sel:BYTE_0 src1_sel:DWORD
	s_and_b64 vcc, exec, s[0:1]
	s_cbranch_vccnz .LBB126_2270
; %bb.2269:
	v_cmp_ne_u16_sdwa s[0:1], s11, v0 src0_sel:BYTE_0 src1_sel:DWORD
	s_mov_b64 s[4:5], 0
	s_mov_b64 s[2:3], 0
	s_branch .LBB126_2271
.LBB126_2270:
	s_mov_b64 s[4:5], -1
	s_mov_b64 s[0:1], 0
                                        ; implicit-def: $sgpr2_sgpr3
.LBB126_2271:
	s_andn2_b64 vcc, exec, s[4:5]
	s_cbranch_vccnz .LBB126_2273
; %bb.2272:
	v_mov_b32_e32 v0, 0
	v_cmp_ne_u16_sdwa s[0:1], s11, v0 src0_sel:BYTE_0 src1_sel:DWORD
	s_mov_b64 s[2:3], 0
.LBB126_2273:
	s_andn2_b64 vcc, exec, s[0:1]
	v_pk_mov_b32 v[0:1], s[2:3], s[2:3] op_sel:[0,1]
	s_cbranch_vccnz .LBB126_2275
; %bb.2274:
	s_and_b32 s1, s11, 3
	s_flbit_i32_b32 s3, s1
	s_min_u32 s3, s3, 32
	v_lshrrev_b16_e64 v0, 2, s11
	s_sub_i32 s4, s3, 29
	v_readfirstlane_b32 s2, v0
	s_lshl_b32 s4, s11, s4
	s_lshl_b32 s0, s11, 24
	s_and_b32 s2, s2, 31
	s_sub_i32 s3, 30, s3
	s_and_b32 s4, s4, 3
	s_cmp_eq_u32 s2, 0
	s_cselect_b32 s2, s3, s2
	s_cselect_b32 s1, s4, s1
	s_lshl_b32 s2, s2, 23
	s_and_b32 s0, s0, 0x80000000
	s_add_i32 s2, s2, 0x37800000
	s_lshl_b32 s1, s1, 21
	s_or_b32 s0, s0, s2
	s_or_b32 s0, s0, s1
	v_trunc_f32_e32 v0, s0
	s_mov_b32 s0, 0x2f800000
	v_mul_f32_e64 v1, |v0|, s0
	v_floor_f32_e32 v1, v1
	s_mov_b32 s0, 0xcf800000
	v_fma_f32 v2, v1, s0, |v0|
	v_cvt_u32_f32_e32 v2, v2
	v_cvt_u32_f32_e32 v1, v1
	v_ashrrev_i32_e32 v3, 31, v0
	v_xor_b32_e32 v0, v2, v3
	v_xor_b32_e32 v1, v1, v3
	v_sub_co_u32_e32 v0, vcc, v0, v3
	v_subb_co_u32_e32 v1, vcc, v1, v3, vcc
.LBB126_2275:
	global_store_dwordx2 v[4:5], v[0:1], off
	s_mov_b64 s[0:1], 0
.LBB126_2276:
	s_and_b64 vcc, exec, s[0:1]
	s_cbranch_vccz .LBB126_2285
; %bb.2277:
	v_mov_b32_e32 v0, 0x80
	v_cmp_lt_i16_sdwa s[0:1], s11, v0 src0_sel:BYTE_0 src1_sel:DWORD
	s_and_b64 vcc, exec, s[0:1]
	s_cbranch_vccnz .LBB126_2279
; %bb.2278:
	v_cmp_ne_u16_sdwa s[0:1], s11, v0 src0_sel:BYTE_0 src1_sel:DWORD
	s_mov_b64 s[2:3], 0
	s_mov_b32 s4, 0
	s_branch .LBB126_2280
.LBB126_2279:
	s_mov_b64 s[2:3], -1
	s_mov_b64 s[0:1], 0
                                        ; implicit-def: $sgpr4
.LBB126_2280:
	s_andn2_b64 vcc, exec, s[2:3]
	s_cbranch_vccnz .LBB126_2282
; %bb.2281:
	v_mov_b32_e32 v0, 0
	s_mov_b32 s4, 0
	v_cmp_ne_u16_sdwa s[0:1], s11, v0 src0_sel:BYTE_0 src1_sel:DWORD
.LBB126_2282:
	s_andn2_b64 vcc, exec, s[0:1]
	v_mov_b32_e32 v0, s4
	s_cbranch_vccnz .LBB126_2284
; %bb.2283:
	s_and_b32 s1, s11, 3
	s_flbit_i32_b32 s3, s1
	s_min_u32 s3, s3, 32
	v_lshrrev_b16_e64 v0, 2, s11
	s_sub_i32 s4, s3, 29
	v_readfirstlane_b32 s2, v0
	s_lshl_b32 s4, s11, s4
	s_lshl_b32 s0, s11, 24
	s_and_b32 s2, s2, 31
	s_sub_i32 s3, 30, s3
	s_and_b32 s4, s4, 3
	s_cmp_eq_u32 s2, 0
	s_cselect_b32 s2, s3, s2
	s_cselect_b32 s1, s4, s1
	s_lshl_b32 s2, s2, 23
	s_and_b32 s0, s0, 0x80000000
	s_add_i32 s2, s2, 0x37800000
	s_lshl_b32 s1, s1, 21
	s_or_b32 s0, s0, s2
	s_or_b32 s0, s0, s1
	v_cvt_i32_f32_e32 v0, s0
.LBB126_2284:
	global_store_dword v[4:5], v0, off
.LBB126_2285:
	s_mov_b64 s[0:1], 0
.LBB126_2286:
	s_andn2_b64 vcc, exec, s[0:1]
	s_cbranch_vccnz .LBB126_2289
; %bb.2287:
	v_mov_b32_e32 v0, 0x80
	v_cmp_lt_i16_sdwa s[0:1], s11, v0 src0_sel:BYTE_0 src1_sel:DWORD
	s_and_b64 vcc, exec, s[0:1]
	s_cbranch_vccnz .LBB126_2294
; %bb.2288:
	v_cmp_ne_u16_sdwa s[0:1], s11, v0 src0_sel:BYTE_0 src1_sel:DWORD
	s_mov_b64 s[2:3], 0
	s_mov_b32 s4, 0
	s_branch .LBB126_2295
.LBB126_2289:
	s_mov_b64 s[0:1], 0
.LBB126_2290:
	s_andn2_b64 vcc, exec, s[0:1]
	s_cbranch_vccnz .LBB126_2311
.LBB126_2291:
	v_cmp_lt_i16_e32 vcc, 0, v12
	s_mov_b64 s[0:1], -1
	s_cbranch_vccz .LBB126_2306
; %bb.2292:
	v_mov_b32_e32 v0, 0x80
	v_cmp_lt_i16_sdwa s[0:1], s11, v0 src0_sel:BYTE_0 src1_sel:DWORD
	s_and_b64 vcc, exec, s[0:1]
	s_cbranch_vccnz .LBB126_2300
; %bb.2293:
	v_cmp_ne_u16_sdwa s[0:1], s11, v0 src0_sel:BYTE_0 src1_sel:DWORD
	s_mov_b64 s[2:3], 0
	s_mov_b32 s4, 0
	s_branch .LBB126_2301
.LBB126_2294:
	s_mov_b64 s[2:3], -1
	s_mov_b64 s[0:1], 0
                                        ; implicit-def: $sgpr4
.LBB126_2295:
	s_andn2_b64 vcc, exec, s[2:3]
	s_cbranch_vccnz .LBB126_2297
; %bb.2296:
	v_mov_b32_e32 v0, 0
	s_mov_b32 s4, 0
	v_cmp_ne_u16_sdwa s[0:1], s11, v0 src0_sel:BYTE_0 src1_sel:DWORD
.LBB126_2297:
	s_andn2_b64 vcc, exec, s[0:1]
	v_mov_b32_e32 v0, s4
	s_cbranch_vccnz .LBB126_2299
; %bb.2298:
	s_and_b32 s1, s11, 3
	s_flbit_i32_b32 s3, s1
	s_min_u32 s3, s3, 32
	v_lshrrev_b16_e64 v0, 2, s11
	s_sub_i32 s4, s3, 29
	v_readfirstlane_b32 s2, v0
	s_lshl_b32 s4, s11, s4
	s_lshl_b32 s0, s11, 24
	s_and_b32 s2, s2, 31
	s_sub_i32 s3, 30, s3
	s_and_b32 s4, s4, 3
	s_cmp_eq_u32 s2, 0
	s_cselect_b32 s2, s3, s2
	s_cselect_b32 s1, s4, s1
	s_lshl_b32 s2, s2, 23
	s_and_b32 s0, s0, 0x80000000
	s_add_i32 s2, s2, 0x37800000
	s_lshl_b32 s1, s1, 21
	s_or_b32 s0, s0, s2
	s_or_b32 s0, s0, s1
	v_cvt_i32_f32_e32 v0, s0
.LBB126_2299:
	global_store_short v[4:5], v0, off
	s_cbranch_execnz .LBB126_2311
	s_branch .LBB126_2291
.LBB126_2300:
	s_mov_b64 s[2:3], -1
	s_mov_b64 s[0:1], 0
                                        ; implicit-def: $sgpr4
.LBB126_2301:
	s_andn2_b64 vcc, exec, s[2:3]
	s_cbranch_vccnz .LBB126_2303
; %bb.2302:
	v_mov_b32_e32 v0, 0
	s_mov_b32 s4, 0
	v_cmp_ne_u16_sdwa s[0:1], s11, v0 src0_sel:BYTE_0 src1_sel:DWORD
.LBB126_2303:
	s_andn2_b64 vcc, exec, s[0:1]
	v_mov_b32_e32 v0, s4
	s_cbranch_vccnz .LBB126_2305
; %bb.2304:
	s_and_b32 s1, s11, 3
	s_flbit_i32_b32 s3, s1
	s_min_u32 s3, s3, 32
	v_lshrrev_b16_e64 v0, 2, s11
	s_sub_i32 s4, s3, 29
	v_readfirstlane_b32 s2, v0
	s_lshl_b32 s4, s11, s4
	s_lshl_b32 s0, s11, 24
	s_and_b32 s2, s2, 31
	s_sub_i32 s3, 30, s3
	s_and_b32 s4, s4, 3
	s_cmp_eq_u32 s2, 0
	s_cselect_b32 s2, s3, s2
	s_cselect_b32 s1, s4, s1
	s_lshl_b32 s2, s2, 23
	s_and_b32 s0, s0, 0x80000000
	s_add_i32 s2, s2, 0x37800000
	s_lshl_b32 s1, s1, 21
	s_or_b32 s0, s0, s2
	s_or_b32 s0, s0, s1
	v_cvt_i32_f32_e32 v0, s0
.LBB126_2305:
	global_store_byte v[4:5], v0, off
	s_mov_b64 s[0:1], 0
.LBB126_2306:
	s_and_b64 vcc, exec, s[0:1]
	s_cbranch_vccz .LBB126_2311
; %bb.2307:
	v_mov_b32_e32 v0, 0x80
	v_cmp_lt_i16_sdwa s[0:1], s11, v0 src0_sel:BYTE_0 src1_sel:DWORD
	s_and_b64 vcc, exec, s[0:1]
	s_cbranch_vccnz .LBB126_2312
; %bb.2308:
	v_cmp_ne_u16_sdwa s[0:1], s11, v0 src0_sel:BYTE_0 src1_sel:DWORD
	s_mov_b32 s4, 0
	s_cbranch_execz .LBB126_2313
; %bb.2309:
	s_andn2_b64 vcc, exec, s[0:1]
	v_mov_b32_e32 v0, s4
	s_cbranch_vccnz .LBB126_2314
.LBB126_2310:
	s_and_b32 s1, s11, 3
	s_flbit_i32_b32 s3, s1
	s_min_u32 s3, s3, 32
	v_lshrrev_b16_e64 v0, 2, s11
	s_sub_i32 s4, s3, 29
	v_readfirstlane_b32 s2, v0
	s_lshl_b32 s4, s11, s4
	s_lshl_b32 s0, s11, 24
	s_and_b32 s2, s2, 31
	s_sub_i32 s3, 30, s3
	s_and_b32 s4, s4, 3
	s_cmp_eq_u32 s2, 0
	s_cselect_b32 s2, s3, s2
	s_cselect_b32 s1, s4, s1
	s_lshl_b32 s2, s2, 23
	s_and_b32 s0, s0, 0x80000000
	s_add_i32 s2, s2, 0x37800000
	s_lshl_b32 s1, s1, 21
	s_or_b32 s0, s0, s2
	s_or_b32 s0, s0, s1
	v_trunc_f32_e32 v0, s0
	s_mov_b32 s0, 0x2f800000
	v_mul_f32_e64 v1, |v0|, s0
	v_floor_f32_e32 v1, v1
	s_mov_b32 s0, 0xcf800000
	v_fma_f32 v1, v1, s0, |v0|
	v_cvt_u32_f32_e32 v1, v1
	v_ashrrev_i32_e32 v0, 31, v0
	v_xor_b32_e32 v1, v1, v0
	v_sub_u32_e32 v0, v1, v0
	global_store_byte v[4:5], v0, off
	s_endpgm
.LBB126_2311:
	s_endpgm
.LBB126_2312:
	s_mov_b64 s[0:1], 0
                                        ; implicit-def: $sgpr4
.LBB126_2313:
	v_mov_b32_e32 v0, 0
	s_mov_b32 s4, 0
	v_cmp_ne_u16_sdwa s[0:1], s11, v0 src0_sel:BYTE_0 src1_sel:DWORD
	s_andn2_b64 vcc, exec, s[0:1]
	v_mov_b32_e32 v0, s4
	s_cbranch_vccz .LBB126_2310
.LBB126_2314:
	global_store_byte v[4:5], v0, off
	s_endpgm
.LBB126_2315:
	s_mov_b64 s[0:1], -1
                                        ; implicit-def: $sgpr10
.LBB126_2316:
	s_mov_b64 s[12:13], 0
.LBB126_2317:
	s_and_b64 vcc, exec, s[12:13]
	s_cbranch_vccz .LBB126_2319
; %bb.2318:
	v_mov_b32_e32 v0, 0
	s_mov_b32 s10, 0
	v_cmp_ne_u16_sdwa s[0:1], s11, v0 src0_sel:BYTE_0 src1_sel:DWORD
.LBB126_2319:
	s_andn2_b64 vcc, exec, s[0:1]
	s_cbranch_vccnz .LBB126_2321
; %bb.2320:
	s_and_b32 s1, s11, 3
	s_flbit_i32_b32 s12, s1
	s_min_u32 s12, s12, 32
	v_lshrrev_b16_e64 v0, 2, s11
	s_sub_i32 s13, s12, 29
	v_readfirstlane_b32 s10, v0
	s_lshl_b32 s13, s11, s13
	s_lshl_b32 s0, s11, 24
	s_and_b32 s10, s10, 31
	s_sub_i32 s12, 30, s12
	s_and_b32 s13, s13, 3
	s_cmp_eq_u32 s10, 0
	s_cselect_b32 s10, s12, s10
	s_cselect_b32 s1, s13, s1
	s_lshl_b32 s10, s10, 23
	s_and_b32 s0, s0, 0x80000000
	s_add_i32 s10, s10, 0x37800000
	s_lshl_b32 s1, s1, 21
	s_or_b32 s0, s0, s10
	s_or_b32 s10, s0, s1
.LBB126_2321:
	s_bfe_u32 s0, s10, 0x10010
	s_add_i32 s0, s10, s0
	s_addk_i32 s0, 0x7fff
	s_lshr_b32 s12, s0, 16
	v_cmp_o_f32_e64 s[0:1], s10, s10
	s_and_b64 s[0:1], s[0:1], exec
	s_cselect_b32 s0, s12, 0x7fc0
	v_mov_b32_e32 v0, s0
	global_store_dword v[4:5], v0, off
	s_mov_b64 s[0:1], 0
.LBB126_2322:
	s_mov_b64 s[12:13], 0
.LBB126_2323:
	s_and_b64 vcc, exec, s[12:13]
	s_cbranch_vccz .LBB126_2336
; %bb.2324:
	v_cmp_eq_u16_e32 vcc, 44, v12
	s_mov_b64 s[0:1], -1
	s_cbranch_vccz .LBB126_2336
; %bb.2325:
	v_mov_b32_e32 v0, 0xff
	v_and_b32_e32 v0, s11, v0
	s_movk_i32 s0, 0x80
	v_cmp_gt_i16_e32 vcc, s0, v0
	v_readfirstlane_b32 s14, v0
	s_cbranch_vccnz .LBB126_2328
; %bb.2326:
	v_mov_b32_e32 v0, 0x80
	v_cmp_eq_u16_e32 vcc, s14, v0
	s_cbranch_vccz .LBB126_2329
; %bb.2327:
	s_mov_b64 s[0:1], 0
	s_mov_b32 s10, 0x7f800001
	s_branch .LBB126_2330
.LBB126_2328:
	s_mov_b64 s[12:13], -1
	s_mov_b64 s[0:1], 0
                                        ; implicit-def: $sgpr10
	s_branch .LBB126_2331
.LBB126_2329:
	s_mov_b64 s[0:1], -1
                                        ; implicit-def: $sgpr10
.LBB126_2330:
	s_mov_b64 s[12:13], 0
.LBB126_2331:
	s_and_b64 vcc, exec, s[12:13]
	s_cbranch_vccz .LBB126_2341
; %bb.2332:
	s_and_b32 s10, 0xffff, s14
	v_cmp_ne_u16_e64 s[0:1], s14, 0
	s_andn2_b64 vcc, exec, s[0:1]
	s_cbranch_vccz .LBB126_2342
.LBB126_2333:
	s_bfe_u32 s0, s10, 0x80017
	s_cmpk_eq_i32 s0, 0xff
	v_mov_b32_e32 v0, 0xff
	s_cbranch_scc1 .LBB126_2335
.LBB126_2334:
	s_lshr_b32 s14, s10, 23
	s_bitcmp1_b32 s10, 22
	s_cselect_b64 s[12:13], -1, 0
	s_and_b32 s1, s10, 0x3fffff
	s_or_b32 s0, s0, s1
	s_cmp_lg_u32 s0, 0
	s_cselect_b64 s[0:1], -1, 0
	s_and_b64 s[0:1], s[12:13], s[0:1]
	v_cndmask_b32_e64 v0, 0, 1, s[0:1]
	v_add_u32_e32 v0, s14, v0
.LBB126_2335:
	global_store_byte v[4:5], v0, off
	s_mov_b64 s[0:1], 0
.LBB126_2336:
	s_mov_b64 s[12:13], 0
.LBB126_2337:
	s_and_b64 vcc, exec, s[12:13]
	s_cbranch_vccz .LBB126_2349
; %bb.2338:
	v_cmp_eq_u16_e32 vcc, 29, v12
	s_mov_b64 s[0:1], -1
	s_cbranch_vccz .LBB126_2349
; %bb.2339:
	v_mov_b32_e32 v0, 0x80
	v_cmp_lt_i16_sdwa s[0:1], s11, v0 src0_sel:BYTE_0 src1_sel:DWORD
	s_and_b64 vcc, exec, s[0:1]
	s_cbranch_vccnz .LBB126_2343
; %bb.2340:
	v_cmp_ne_u16_sdwa s[0:1], s11, v0 src0_sel:BYTE_0 src1_sel:DWORD
	s_mov_b64 s[14:15], 0
	s_mov_b64 s[12:13], 0
	s_branch .LBB126_2344
.LBB126_2341:
	s_andn2_b64 vcc, exec, s[0:1]
	s_cbranch_vccnz .LBB126_2333
.LBB126_2342:
	s_and_b32 s0, s11, 3
	s_flbit_i32_b32 s10, s0
	s_min_u32 s10, s10, 32
	v_lshrrev_b16_e64 v0, 2, s11
	s_sub_i32 s12, s10, 29
	v_readfirstlane_b32 s1, v0
	s_lshl_b32 s12, s11, s12
	s_and_b32 s1, s1, 31
	s_sub_i32 s10, 30, s10
	s_and_b32 s12, s12, 3
	s_cmp_eq_u32 s1, 0
	s_cselect_b32 s1, s10, s1
	s_cselect_b32 s0, s12, s0
	s_lshl_b32 s0, s0, 21
	s_lshl_b32 s1, s1, 23
	s_or_b32 s0, s1, s0
	s_add_i32 s10, s0, 0x37800000
	s_bfe_u32 s0, s10, 0x80017
	s_cmpk_eq_i32 s0, 0xff
	v_mov_b32_e32 v0, 0xff
	s_cbranch_scc0 .LBB126_2334
	s_branch .LBB126_2335
.LBB126_2343:
	s_mov_b64 s[14:15], -1
	s_mov_b64 s[0:1], 0
                                        ; implicit-def: $sgpr12_sgpr13
.LBB126_2344:
	s_andn2_b64 vcc, exec, s[14:15]
	s_cbranch_vccnz .LBB126_2346
; %bb.2345:
	v_mov_b32_e32 v0, 0
	v_cmp_ne_u16_sdwa s[0:1], s11, v0 src0_sel:BYTE_0 src1_sel:DWORD
	s_mov_b64 s[12:13], 0
.LBB126_2346:
	s_andn2_b64 vcc, exec, s[0:1]
	v_pk_mov_b32 v[0:1], s[12:13], s[12:13] op_sel:[0,1]
	s_cbranch_vccnz .LBB126_2348
; %bb.2347:
	s_and_b32 s1, s11, 3
	s_flbit_i32_b32 s12, s1
	s_min_u32 s12, s12, 32
	v_lshrrev_b16_e64 v0, 2, s11
	s_sub_i32 s13, s12, 29
	v_readfirstlane_b32 s10, v0
	s_lshl_b32 s13, s11, s13
	s_lshl_b32 s0, s11, 24
	s_and_b32 s10, s10, 31
	s_sub_i32 s12, 30, s12
	s_and_b32 s13, s13, 3
	s_cmp_eq_u32 s10, 0
	s_cselect_b32 s10, s12, s10
	s_cselect_b32 s1, s13, s1
	s_lshl_b32 s10, s10, 23
	s_and_b32 s0, s0, 0x80000000
	s_add_i32 s10, s10, 0x37800000
	s_lshl_b32 s1, s1, 21
	s_or_b32 s0, s0, s10
	s_or_b32 s0, s0, s1
	v_trunc_f32_e32 v0, s0
	v_mul_f32_e32 v1, 0x2f800000, v0
	v_floor_f32_e32 v1, v1
	v_fmac_f32_e32 v0, 0xcf800000, v1
	v_cvt_u32_f32_e32 v0, v0
	v_cvt_u32_f32_e32 v1, v1
.LBB126_2348:
	global_store_dwordx2 v[4:5], v[0:1], off
	s_mov_b64 s[0:1], 0
.LBB126_2349:
	s_mov_b64 s[12:13], 0
.LBB126_2350:
	s_and_b64 vcc, exec, s[12:13]
	s_cbranch_vccz .LBB126_2391
; %bb.2351:
	v_cmp_gt_i16_e32 vcc, 27, v12
	s_mov_b64 s[12:13], -1
	s_cbranch_vccnz .LBB126_2371
; %bb.2352:
	v_cmp_lt_i16_e32 vcc, 27, v12
	s_cbranch_vccz .LBB126_2361
; %bb.2353:
	v_mov_b32_e32 v0, 0x80
	v_cmp_lt_i16_sdwa s[12:13], s11, v0 src0_sel:BYTE_0 src1_sel:DWORD
	s_and_b64 vcc, exec, s[12:13]
	s_cbranch_vccnz .LBB126_2355
; %bb.2354:
	v_cmp_ne_u16_sdwa s[12:13], s11, v0 src0_sel:BYTE_0 src1_sel:DWORD
	s_mov_b64 s[14:15], 0
	s_mov_b32 s10, 0
	s_branch .LBB126_2356
.LBB126_2355:
	s_mov_b64 s[14:15], -1
	s_mov_b64 s[12:13], 0
                                        ; implicit-def: $sgpr10
.LBB126_2356:
	s_andn2_b64 vcc, exec, s[14:15]
	s_cbranch_vccnz .LBB126_2358
; %bb.2357:
	v_mov_b32_e32 v0, 0
	s_mov_b32 s10, 0
	v_cmp_ne_u16_sdwa s[12:13], s11, v0 src0_sel:BYTE_0 src1_sel:DWORD
.LBB126_2358:
	s_andn2_b64 vcc, exec, s[12:13]
	v_mov_b32_e32 v0, s10
	s_cbranch_vccnz .LBB126_2360
; %bb.2359:
	s_and_b32 s12, s11, 3
	s_flbit_i32_b32 s14, s12
	s_min_u32 s14, s14, 32
	v_lshrrev_b16_e64 v0, 2, s11
	s_sub_i32 s15, s14, 29
	v_readfirstlane_b32 s13, v0
	s_lshl_b32 s15, s11, s15
	s_lshl_b32 s10, s11, 24
	s_and_b32 s13, s13, 31
	s_sub_i32 s14, 30, s14
	s_and_b32 s15, s15, 3
	s_cmp_eq_u32 s13, 0
	s_cselect_b32 s13, s14, s13
	s_cselect_b32 s12, s15, s12
	s_lshl_b32 s13, s13, 23
	s_and_b32 s10, s10, 0x80000000
	s_add_i32 s13, s13, 0x37800000
	s_lshl_b32 s12, s12, 21
	s_or_b32 s10, s10, s13
	s_or_b32 s10, s10, s12
	v_cvt_u32_f32_e32 v0, s10
.LBB126_2360:
	global_store_dword v[4:5], v0, off
	s_mov_b64 s[12:13], 0
.LBB126_2361:
	s_and_b64 vcc, exec, s[12:13]
	s_cbranch_vccz .LBB126_2370
; %bb.2362:
	v_mov_b32_e32 v0, 0x80
	v_cmp_lt_i16_sdwa s[12:13], s11, v0 src0_sel:BYTE_0 src1_sel:DWORD
	s_and_b64 vcc, exec, s[12:13]
	s_cbranch_vccnz .LBB126_2364
; %bb.2363:
	v_cmp_ne_u16_sdwa s[12:13], s11, v0 src0_sel:BYTE_0 src1_sel:DWORD
	s_mov_b64 s[14:15], 0
	s_mov_b32 s10, 0
	s_branch .LBB126_2365
.LBB126_2364:
	s_mov_b64 s[14:15], -1
	s_mov_b64 s[12:13], 0
                                        ; implicit-def: $sgpr10
.LBB126_2365:
	s_andn2_b64 vcc, exec, s[14:15]
	s_cbranch_vccnz .LBB126_2367
; %bb.2366:
	v_mov_b32_e32 v0, 0
	s_mov_b32 s10, 0
	v_cmp_ne_u16_sdwa s[12:13], s11, v0 src0_sel:BYTE_0 src1_sel:DWORD
.LBB126_2367:
	s_andn2_b64 vcc, exec, s[12:13]
	v_mov_b32_e32 v0, s10
	s_cbranch_vccnz .LBB126_2369
; %bb.2368:
	s_and_b32 s12, s11, 3
	s_flbit_i32_b32 s14, s12
	s_min_u32 s14, s14, 32
	v_lshrrev_b16_e64 v0, 2, s11
	s_sub_i32 s15, s14, 29
	v_readfirstlane_b32 s13, v0
	s_lshl_b32 s15, s11, s15
	s_lshl_b32 s10, s11, 24
	s_and_b32 s13, s13, 31
	s_sub_i32 s14, 30, s14
	s_and_b32 s15, s15, 3
	s_cmp_eq_u32 s13, 0
	s_cselect_b32 s13, s14, s13
	s_cselect_b32 s12, s15, s12
	s_lshl_b32 s13, s13, 23
	s_and_b32 s10, s10, 0x80000000
	s_add_i32 s13, s13, 0x37800000
	s_lshl_b32 s12, s12, 21
	s_or_b32 s10, s10, s13
	s_or_b32 s10, s10, s12
	v_cvt_u32_f32_e32 v0, s10
.LBB126_2369:
	global_store_short v[4:5], v0, off
.LBB126_2370:
	s_mov_b64 s[12:13], 0
.LBB126_2371:
	s_andn2_b64 vcc, exec, s[12:13]
	s_cbranch_vccnz .LBB126_2391
; %bb.2372:
	v_mov_b32_e32 v0, 0x80
	v_cmp_lt_i16_sdwa s[12:13], s11, v0 src0_sel:BYTE_0 src1_sel:DWORD
	s_and_b64 vcc, exec, s[12:13]
	s_cbranch_vccnz .LBB126_2375
; %bb.2373:
	v_cmp_eq_u16_sdwa s[12:13], s11, v0 src0_sel:BYTE_0 src1_sel:DWORD
	s_and_b64 vcc, exec, s[12:13]
	s_cbranch_vccz .LBB126_2376
; %bb.2374:
	s_mov_b64 s[12:13], 0
	s_mov_b32 s10, 0x7f800001
	s_branch .LBB126_2377
.LBB126_2375:
	s_mov_b64 s[14:15], -1
	s_mov_b64 s[12:13], 0
                                        ; implicit-def: $sgpr10
	s_branch .LBB126_2378
.LBB126_2376:
	s_mov_b64 s[12:13], -1
                                        ; implicit-def: $sgpr10
.LBB126_2377:
	s_mov_b64 s[14:15], 0
.LBB126_2378:
	s_and_b64 vcc, exec, s[14:15]
	s_cbranch_vccz .LBB126_2381
; %bb.2379:
	v_mov_b32_e32 v0, 0
	s_mov_b32 s10, 0
	v_cmp_ne_u16_sdwa s[12:13], s11, v0 src0_sel:BYTE_0 src1_sel:DWORD
	s_andn2_b64 vcc, exec, s[12:13]
	s_cbranch_vccz .LBB126_2382
.LBB126_2380:
	s_and_b32 s12, s10, 0x7fffffff
	s_cmp_gt_u32 s12, 0x437fffff
	v_mov_b32_e32 v1, 0x80
	s_cbranch_scc0 .LBB126_2383
	s_branch .LBB126_2390
.LBB126_2381:
	s_andn2_b64 vcc, exec, s[12:13]
	s_cbranch_vccnz .LBB126_2380
.LBB126_2382:
	s_and_b32 s12, s11, 3
	s_flbit_i32_b32 s14, s12
	s_min_u32 s14, s14, 32
	v_lshrrev_b16_e64 v0, 2, s11
	s_sub_i32 s15, s14, 29
	v_readfirstlane_b32 s13, v0
	s_lshl_b32 s15, s11, s15
	s_lshl_b32 s10, s11, 24
	s_and_b32 s13, s13, 31
	s_sub_i32 s14, 30, s14
	s_and_b32 s15, s15, 3
	s_cmp_eq_u32 s13, 0
	s_cselect_b32 s13, s14, s13
	s_cselect_b32 s12, s15, s12
	s_lshl_b32 s13, s13, 23
	s_and_b32 s10, s10, 0x80000000
	s_add_i32 s13, s13, 0x37800000
	s_lshl_b32 s12, s12, 21
	s_or_b32 s10, s10, s13
	s_or_b32 s10, s10, s12
	s_and_b32 s12, s10, 0x7fffffff
	s_cmp_gt_u32 s12, 0x437fffff
	v_mov_b32_e32 v1, 0x80
	s_cbranch_scc1 .LBB126_2390
.LBB126_2383:
	s_cmp_gt_u32 s12, 0x3bffffff
	s_cbranch_scc0 .LBB126_2385
; %bb.2384:
	s_bfe_u32 s12, s10, 0x10014
	s_add_i32 s12, s10, s12
	s_add_i32 s12, s12, 0x487ffff
	s_lshr_b32 s16, s12, 20
	s_mov_b64 s[14:15], 0
	s_mov_b64 s[12:13], -1
	s_branch .LBB126_2386
.LBB126_2385:
	s_mov_b64 s[14:15], -1
	s_mov_b64 s[12:13], 0
                                        ; implicit-def: $sgpr16
.LBB126_2386:
	s_andn2_b64 vcc, exec, s[14:15]
	v_mov_b32_e32 v0, s16
                                        ; implicit-def: $sgpr14
	s_cbranch_vccnz .LBB126_2388
; %bb.2387:
	v_mov_b32_e32 v0, 0x46000000
	v_add_f32_e64 v0, |s10|, v0
	v_and_b32_e32 v0, 0xff, v0
	s_mov_b32 s14, 0
	v_cmp_ne_u32_e64 s[12:13], 0, v0
.LBB126_2388:
	s_andn2_b64 vcc, exec, s[12:13]
	v_mov_b32_e32 v1, s14
	s_cbranch_vccnz .LBB126_2390
; %bb.2389:
	s_lshr_b32 s10, s10, 24
	s_and_b32 s10, s10, 0x80
	v_or_b32_e32 v1, s10, v0
.LBB126_2390:
	global_store_byte v[4:5], v1, off
.LBB126_2391:
	s_mov_b64 s[12:13], 0
.LBB126_2392:
	s_and_b64 vcc, exec, s[12:13]
	s_cbranch_vccz .LBB126_2460
; %bb.2393:
	v_cmp_lt_i16_e32 vcc, 22, v12
	s_mov_b64 s[8:9], -1
	s_cbranch_vccz .LBB126_2443
; %bb.2394:
	v_cmp_gt_i16_e32 vcc, 24, v12
	s_cbranch_vccnz .LBB126_2420
; %bb.2395:
	v_cmp_lt_i16_e32 vcc, 24, v12
	s_cbranch_vccz .LBB126_2397
; %bb.2396:
	v_mov_b32_e32 v0, s11
	global_store_byte v[4:5], v0, off
	s_mov_b64 s[8:9], 0
.LBB126_2397:
	s_andn2_b64 vcc, exec, s[8:9]
	s_cbranch_vccnz .LBB126_2419
; %bb.2398:
	v_mov_b32_e32 v0, 0x80
	v_cmp_lt_i16_sdwa s[8:9], s11, v0 src0_sel:BYTE_0 src1_sel:DWORD
	s_and_b64 vcc, exec, s[8:9]
	s_cbranch_vccnz .LBB126_2401
; %bb.2399:
	v_cmp_eq_u16_sdwa s[8:9], s11, v0 src0_sel:BYTE_0 src1_sel:DWORD
	s_and_b64 vcc, exec, s[8:9]
	s_cbranch_vccz .LBB126_2402
; %bb.2400:
	s_mov_b64 s[8:9], 0
	s_mov_b32 s10, 0x7f800001
	s_branch .LBB126_2403
.LBB126_2401:
	s_mov_b64 s[12:13], -1
	s_mov_b64 s[8:9], 0
                                        ; implicit-def: $sgpr10
	s_branch .LBB126_2404
.LBB126_2402:
	s_mov_b64 s[8:9], -1
                                        ; implicit-def: $sgpr10
.LBB126_2403:
	s_mov_b64 s[12:13], 0
.LBB126_2404:
	s_and_b64 vcc, exec, s[12:13]
	s_cbranch_vccz .LBB126_2409
; %bb.2405:
	v_mov_b32_e32 v0, 0
	s_mov_b32 s10, 0
	v_cmp_ne_u16_sdwa s[8:9], s11, v0 src0_sel:BYTE_0 src1_sel:DWORD
	s_andn2_b64 vcc, exec, s[8:9]
	s_cbranch_vccz .LBB126_2410
.LBB126_2406:
	s_and_b32 s12, s10, 0x7fffffff
	s_cmp_lt_u32 s12, 0x43f00000
	s_cbranch_scc0 .LBB126_2411
.LBB126_2407:
	s_cmp_gt_u32 s12, 0x3c7fffff
	s_cbranch_scc0 .LBB126_2412
; %bb.2408:
	s_bfe_u32 s8, s10, 0x10014
	s_add_i32 s8, s10, s8
	s_add_i32 s8, s8, 0x407ffff
	s_lshr_b32 s9, s8, 20
	s_and_b32 s8, s8, 0xff00000
	s_cmp_lg_u32 s8, 0x7f00000
	s_cselect_b32 s13, s9, 0x7e
	s_mov_b64 s[8:9], 0
	s_branch .LBB126_2413
.LBB126_2409:
	s_andn2_b64 vcc, exec, s[8:9]
	s_cbranch_vccnz .LBB126_2406
.LBB126_2410:
	s_and_b32 s9, s11, 3
	s_flbit_i32_b32 s12, s9
	s_min_u32 s12, s12, 32
	v_lshrrev_b16_e64 v0, 2, s11
	s_sub_i32 s13, s12, 29
	v_readfirstlane_b32 s10, v0
	s_lshl_b32 s13, s11, s13
	s_lshl_b32 s8, s11, 24
	s_and_b32 s10, s10, 31
	s_sub_i32 s12, 30, s12
	s_and_b32 s13, s13, 3
	s_cmp_eq_u32 s10, 0
	s_cselect_b32 s10, s12, s10
	s_cselect_b32 s9, s13, s9
	s_lshl_b32 s10, s10, 23
	s_and_b32 s8, s8, 0x80000000
	s_add_i32 s10, s10, 0x37800000
	s_lshl_b32 s9, s9, 21
	s_or_b32 s8, s8, s10
	s_or_b32 s10, s8, s9
	s_and_b32 s12, s10, 0x7fffffff
	s_cmp_lt_u32 s12, 0x43f00000
	s_cbranch_scc1 .LBB126_2407
.LBB126_2411:
	s_mov_b64 s[8:9], -1
                                        ; implicit-def: $vgpr0
	s_branch .LBB126_2416
.LBB126_2412:
	s_mov_b64 s[8:9], -1
                                        ; implicit-def: $sgpr13
.LBB126_2413:
	s_andn2_b64 vcc, exec, s[8:9]
	v_mov_b32_e32 v0, s13
	s_cbranch_vccnz .LBB126_2415
; %bb.2414:
	v_mov_b32_e32 v0, 0x46800000
	v_add_f32_e64 v0, |s10|, v0
.LBB126_2415:
	s_mov_b64 s[8:9], 0
.LBB126_2416:
	s_andn2_b64 vcc, exec, s[8:9]
	s_cbranch_vccnz .LBB126_2418
; %bb.2417:
	s_cmp_gt_u32 s12, 0x7f800000
	s_movk_i32 s8, 0x7f
	s_cselect_b32 s8, s8, 0x7e
	v_mov_b32_e32 v0, s8
.LBB126_2418:
	s_lshr_b32 s8, s10, 24
	s_and_b32 s8, s8, 0x80
	v_or_b32_e32 v0, s8, v0
	global_store_byte v[4:5], v0, off
.LBB126_2419:
	s_mov_b64 s[8:9], 0
.LBB126_2420:
	s_andn2_b64 vcc, exec, s[8:9]
	s_cbranch_vccnz .LBB126_2442
; %bb.2421:
	v_mov_b32_e32 v0, 0x80
	v_cmp_lt_i16_sdwa s[8:9], s11, v0 src0_sel:BYTE_0 src1_sel:DWORD
	s_and_b64 vcc, exec, s[8:9]
	s_cbranch_vccnz .LBB126_2424
; %bb.2422:
	v_cmp_eq_u16_sdwa s[8:9], s11, v0 src0_sel:BYTE_0 src1_sel:DWORD
	s_and_b64 vcc, exec, s[8:9]
	s_cbranch_vccz .LBB126_2425
; %bb.2423:
	s_mov_b64 s[8:9], 0
	s_mov_b32 s10, 0x7f800001
	s_branch .LBB126_2426
.LBB126_2424:
	s_mov_b64 s[12:13], -1
	s_mov_b64 s[8:9], 0
                                        ; implicit-def: $sgpr10
	s_branch .LBB126_2427
.LBB126_2425:
	s_mov_b64 s[8:9], -1
                                        ; implicit-def: $sgpr10
.LBB126_2426:
	s_mov_b64 s[12:13], 0
.LBB126_2427:
	s_and_b64 vcc, exec, s[12:13]
	s_cbranch_vccz .LBB126_2432
; %bb.2428:
	v_mov_b32_e32 v0, 0
	s_mov_b32 s10, 0
	v_cmp_ne_u16_sdwa s[8:9], s11, v0 src0_sel:BYTE_0 src1_sel:DWORD
	s_andn2_b64 vcc, exec, s[8:9]
	s_cbranch_vccz .LBB126_2433
.LBB126_2429:
	s_and_b32 s12, s10, 0x7fffffff
	s_cmp_lt_u32 s12, 0x47800000
	s_cbranch_scc0 .LBB126_2434
.LBB126_2430:
	s_cmp_gt_u32 s12, 0x387fffff
	s_cbranch_scc0 .LBB126_2435
; %bb.2431:
	s_bfe_u32 s8, s10, 0x10015
	s_add_i32 s8, s10, s8
	s_add_i32 s8, s8, 0x80fffff
	s_lshr_b32 s13, s8, 21
	s_mov_b64 s[8:9], 0
	s_branch .LBB126_2436
.LBB126_2432:
	s_andn2_b64 vcc, exec, s[8:9]
	s_cbranch_vccnz .LBB126_2429
.LBB126_2433:
	s_and_b32 s9, s11, 3
	s_flbit_i32_b32 s12, s9
	s_min_u32 s12, s12, 32
	v_lshrrev_b16_e64 v0, 2, s11
	s_sub_i32 s13, s12, 29
	v_readfirstlane_b32 s10, v0
	s_lshl_b32 s13, s11, s13
	s_lshl_b32 s8, s11, 24
	s_and_b32 s10, s10, 31
	s_sub_i32 s12, 30, s12
	s_and_b32 s13, s13, 3
	s_cmp_eq_u32 s10, 0
	s_cselect_b32 s10, s12, s10
	s_cselect_b32 s9, s13, s9
	s_lshl_b32 s10, s10, 23
	s_and_b32 s8, s8, 0x80000000
	s_add_i32 s10, s10, 0x37800000
	s_lshl_b32 s9, s9, 21
	s_or_b32 s8, s8, s10
	s_or_b32 s10, s8, s9
	s_and_b32 s12, s10, 0x7fffffff
	s_cmp_lt_u32 s12, 0x47800000
	s_cbranch_scc1 .LBB126_2430
.LBB126_2434:
	s_mov_b64 s[8:9], -1
                                        ; implicit-def: $vgpr0
	s_branch .LBB126_2439
.LBB126_2435:
	s_mov_b64 s[8:9], -1
                                        ; implicit-def: $sgpr13
.LBB126_2436:
	s_andn2_b64 vcc, exec, s[8:9]
	v_mov_b32_e32 v0, s13
	s_cbranch_vccnz .LBB126_2438
; %bb.2437:
	v_mov_b32_e32 v0, 0x43000000
	v_add_f32_e64 v0, |s10|, v0
.LBB126_2438:
	s_mov_b64 s[8:9], 0
.LBB126_2439:
	s_andn2_b64 vcc, exec, s[8:9]
	s_cbranch_vccnz .LBB126_2441
; %bb.2440:
	s_cmp_gt_u32 s12, 0x7f800000
	s_movk_i32 s8, 0x7f
	s_cselect_b32 s8, s8, 0x7c
	v_mov_b32_e32 v0, s8
.LBB126_2441:
	s_lshr_b32 s8, s10, 24
	s_and_b32 s8, s8, 0x80
	v_or_b32_e32 v0, s8, v0
	global_store_byte v[4:5], v0, off
.LBB126_2442:
	s_mov_b64 s[8:9], 0
.LBB126_2443:
	s_andn2_b64 vcc, exec, s[8:9]
	s_mov_b64 s[8:9], 0
	s_cbranch_vccnz .LBB126_2460
; %bb.2444:
	v_cmp_lt_i16_e32 vcc, 14, v12
	s_mov_b64 s[12:13], -1
	s_cbranch_vccz .LBB126_2458
; %bb.2445:
	v_cmp_eq_u16_e32 vcc, 15, v12
	s_mov_b64 s[0:1], -1
	s_cbranch_vccz .LBB126_2457
; %bb.2446:
	v_mov_b32_e32 v0, 0x80
	v_cmp_lt_i16_sdwa s[0:1], s11, v0 src0_sel:BYTE_0 src1_sel:DWORD
	s_and_b64 vcc, exec, s[0:1]
	s_cbranch_vccnz .LBB126_2449
; %bb.2447:
	v_cmp_eq_u16_sdwa s[0:1], s11, v0 src0_sel:BYTE_0 src1_sel:DWORD
	s_and_b64 vcc, exec, s[0:1]
	s_cbranch_vccz .LBB126_2450
; %bb.2448:
	s_mov_b64 s[0:1], 0
	s_mov_b32 s10, 0x7f800001
	s_branch .LBB126_2452
.LBB126_2449:
	s_mov_b64 s[8:9], -1
	s_mov_b64 s[0:1], 0
	s_branch .LBB126_2451
.LBB126_2450:
	s_mov_b64 s[0:1], -1
.LBB126_2451:
                                        ; implicit-def: $sgpr10
.LBB126_2452:
	s_and_b64 vcc, exec, s[8:9]
	s_cbranch_vccz .LBB126_2454
; %bb.2453:
	v_mov_b32_e32 v0, 0
	s_mov_b32 s10, 0
	v_cmp_ne_u16_sdwa s[0:1], s11, v0 src0_sel:BYTE_0 src1_sel:DWORD
.LBB126_2454:
	s_andn2_b64 vcc, exec, s[0:1]
	s_cbranch_vccnz .LBB126_2456
; %bb.2455:
	s_and_b32 s1, s11, 3
	s_flbit_i32_b32 s9, s1
	s_min_u32 s9, s9, 32
	v_lshrrev_b16_e64 v0, 2, s11
	s_sub_i32 s10, s9, 29
	v_readfirstlane_b32 s8, v0
	s_lshl_b32 s10, s11, s10
	s_lshl_b32 s0, s11, 24
	s_and_b32 s8, s8, 31
	s_sub_i32 s9, 30, s9
	s_and_b32 s10, s10, 3
	s_cmp_eq_u32 s8, 0
	s_cselect_b32 s8, s9, s8
	s_cselect_b32 s1, s10, s1
	s_lshl_b32 s8, s8, 23
	s_and_b32 s0, s0, 0x80000000
	s_add_i32 s8, s8, 0x37800000
	s_lshl_b32 s1, s1, 21
	s_or_b32 s0, s0, s8
	s_or_b32 s10, s0, s1
.LBB126_2456:
	s_bfe_u32 s0, s10, 0x10010
	s_add_i32 s0, s10, s0
	s_addk_i32 s0, 0x7fff
	s_lshr_b32 s8, s0, 16
	v_cmp_o_f32_e64 s[0:1], s10, s10
	s_and_b64 s[0:1], s[0:1], exec
	s_cselect_b32 s0, s8, 0x7fc0
	v_mov_b32_e32 v0, s0
	global_store_short v[4:5], v0, off
	s_mov_b64 s[0:1], 0
.LBB126_2457:
	s_mov_b64 s[12:13], 0
.LBB126_2458:
	s_mov_b64 s[8:9], 0
	s_and_b64 vcc, exec, s[12:13]
	s_cbranch_vccz .LBB126_2460
; %bb.2459:
	v_cmp_ne_u16_e64 s[0:1], 11, v12
	s_mov_b64 s[8:9], -1
.LBB126_2460:
	s_and_b64 vcc, exec, s[0:1]
	s_cbranch_vccnz .LBB126_2462
.LBB126_2461:
	s_mov_b64 s[0:1], 0
	s_branch .LBB126_2169
.LBB126_2462:
	s_mov_b64 s[8:9], 0
	s_or_b64 s[6:7], s[6:7], exec
	s_trap 2
	s_branch .LBB126_2461
	.section	.rodata,"a",@progbits
	.p2align	6, 0x0
	.amdhsa_kernel _ZN2at6native32elementwise_kernel_manual_unrollILi128ELi4EZNS0_15gpu_kernel_implINS0_11FillFunctorIN3c1015Float8_e5m2fnuzEEEEEvRNS_18TensorIteratorBaseERKT_EUlibE_EEviT1_
		.amdhsa_group_segment_fixed_size 0
		.amdhsa_private_segment_fixed_size 0
		.amdhsa_kernarg_size 24
		.amdhsa_user_sgpr_count 6
		.amdhsa_user_sgpr_private_segment_buffer 1
		.amdhsa_user_sgpr_dispatch_ptr 0
		.amdhsa_user_sgpr_queue_ptr 0
		.amdhsa_user_sgpr_kernarg_segment_ptr 1
		.amdhsa_user_sgpr_dispatch_id 0
		.amdhsa_user_sgpr_flat_scratch_init 0
		.amdhsa_user_sgpr_kernarg_preload_length 0
		.amdhsa_user_sgpr_kernarg_preload_offset 0
		.amdhsa_user_sgpr_private_segment_size 0
		.amdhsa_uses_dynamic_stack 0
		.amdhsa_system_sgpr_private_segment_wavefront_offset 0
		.amdhsa_system_sgpr_workgroup_id_x 1
		.amdhsa_system_sgpr_workgroup_id_y 0
		.amdhsa_system_sgpr_workgroup_id_z 0
		.amdhsa_system_sgpr_workgroup_info 0
		.amdhsa_system_vgpr_workitem_id 0
		.amdhsa_next_free_vgpr 17
		.amdhsa_next_free_sgpr 35
		.amdhsa_accum_offset 20
		.amdhsa_reserve_vcc 1
		.amdhsa_reserve_flat_scratch 0
		.amdhsa_float_round_mode_32 0
		.amdhsa_float_round_mode_16_64 0
		.amdhsa_float_denorm_mode_32 3
		.amdhsa_float_denorm_mode_16_64 3
		.amdhsa_dx10_clamp 1
		.amdhsa_ieee_mode 1
		.amdhsa_fp16_overflow 0
		.amdhsa_tg_split 0
		.amdhsa_exception_fp_ieee_invalid_op 0
		.amdhsa_exception_fp_denorm_src 0
		.amdhsa_exception_fp_ieee_div_zero 0
		.amdhsa_exception_fp_ieee_overflow 0
		.amdhsa_exception_fp_ieee_underflow 0
		.amdhsa_exception_fp_ieee_inexact 0
		.amdhsa_exception_int_div_zero 0
	.end_amdhsa_kernel
	.section	.text._ZN2at6native32elementwise_kernel_manual_unrollILi128ELi4EZNS0_15gpu_kernel_implINS0_11FillFunctorIN3c1015Float8_e5m2fnuzEEEEEvRNS_18TensorIteratorBaseERKT_EUlibE_EEviT1_,"axG",@progbits,_ZN2at6native32elementwise_kernel_manual_unrollILi128ELi4EZNS0_15gpu_kernel_implINS0_11FillFunctorIN3c1015Float8_e5m2fnuzEEEEEvRNS_18TensorIteratorBaseERKT_EUlibE_EEviT1_,comdat
.Lfunc_end126:
	.size	_ZN2at6native32elementwise_kernel_manual_unrollILi128ELi4EZNS0_15gpu_kernel_implINS0_11FillFunctorIN3c1015Float8_e5m2fnuzEEEEEvRNS_18TensorIteratorBaseERKT_EUlibE_EEviT1_, .Lfunc_end126-_ZN2at6native32elementwise_kernel_manual_unrollILi128ELi4EZNS0_15gpu_kernel_implINS0_11FillFunctorIN3c1015Float8_e5m2fnuzEEEEEvRNS_18TensorIteratorBaseERKT_EUlibE_EEviT1_
                                        ; -- End function
	.section	.AMDGPU.csdata,"",@progbits
; Kernel info:
; codeLenInByte = 40004
; NumSgprs: 39
; NumVgprs: 17
; NumAgprs: 0
; TotalNumVgprs: 17
; ScratchSize: 0
; MemoryBound: 0
; FloatMode: 240
; IeeeMode: 1
; LDSByteSize: 0 bytes/workgroup (compile time only)
; SGPRBlocks: 4
; VGPRBlocks: 2
; NumSGPRsForWavesPerEU: 39
; NumVGPRsForWavesPerEU: 17
; AccumOffset: 20
; Occupancy: 8
; WaveLimiterHint : 0
; COMPUTE_PGM_RSRC2:SCRATCH_EN: 0
; COMPUTE_PGM_RSRC2:USER_SGPR: 6
; COMPUTE_PGM_RSRC2:TRAP_HANDLER: 0
; COMPUTE_PGM_RSRC2:TGID_X_EN: 1
; COMPUTE_PGM_RSRC2:TGID_Y_EN: 0
; COMPUTE_PGM_RSRC2:TGID_Z_EN: 0
; COMPUTE_PGM_RSRC2:TIDIG_COMP_CNT: 0
; COMPUTE_PGM_RSRC3_GFX90A:ACCUM_OFFSET: 4
; COMPUTE_PGM_RSRC3_GFX90A:TG_SPLIT: 0
	.section	.text._ZN2at6native32elementwise_kernel_manual_unrollILi128ELi4EZNS0_15gpu_kernel_implINS0_11FillFunctorIN3c1015Float8_e5m2fnuzEEEEEvRNS_18TensorIteratorBaseERKT_EUlibE0_EEviT1_,"axG",@progbits,_ZN2at6native32elementwise_kernel_manual_unrollILi128ELi4EZNS0_15gpu_kernel_implINS0_11FillFunctorIN3c1015Float8_e5m2fnuzEEEEEvRNS_18TensorIteratorBaseERKT_EUlibE0_EEviT1_,comdat
	.protected	_ZN2at6native32elementwise_kernel_manual_unrollILi128ELi4EZNS0_15gpu_kernel_implINS0_11FillFunctorIN3c1015Float8_e5m2fnuzEEEEEvRNS_18TensorIteratorBaseERKT_EUlibE0_EEviT1_ ; -- Begin function _ZN2at6native32elementwise_kernel_manual_unrollILi128ELi4EZNS0_15gpu_kernel_implINS0_11FillFunctorIN3c1015Float8_e5m2fnuzEEEEEvRNS_18TensorIteratorBaseERKT_EUlibE0_EEviT1_
	.globl	_ZN2at6native32elementwise_kernel_manual_unrollILi128ELi4EZNS0_15gpu_kernel_implINS0_11FillFunctorIN3c1015Float8_e5m2fnuzEEEEEvRNS_18TensorIteratorBaseERKT_EUlibE0_EEviT1_
	.p2align	8
	.type	_ZN2at6native32elementwise_kernel_manual_unrollILi128ELi4EZNS0_15gpu_kernel_implINS0_11FillFunctorIN3c1015Float8_e5m2fnuzEEEEEvRNS_18TensorIteratorBaseERKT_EUlibE0_EEviT1_,@function
_ZN2at6native32elementwise_kernel_manual_unrollILi128ELi4EZNS0_15gpu_kernel_implINS0_11FillFunctorIN3c1015Float8_e5m2fnuzEEEEEvRNS_18TensorIteratorBaseERKT_EUlibE0_EEviT1_: ; @_ZN2at6native32elementwise_kernel_manual_unrollILi128ELi4EZNS0_15gpu_kernel_implINS0_11FillFunctorIN3c1015Float8_e5m2fnuzEEEEEvRNS_18TensorIteratorBaseERKT_EUlibE0_EEviT1_
; %bb.0:
	s_load_dword s64, s[4:5], 0x0
	s_load_dword s33, s[4:5], 0x8
	s_or_b32 s24, s4, 8
	v_lshl_or_b32 v15, s6, 9, v0
	v_or_b32_e32 v2, 0x180, v15
	s_mov_b32 s25, s5
	s_waitcnt lgkmcnt(0)
	s_add_i32 s60, s33, -1
	s_cmp_gt_u32 s60, 1
	v_cmp_le_i32_e32 vcc, s64, v2
	s_cselect_b64 s[30:31], -1, 0
	s_mov_b64 s[28:29], 0
	s_mov_b64 s[6:7], 0
	s_and_saveexec_b64 s[0:1], vcc
	s_xor_b64 s[26:27], exec, s[0:1]
	s_cbranch_execz .LBB127_1300
; %bb.1:
	s_cmp_lg_u32 s33, 0
	s_cselect_b64 s[44:45], -1, 0
	s_add_u32 s42, s24, 0xc4
	s_load_dwordx2 s[36:37], s[24:25], 0xc4
	s_load_dwordx2 s[34:35], s[24:25], 0x108
	s_load_dword s61, s[24:25], 0x110
	s_load_dwordx4 s[0:3], s[24:25], 0x4
	s_load_dwordx2 s[38:39], s[24:25], 0x14
	s_addc_u32 s43, s25, 0
	s_min_u32 s65, s60, 15
	s_cmp_gt_u32 s33, 1
	s_cselect_b64 s[40:41], -1, 0
	s_waitcnt lgkmcnt(0)
	s_and_b32 s7, s61, 3
	s_flbit_i32_b32 s9, s7
	s_min_u32 s9, s9, 32
	s_and_b32 s6, s61, 0xffff
	s_sub_i32 s10, s9, 29
	s_lshl_b32 s6, s6, s10
	s_bfe_u32 s8, s61, 0x50002
	s_sub_i32 s9, 30, s9
	s_and_b32 s6, s6, 3
	s_cmp_eq_u32 s8, 0
	s_cselect_b32 s8, s9, s8
	s_cselect_b32 s6, s6, s7
	s_lshl_b32 s7, s61, 24
	s_lshl_b32 s8, s8, 23
	s_and_b32 s7, s7, 0x80000000
	s_add_i32 s8, s8, 0x37800000
	s_lshl_b32 s6, s6, 21
	s_or_b32 s7, s7, s8
	s_or_b32 s62, s7, s6
	v_trunc_f32_e32 v0, s62
	v_mul_f32_e32 v1, 0x2f800000, v0
	s_mov_b32 s9, 0x2f800000
	v_floor_f32_e32 v1, v1
	v_mov_b32_e32 v2, v0
	v_fmac_f32_e32 v2, 0xcf800000, v1
	v_cvt_u32_f32_e32 v9, v1
	v_mul_f32_e64 v1, |v0|, s9
	s_mov_b32 s10, 0xcf800000
	v_floor_f32_e32 v1, v1
	v_cvt_u32_f32_e32 v8, v2
	v_fma_f32 v2, v1, s10, |v0|
	v_cvt_u32_f32_e32 v2, v2
	v_cvt_u32_f32_e32 v1, v1
	v_ashrrev_i32_e32 v0, 31, v0
	v_cvt_u32_f32_e32 v16, s62
	s_and_b32 s7, s8, 0x7f800000
	v_cvt_f16_f32_e32 v14, s62
	v_xor_b32_e32 v2, v2, v0
	v_cvt_i32_f32_e32 v12, s62
	s_or_b32 s63, s6, s8
	s_or_b32 s6, s7, s6
	v_xor_b32_e32 v1, v1, v0
	v_sub_co_u32_e32 v4, vcc, v2, v0
	s_cmp_lg_u32 s6, 0
	v_subb_co_u32_e32 v5, vcc, v1, v0, vcc
	v_lshrrev_b16_e64 v13, 8, s61
	s_cselect_b64 s[6:7], -1, 0
	v_cvt_f64_f32_e32 v[6:7], s62
	v_cmp_gt_i32_e32 vcc, s64, v15
	s_mov_b64 s[10:11], -1
	s_mov_b64 s[52:53], 0
	s_mov_b64 s[46:47], 0
	s_and_saveexec_b64 s[48:49], vcc
	s_cbranch_execz .LBB127_324
; %bb.2:
	s_andn2_b64 vcc, exec, s[30:31]
	s_cbranch_vccnz .LBB127_7
; %bb.3:
	s_andn2_b64 vcc, exec, s[44:45]
	s_cbranch_vccnz .LBB127_8
; %bb.4:
	s_add_i32 s55, s65, 1
	s_mov_b32 s54, 0
	s_cmp_eq_u32 s60, 2
	v_mov_b32_e32 v0, 0
	s_cbranch_scc1 .LBB127_9
; %bb.5:
	s_and_b32 s54, s55, 28
	s_mov_b32 s56, 0
	v_mov_b32_e32 v0, 0
	s_mov_b64 s[46:47], s[24:25]
	s_mov_b64 s[50:51], s[42:43]
	v_mov_b32_e32 v2, v15
.LBB127_6:                              ; =>This Inner Loop Header: Depth=1
	s_load_dwordx8 s[8:15], s[46:47], 0x4
	s_load_dwordx4 s[16:19], s[46:47], 0x24
	s_load_dwordx4 s[20:23], s[50:51], 0x0
	s_add_u32 s46, s46, 48
	s_addc_u32 s47, s47, 0
	s_waitcnt lgkmcnt(0)
	v_mul_hi_u32 v1, s9, v2
	v_add_u32_e32 v1, v2, v1
	v_lshrrev_b32_e32 v1, s10, v1
	v_mul_lo_u32 v3, v1, s8
	v_mul_hi_u32 v10, s12, v1
	v_sub_u32_e32 v2, v2, v3
	v_add_u32_e32 v3, v1, v10
	v_lshrrev_b32_e32 v3, s13, v3
	v_mul_lo_u32 v10, v3, s11
	v_mul_hi_u32 v11, s15, v3
	v_sub_u32_e32 v1, v1, v10
	v_add_u32_e32 v10, v3, v11
	v_mul_lo_u32 v2, v2, s20
	v_mul_lo_u32 v1, v1, s21
	v_lshrrev_b32_e32 v10, s16, v10
	v_add3_u32 v0, v2, v0, v1
	v_mul_hi_u32 v2, s18, v10
	v_add_u32_e32 v2, v10, v2
	v_mul_lo_u32 v1, v10, s14
	v_lshrrev_b32_e32 v2, s19, v2
	s_add_i32 s56, s56, 4
	v_sub_u32_e32 v1, v3, v1
	v_mul_lo_u32 v3, v2, s17
	s_add_u32 s50, s50, 16
	v_sub_u32_e32 v3, v10, v3
	s_addc_u32 s51, s51, 0
	v_mul_lo_u32 v1, v1, s22
	v_mul_lo_u32 v3, v3, s23
	s_cmp_lg_u32 s54, s56
	v_add3_u32 v0, v1, v0, v3
	s_cbranch_scc1 .LBB127_6
	s_branch .LBB127_10
.LBB127_7:
                                        ; implicit-def: $vgpr0
	s_branch .LBB127_14
.LBB127_8:
	v_mov_b32_e32 v0, 0
	s_branch .LBB127_13
.LBB127_9:
	v_mov_b32_e32 v2, v15
.LBB127_10:
	s_and_b32 s12, s55, 3
	s_cmp_eq_u32 s12, 0
	s_cbranch_scc1 .LBB127_13
; %bb.11:
	s_lshl_b32 s8, s54, 2
	s_add_u32 s8, s8, s24
	s_addc_u32 s9, s25, 0
	s_add_u32 s8, s8, 0xc4
	s_addc_u32 s9, s9, 0
	s_mul_i32 s10, s54, 12
	s_add_u32 s10, s24, s10
	s_addc_u32 s11, s25, 0
.LBB127_12:                             ; =>This Inner Loop Header: Depth=1
	s_load_dwordx2 s[14:15], s[10:11], 0x4
	s_load_dword s13, s[10:11], 0xc
	s_load_dword s16, s[8:9], 0x0
	s_add_u32 s10, s10, 12
	s_addc_u32 s11, s11, 0
	s_waitcnt lgkmcnt(0)
	v_mul_hi_u32 v1, s15, v2
	v_add_u32_e32 v1, v2, v1
	v_lshrrev_b32_e32 v1, s13, v1
	s_add_u32 s8, s8, 4
	v_mul_lo_u32 v3, v1, s14
	s_addc_u32 s9, s9, 0
	s_add_i32 s12, s12, -1
	v_sub_u32_e32 v3, v2, v3
	s_cmp_lg_u32 s12, 0
	v_mov_b32_e32 v2, v1
	v_mad_u64_u32 v[0:1], s[14:15], v3, s16, v[0:1]
	s_cbranch_scc1 .LBB127_12
.LBB127_13:
	s_cbranch_execnz .LBB127_16
.LBB127_14:
	v_mul_hi_u32 v0, s1, v15
	v_add_u32_e32 v0, v15, v0
	v_lshrrev_b32_e32 v1, s2, v0
	v_mul_lo_u32 v0, v1, s0
	v_sub_u32_e32 v0, v15, v0
	s_andn2_b64 vcc, exec, s[40:41]
	v_mul_lo_u32 v0, v0, s36
	s_cbranch_vccnz .LBB127_16
; %bb.15:
	v_mul_hi_u32 v2, s38, v1
	v_add_u32_e32 v2, v1, v2
	v_lshrrev_b32_e32 v2, s39, v2
	v_mul_lo_u32 v2, v2, s3
	v_sub_u32_e32 v1, v1, v2
	v_mad_u64_u32 v[0:1], s[8:9], v1, s37, v[0:1]
.LBB127_16:
	v_mov_b32_e32 v1, s35
	v_add_co_u32_e32 v10, vcc, s34, v0
	v_addc_co_u32_e32 v11, vcc, 0, v1, vcc
	v_cmp_gt_i16_e32 vcc, 11, v13
	s_cbranch_vccnz .LBB127_25
; %bb.17:
	v_cmp_lt_i16_e32 vcc, 25, v13
	s_cbranch_vccz .LBB127_28
; %bb.18:
	v_cmp_lt_i16_e32 vcc, 28, v13
	s_cbranch_vccz .LBB127_29
; %bb.19:
	v_cmp_lt_i16_e32 vcc, 43, v13
	s_cbranch_vccz .LBB127_30
; %bb.20:
	v_cmp_lt_i16_e32 vcc, 45, v13
	s_cbranch_vccz .LBB127_31
; %bb.21:
	v_cmp_eq_u16_e32 vcc, 46, v13
	s_mov_b64 s[12:13], 0
	s_mov_b64 s[8:9], -1
	s_mov_b64 s[10:11], 0
	s_cbranch_vccz .LBB127_40
; %bb.22:
	v_mov_b32_e32 v0, 0x80
	v_cmp_lt_i16_sdwa s[8:9], s61, v0 src0_sel:BYTE_0 src1_sel:DWORD
	s_and_b64 vcc, exec, s[8:9]
	s_cbranch_vccnz .LBB127_32
; %bb.23:
	v_cmp_eq_u16_sdwa s[8:9], s61, v0 src0_sel:BYTE_0 src1_sel:DWORD
	s_and_b64 vcc, exec, s[8:9]
	s_cbranch_vccz .LBB127_33
; %bb.24:
	s_mov_b64 s[8:9], 0
	s_mov_b32 s14, 0x7f800001
	s_branch .LBB127_35
.LBB127_25:
	s_mov_b64 s[8:9], 0
	s_mov_b64 s[10:11], 0
	s_cbranch_execnz .LBB127_189
.LBB127_26:
	s_andn2_b64 vcc, exec, s[10:11]
	s_cbranch_vccnz .LBB127_322
.LBB127_27:
	v_add_u32_e32 v15, 0x80, v15
	s_mov_b64 s[10:11], -1
	s_branch .LBB127_323
.LBB127_28:
	s_mov_b64 s[8:9], 0
	s_mov_b64 s[10:11], 0
	s_cbranch_execnz .LBB127_110
	s_branch .LBB127_188
.LBB127_29:
	s_mov_b64 s[12:13], -1
	s_mov_b64 s[8:9], 0
	s_mov_b64 s[10:11], 0
	s_branch .LBB127_67
.LBB127_30:
	s_mov_b64 s[12:13], -1
	s_mov_b64 s[8:9], 0
	s_mov_b64 s[10:11], 0
	s_branch .LBB127_54
.LBB127_31:
	s_mov_b64 s[12:13], -1
	s_mov_b64 s[8:9], 0
	s_mov_b64 s[10:11], 0
	s_branch .LBB127_40
.LBB127_32:
	s_mov_b64 s[10:11], -1
	s_mov_b64 s[8:9], 0
	s_branch .LBB127_34
.LBB127_33:
	s_mov_b64 s[8:9], -1
.LBB127_34:
                                        ; implicit-def: $sgpr14
.LBB127_35:
	s_and_b64 vcc, exec, s[10:11]
	s_cbranch_vccz .LBB127_37
; %bb.36:
	v_mov_b32_e32 v0, 0
	s_mov_b32 s14, 0
	v_cmp_ne_u16_sdwa s[8:9], s61, v0 src0_sel:BYTE_0 src1_sel:DWORD
.LBB127_37:
	s_andn2_b64 vcc, exec, s[8:9]
	s_cbranch_vccnz .LBB127_39
; %bb.38:
	s_mov_b32 s14, s62
.LBB127_39:
	s_bfe_u32 s8, s14, 0x10010
	s_add_i32 s8, s14, s8
	s_addk_i32 s8, 0x7fff
	s_lshr_b32 s10, s8, 16
	v_cmp_o_f32_e64 s[8:9], s14, s14
	s_and_b64 s[8:9], s[8:9], exec
	s_cselect_b32 s8, s10, 0x7fc0
	v_mov_b32_e32 v0, s8
	global_store_dword v[10:11], v0, off
	s_mov_b64 s[10:11], -1
	s_mov_b64 s[8:9], 0
.LBB127_40:
	s_and_b64 vcc, exec, s[12:13]
	s_cbranch_vccz .LBB127_53
; %bb.41:
	v_cmp_eq_u16_e32 vcc, 44, v13
	s_mov_b64 s[8:9], -1
	s_cbranch_vccz .LBB127_53
; %bb.42:
	v_mov_b32_e32 v0, 0xff
	v_and_b32_e32 v0, s61, v0
	s_movk_i32 s8, 0x80
	v_cmp_gt_i16_e32 vcc, s8, v0
	v_readfirstlane_b32 s13, v0
	s_cbranch_vccnz .LBB127_45
; %bb.43:
	v_mov_b32_e32 v0, 0x80
	v_cmp_eq_u16_e32 vcc, s13, v0
	s_cbranch_vccz .LBB127_46
; %bb.44:
	s_mov_b64 s[8:9], 0
	s_mov_b32 s12, 0x7f800001
	s_branch .LBB127_47
.LBB127_45:
	s_mov_b64 s[10:11], -1
	s_mov_b64 s[8:9], 0
                                        ; implicit-def: $sgpr12
	s_branch .LBB127_48
.LBB127_46:
	s_mov_b64 s[8:9], -1
                                        ; implicit-def: $sgpr12
.LBB127_47:
	s_mov_b64 s[10:11], 0
.LBB127_48:
	s_and_b64 vcc, exec, s[10:11]
	s_cbranch_vccz .LBB127_58
; %bb.49:
	s_and_b32 s12, 0xffff, s13
	v_cmp_ne_u16_e64 s[8:9], s13, 0
	s_andn2_b64 vcc, exec, s[8:9]
	s_cbranch_vccz .LBB127_59
.LBB127_50:
	s_bfe_u32 s8, s12, 0x80017
	s_cmpk_eq_i32 s8, 0xff
	v_mov_b32_e32 v0, 0xff
	s_cbranch_scc1 .LBB127_52
.LBB127_51:
	s_lshr_b32 s13, s12, 23
	s_bitcmp1_b32 s12, 22
	s_cselect_b64 s[10:11], -1, 0
	s_and_b32 s9, s12, 0x3fffff
	s_or_b32 s8, s8, s9
	s_cmp_lg_u32 s8, 0
	s_cselect_b64 s[8:9], -1, 0
	s_and_b64 s[8:9], s[10:11], s[8:9]
	v_cndmask_b32_e64 v0, 0, 1, s[8:9]
	v_add_u32_e32 v0, s13, v0
.LBB127_52:
	s_mov_b64 s[10:11], -1
	s_mov_b64 s[8:9], 0
	global_store_byte v[10:11], v0, off
.LBB127_53:
	s_mov_b64 s[12:13], 0
.LBB127_54:
	s_and_b64 vcc, exec, s[12:13]
	s_cbranch_vccz .LBB127_66
; %bb.55:
	v_cmp_eq_u16_e32 vcc, 29, v13
	s_mov_b64 s[8:9], -1
	s_cbranch_vccz .LBB127_66
; %bb.56:
	v_mov_b32_e32 v0, 0x80
	v_cmp_lt_i16_sdwa s[8:9], s61, v0 src0_sel:BYTE_0 src1_sel:DWORD
	s_and_b64 vcc, exec, s[8:9]
	s_cbranch_vccnz .LBB127_60
; %bb.57:
	v_cmp_ne_u16_sdwa s[8:9], s61, v0 src0_sel:BYTE_0 src1_sel:DWORD
	s_mov_b64 s[12:13], 0
	s_mov_b64 s[10:11], 0
	s_branch .LBB127_61
.LBB127_58:
	s_andn2_b64 vcc, exec, s[8:9]
	s_cbranch_vccnz .LBB127_50
.LBB127_59:
	s_mov_b32 s12, s63
	s_bfe_u32 s8, s12, 0x80017
	s_cmpk_eq_i32 s8, 0xff
	v_mov_b32_e32 v0, 0xff
	s_cbranch_scc0 .LBB127_51
	s_branch .LBB127_52
.LBB127_60:
	s_mov_b64 s[12:13], -1
	s_mov_b64 s[8:9], 0
                                        ; implicit-def: $sgpr10_sgpr11
.LBB127_61:
	s_andn2_b64 vcc, exec, s[12:13]
	s_cbranch_vccnz .LBB127_63
; %bb.62:
	v_mov_b32_e32 v0, 0
	v_cmp_ne_u16_sdwa s[8:9], s61, v0 src0_sel:BYTE_0 src1_sel:DWORD
	s_mov_b64 s[10:11], 0
.LBB127_63:
	s_andn2_b64 vcc, exec, s[8:9]
	v_pk_mov_b32 v[0:1], s[10:11], s[10:11] op_sel:[0,1]
	s_cbranch_vccnz .LBB127_65
; %bb.64:
	v_pk_mov_b32 v[0:1], v[8:9], v[8:9] op_sel:[0,1]
.LBB127_65:
	global_store_dwordx2 v[10:11], v[0:1], off
	s_mov_b64 s[10:11], -1
	s_mov_b64 s[8:9], 0
.LBB127_66:
	s_mov_b64 s[12:13], 0
.LBB127_67:
	s_and_b64 vcc, exec, s[12:13]
	s_cbranch_vccz .LBB127_109
; %bb.68:
	v_cmp_gt_i16_e32 vcc, 27, v13
	s_mov_b64 s[10:11], -1
	s_cbranch_vccnz .LBB127_88
; %bb.69:
	v_cmp_lt_i16_e32 vcc, 27, v13
	s_cbranch_vccz .LBB127_78
; %bb.70:
	v_mov_b32_e32 v0, 0x80
	v_cmp_lt_i16_sdwa s[10:11], s61, v0 src0_sel:BYTE_0 src1_sel:DWORD
	s_and_b64 vcc, exec, s[10:11]
	s_cbranch_vccnz .LBB127_72
; %bb.71:
	v_cmp_ne_u16_sdwa s[10:11], s61, v0 src0_sel:BYTE_0 src1_sel:DWORD
	s_mov_b64 s[12:13], 0
	s_mov_b32 s14, 0
	s_branch .LBB127_73
.LBB127_72:
	s_mov_b64 s[12:13], -1
	s_mov_b64 s[10:11], 0
                                        ; implicit-def: $sgpr14
.LBB127_73:
	s_andn2_b64 vcc, exec, s[12:13]
	s_cbranch_vccnz .LBB127_75
; %bb.74:
	v_mov_b32_e32 v0, 0
	s_mov_b32 s14, 0
	v_cmp_ne_u16_sdwa s[10:11], s61, v0 src0_sel:BYTE_0 src1_sel:DWORD
.LBB127_75:
	s_andn2_b64 vcc, exec, s[10:11]
	v_mov_b32_e32 v0, s14
	s_cbranch_vccnz .LBB127_77
; %bb.76:
	v_mov_b32_e32 v0, v16
.LBB127_77:
	global_store_dword v[10:11], v0, off
	s_mov_b64 s[10:11], 0
.LBB127_78:
	s_and_b64 vcc, exec, s[10:11]
	s_cbranch_vccz .LBB127_87
; %bb.79:
	v_mov_b32_e32 v0, 0x80
	v_cmp_lt_i16_sdwa s[10:11], s61, v0 src0_sel:BYTE_0 src1_sel:DWORD
	s_and_b64 vcc, exec, s[10:11]
	s_cbranch_vccnz .LBB127_81
; %bb.80:
	v_cmp_ne_u16_sdwa s[10:11], s61, v0 src0_sel:BYTE_0 src1_sel:DWORD
	s_mov_b64 s[12:13], 0
	s_mov_b32 s14, 0
	s_branch .LBB127_82
.LBB127_81:
	s_mov_b64 s[12:13], -1
	s_mov_b64 s[10:11], 0
                                        ; implicit-def: $sgpr14
.LBB127_82:
	s_andn2_b64 vcc, exec, s[12:13]
	s_cbranch_vccnz .LBB127_84
; %bb.83:
	v_mov_b32_e32 v0, 0
	s_mov_b32 s14, 0
	v_cmp_ne_u16_sdwa s[10:11], s61, v0 src0_sel:BYTE_0 src1_sel:DWORD
.LBB127_84:
	s_andn2_b64 vcc, exec, s[10:11]
	v_mov_b32_e32 v0, s14
	s_cbranch_vccnz .LBB127_86
; %bb.85:
	v_mov_b32_e32 v0, v16
.LBB127_86:
	global_store_short v[10:11], v0, off
.LBB127_87:
	s_mov_b64 s[10:11], 0
.LBB127_88:
	s_andn2_b64 vcc, exec, s[10:11]
	s_cbranch_vccnz .LBB127_108
; %bb.89:
	v_mov_b32_e32 v0, 0x80
	v_cmp_lt_i16_sdwa s[10:11], s61, v0 src0_sel:BYTE_0 src1_sel:DWORD
	s_and_b64 vcc, exec, s[10:11]
	s_cbranch_vccnz .LBB127_92
; %bb.90:
	v_cmp_eq_u16_sdwa s[10:11], s61, v0 src0_sel:BYTE_0 src1_sel:DWORD
	s_and_b64 vcc, exec, s[10:11]
	s_cbranch_vccz .LBB127_93
; %bb.91:
	s_mov_b64 s[10:11], 0
	s_mov_b32 s14, 0x7f800001
	s_branch .LBB127_94
.LBB127_92:
	s_mov_b64 s[12:13], -1
	s_mov_b64 s[10:11], 0
                                        ; implicit-def: $sgpr14
	s_branch .LBB127_95
.LBB127_93:
	s_mov_b64 s[10:11], -1
                                        ; implicit-def: $sgpr14
.LBB127_94:
	s_mov_b64 s[12:13], 0
.LBB127_95:
	s_and_b64 vcc, exec, s[12:13]
	s_cbranch_vccz .LBB127_98
; %bb.96:
	v_mov_b32_e32 v0, 0
	s_mov_b32 s14, 0
	v_cmp_ne_u16_sdwa s[10:11], s61, v0 src0_sel:BYTE_0 src1_sel:DWORD
	s_andn2_b64 vcc, exec, s[10:11]
	s_cbranch_vccz .LBB127_99
.LBB127_97:
	s_and_b32 s10, s14, 0x7fffffff
	s_cmp_gt_u32 s10, 0x437fffff
	v_mov_b32_e32 v1, 0x80
	s_cbranch_scc0 .LBB127_100
	s_branch .LBB127_107
.LBB127_98:
	s_andn2_b64 vcc, exec, s[10:11]
	s_cbranch_vccnz .LBB127_97
.LBB127_99:
	s_mov_b32 s14, s62
	s_and_b32 s10, s14, 0x7fffffff
	s_cmp_gt_u32 s10, 0x437fffff
	v_mov_b32_e32 v1, 0x80
	s_cbranch_scc1 .LBB127_107
.LBB127_100:
	s_cmp_gt_u32 s10, 0x3bffffff
	s_cbranch_scc0 .LBB127_102
; %bb.101:
	s_bfe_u32 s10, s14, 0x10014
	s_add_i32 s10, s14, s10
	s_add_i32 s10, s10, 0x487ffff
	s_lshr_b32 s15, s10, 20
	s_mov_b64 s[12:13], 0
	s_mov_b64 s[10:11], -1
	s_branch .LBB127_103
.LBB127_102:
	s_mov_b64 s[12:13], -1
	s_mov_b64 s[10:11], 0
                                        ; implicit-def: $sgpr15
.LBB127_103:
	s_andn2_b64 vcc, exec, s[12:13]
	v_mov_b32_e32 v0, s15
                                        ; implicit-def: $sgpr12
	s_cbranch_vccnz .LBB127_105
; %bb.104:
	v_mov_b32_e32 v0, 0x46000000
	v_add_f32_e64 v0, |s14|, v0
	v_and_b32_e32 v0, 0xff, v0
	s_mov_b32 s12, 0
	v_cmp_ne_u32_e64 s[10:11], 0, v0
.LBB127_105:
	s_andn2_b64 vcc, exec, s[10:11]
	v_mov_b32_e32 v1, s12
	s_cbranch_vccnz .LBB127_107
; %bb.106:
	s_lshr_b32 s10, s14, 24
	s_and_b32 s10, s10, 0x80
	v_or_b32_e32 v1, s10, v0
.LBB127_107:
	global_store_byte v[10:11], v1, off
.LBB127_108:
	s_mov_b64 s[10:11], -1
.LBB127_109:
	s_branch .LBB127_188
.LBB127_110:
	v_cmp_lt_i16_e32 vcc, 22, v13
	s_mov_b64 s[12:13], -1
	s_cbranch_vccz .LBB127_160
; %bb.111:
	v_cmp_gt_i16_e32 vcc, 24, v13
	s_mov_b64 s[10:11], -1
	s_cbranch_vccnz .LBB127_137
; %bb.112:
	v_cmp_lt_i16_e32 vcc, 24, v13
	s_cbranch_vccz .LBB127_114
; %bb.113:
	v_mov_b32_e32 v0, s61
	global_store_byte v[10:11], v0, off
	s_mov_b64 s[10:11], 0
.LBB127_114:
	s_andn2_b64 vcc, exec, s[10:11]
	s_cbranch_vccnz .LBB127_136
; %bb.115:
	v_mov_b32_e32 v0, 0x80
	v_cmp_lt_i16_sdwa s[10:11], s61, v0 src0_sel:BYTE_0 src1_sel:DWORD
	s_and_b64 vcc, exec, s[10:11]
	s_cbranch_vccnz .LBB127_118
; %bb.116:
	v_cmp_eq_u16_sdwa s[10:11], s61, v0 src0_sel:BYTE_0 src1_sel:DWORD
	s_and_b64 vcc, exec, s[10:11]
	s_cbranch_vccz .LBB127_119
; %bb.117:
	s_mov_b64 s[10:11], 0
	s_mov_b32 s14, 0x7f800001
	s_branch .LBB127_120
.LBB127_118:
	s_mov_b64 s[10:11], 0
                                        ; implicit-def: $sgpr14
	s_branch .LBB127_121
.LBB127_119:
	s_mov_b64 s[10:11], -1
                                        ; implicit-def: $sgpr14
.LBB127_120:
	s_mov_b64 s[12:13], 0
.LBB127_121:
	s_and_b64 vcc, exec, s[12:13]
	s_cbranch_vccz .LBB127_126
; %bb.122:
	v_mov_b32_e32 v0, 0
	s_mov_b32 s14, 0
	v_cmp_ne_u16_sdwa s[10:11], s61, v0 src0_sel:BYTE_0 src1_sel:DWORD
	s_andn2_b64 vcc, exec, s[10:11]
	s_cbranch_vccz .LBB127_127
.LBB127_123:
	s_and_b32 s12, s14, 0x7fffffff
	s_cmp_lt_u32 s12, 0x43f00000
	s_cbranch_scc0 .LBB127_128
.LBB127_124:
	s_cmp_gt_u32 s12, 0x3c7fffff
	s_cbranch_scc0 .LBB127_129
; %bb.125:
	s_bfe_u32 s10, s14, 0x10014
	s_add_i32 s10, s14, s10
	s_add_i32 s10, s10, 0x407ffff
	s_lshr_b32 s11, s10, 20
	s_and_b32 s10, s10, 0xff00000
	s_cmp_lg_u32 s10, 0x7f00000
	s_cselect_b32 s13, s11, 0x7e
	s_mov_b64 s[10:11], 0
	s_branch .LBB127_130
.LBB127_126:
	s_andn2_b64 vcc, exec, s[10:11]
	s_cbranch_vccnz .LBB127_123
.LBB127_127:
	s_mov_b32 s14, s62
	s_and_b32 s12, s14, 0x7fffffff
	s_cmp_lt_u32 s12, 0x43f00000
	s_cbranch_scc1 .LBB127_124
.LBB127_128:
	s_mov_b64 s[10:11], -1
                                        ; implicit-def: $vgpr0
	s_branch .LBB127_133
.LBB127_129:
	s_mov_b64 s[10:11], -1
                                        ; implicit-def: $sgpr13
.LBB127_130:
	s_andn2_b64 vcc, exec, s[10:11]
	v_mov_b32_e32 v0, s13
	s_cbranch_vccnz .LBB127_132
; %bb.131:
	v_mov_b32_e32 v0, 0x46800000
	v_add_f32_e64 v0, |s14|, v0
.LBB127_132:
	s_mov_b64 s[10:11], 0
.LBB127_133:
	s_andn2_b64 vcc, exec, s[10:11]
	s_cbranch_vccnz .LBB127_135
; %bb.134:
	s_cmp_gt_u32 s12, 0x7f800000
	s_movk_i32 s10, 0x7f
	s_cselect_b32 s10, s10, 0x7e
	v_mov_b32_e32 v0, s10
.LBB127_135:
	s_lshr_b32 s10, s14, 24
	s_and_b32 s10, s10, 0x80
	v_or_b32_e32 v0, s10, v0
	global_store_byte v[10:11], v0, off
.LBB127_136:
	s_mov_b64 s[10:11], 0
.LBB127_137:
	s_andn2_b64 vcc, exec, s[10:11]
	s_cbranch_vccnz .LBB127_159
; %bb.138:
	v_mov_b32_e32 v0, 0x80
	v_cmp_lt_i16_sdwa s[10:11], s61, v0 src0_sel:BYTE_0 src1_sel:DWORD
	s_and_b64 vcc, exec, s[10:11]
	s_cbranch_vccnz .LBB127_141
; %bb.139:
	v_cmp_eq_u16_sdwa s[10:11], s61, v0 src0_sel:BYTE_0 src1_sel:DWORD
	s_and_b64 vcc, exec, s[10:11]
	s_cbranch_vccz .LBB127_142
; %bb.140:
	s_mov_b64 s[10:11], 0
	s_mov_b32 s14, 0x7f800001
	s_branch .LBB127_143
.LBB127_141:
	s_mov_b64 s[12:13], -1
	s_mov_b64 s[10:11], 0
                                        ; implicit-def: $sgpr14
	s_branch .LBB127_144
.LBB127_142:
	s_mov_b64 s[10:11], -1
                                        ; implicit-def: $sgpr14
.LBB127_143:
	s_mov_b64 s[12:13], 0
.LBB127_144:
	s_and_b64 vcc, exec, s[12:13]
	s_cbranch_vccz .LBB127_149
; %bb.145:
	v_mov_b32_e32 v0, 0
	s_mov_b32 s14, 0
	v_cmp_ne_u16_sdwa s[10:11], s61, v0 src0_sel:BYTE_0 src1_sel:DWORD
	s_andn2_b64 vcc, exec, s[10:11]
	s_cbranch_vccz .LBB127_150
.LBB127_146:
	s_and_b32 s12, s14, 0x7fffffff
	s_cmp_lt_u32 s12, 0x47800000
	s_cbranch_scc0 .LBB127_151
.LBB127_147:
	s_cmp_gt_u32 s12, 0x387fffff
	s_cbranch_scc0 .LBB127_152
; %bb.148:
	s_bfe_u32 s10, s14, 0x10015
	s_add_i32 s10, s14, s10
	s_add_i32 s10, s10, 0x80fffff
	s_lshr_b32 s13, s10, 21
	s_mov_b64 s[10:11], 0
	s_branch .LBB127_153
.LBB127_149:
	s_andn2_b64 vcc, exec, s[10:11]
	s_cbranch_vccnz .LBB127_146
.LBB127_150:
	s_mov_b32 s14, s62
	s_and_b32 s12, s14, 0x7fffffff
	s_cmp_lt_u32 s12, 0x47800000
	s_cbranch_scc1 .LBB127_147
.LBB127_151:
	s_mov_b64 s[10:11], -1
                                        ; implicit-def: $vgpr0
	s_branch .LBB127_156
.LBB127_152:
	s_mov_b64 s[10:11], -1
                                        ; implicit-def: $sgpr13
.LBB127_153:
	s_andn2_b64 vcc, exec, s[10:11]
	v_mov_b32_e32 v0, s13
	s_cbranch_vccnz .LBB127_155
; %bb.154:
	v_mov_b32_e32 v0, 0x43000000
	v_add_f32_e64 v0, |s14|, v0
.LBB127_155:
	s_mov_b64 s[10:11], 0
.LBB127_156:
	s_andn2_b64 vcc, exec, s[10:11]
	s_cbranch_vccnz .LBB127_158
; %bb.157:
	s_cmp_gt_u32 s12, 0x7f800000
	s_movk_i32 s10, 0x7f
	s_cselect_b32 s10, s10, 0x7c
	v_mov_b32_e32 v0, s10
.LBB127_158:
	s_lshr_b32 s10, s14, 24
	s_and_b32 s10, s10, 0x80
	v_or_b32_e32 v0, s10, v0
	global_store_byte v[10:11], v0, off
.LBB127_159:
	s_mov_b64 s[12:13], 0
	s_mov_b64 s[10:11], -1
.LBB127_160:
	s_andn2_b64 vcc, exec, s[12:13]
	s_cbranch_vccnz .LBB127_188
; %bb.161:
	v_cmp_lt_i16_e32 vcc, 14, v13
	s_mov_b64 s[12:13], -1
	s_cbranch_vccz .LBB127_175
; %bb.162:
	v_cmp_eq_u16_e32 vcc, 15, v13
	s_mov_b64 s[8:9], -1
	s_cbranch_vccz .LBB127_174
; %bb.163:
	v_mov_b32_e32 v0, 0x80
	v_cmp_lt_i16_sdwa s[8:9], s61, v0 src0_sel:BYTE_0 src1_sel:DWORD
	s_and_b64 vcc, exec, s[8:9]
	s_cbranch_vccnz .LBB127_166
; %bb.164:
	v_cmp_eq_u16_sdwa s[8:9], s61, v0 src0_sel:BYTE_0 src1_sel:DWORD
	s_and_b64 vcc, exec, s[8:9]
	s_cbranch_vccz .LBB127_167
; %bb.165:
	s_mov_b64 s[8:9], 0
	s_mov_b32 s12, 0x7f800001
	s_branch .LBB127_168
.LBB127_166:
	s_mov_b64 s[10:11], -1
	s_mov_b64 s[8:9], 0
                                        ; implicit-def: $sgpr12
	s_branch .LBB127_169
.LBB127_167:
	s_mov_b64 s[8:9], -1
                                        ; implicit-def: $sgpr12
.LBB127_168:
	s_mov_b64 s[10:11], 0
.LBB127_169:
	s_and_b64 vcc, exec, s[10:11]
	s_cbranch_vccz .LBB127_171
; %bb.170:
	v_mov_b32_e32 v0, 0
	s_mov_b32 s12, 0
	v_cmp_ne_u16_sdwa s[8:9], s61, v0 src0_sel:BYTE_0 src1_sel:DWORD
.LBB127_171:
	s_andn2_b64 vcc, exec, s[8:9]
	s_cbranch_vccnz .LBB127_173
; %bb.172:
	s_mov_b32 s12, s62
.LBB127_173:
	s_bfe_u32 s8, s12, 0x10010
	s_add_i32 s8, s12, s8
	s_addk_i32 s8, 0x7fff
	s_lshr_b32 s10, s8, 16
	v_cmp_o_f32_e64 s[8:9], s12, s12
	s_and_b64 s[8:9], s[8:9], exec
	s_cselect_b32 s8, s10, 0x7fc0
	v_mov_b32_e32 v0, s8
	global_store_short v[10:11], v0, off
	s_mov_b64 s[10:11], -1
	s_mov_b64 s[8:9], 0
.LBB127_174:
	s_mov_b64 s[12:13], 0
.LBB127_175:
	s_and_b64 vcc, exec, s[12:13]
	s_cbranch_vccz .LBB127_188
; %bb.176:
	v_cmp_eq_u16_e32 vcc, 11, v13
	s_mov_b64 s[8:9], -1
	s_cbranch_vccz .LBB127_188
; %bb.177:
	v_mov_b32_e32 v0, 0x80
	v_cmp_lt_i16_sdwa s[8:9], s61, v0 src0_sel:BYTE_0 src1_sel:DWORD
	s_and_b64 vcc, exec, s[8:9]
	s_cbranch_vccnz .LBB127_180
; %bb.178:
	v_cmp_eq_u16_sdwa s[8:9], s61, v0 src0_sel:BYTE_0 src1_sel:DWORD
	s_and_b64 vcc, exec, s[8:9]
	s_cbranch_vccz .LBB127_181
; %bb.179:
	s_mov_b64 s[10:11], 0
	s_mov_b64 s[8:9], -1
	s_branch .LBB127_182
.LBB127_180:
	s_mov_b64 s[12:13], -1
	s_mov_b64 s[10:11], 0
                                        ; implicit-def: $sgpr8_sgpr9
	s_branch .LBB127_183
.LBB127_181:
	s_mov_b64 s[10:11], -1
                                        ; implicit-def: $sgpr8_sgpr9
.LBB127_182:
	s_mov_b64 s[12:13], 0
.LBB127_183:
	s_and_b64 vcc, exec, s[12:13]
	s_cbranch_vccz .LBB127_185
; %bb.184:
	v_mov_b32_e32 v0, 0
	v_cmp_ne_u16_sdwa s[10:11], s61, v0 src0_sel:BYTE_0 src1_sel:DWORD
	s_mov_b64 s[8:9], 0
.LBB127_185:
	s_andn2_b64 vcc, exec, s[10:11]
	s_cbranch_vccnz .LBB127_187
; %bb.186:
	s_mov_b64 s[8:9], s[6:7]
.LBB127_187:
	v_cndmask_b32_e64 v0, 0, 1, s[8:9]
	global_store_byte v[10:11], v0, off
	s_mov_b64 s[10:11], -1
	s_mov_b64 s[8:9], 0
.LBB127_188:
	s_branch .LBB127_26
.LBB127_189:
	v_cmp_gt_i16_e32 vcc, 5, v13
	s_mov_b64 s[10:11], -1
	s_cbranch_vccnz .LBB127_270
; %bb.190:
	v_cmp_gt_i16_e32 vcc, 8, v13
	s_cbranch_vccnz .LBB127_230
; %bb.191:
	v_cmp_gt_i16_e32 vcc, 9, v13
	s_cbranch_vccnz .LBB127_217
; %bb.192:
	v_cmp_lt_i16_e32 vcc, 9, v13
	s_cbranch_vccz .LBB127_204
; %bb.193:
	v_mov_b32_e32 v0, 0x80
	v_cmp_lt_i16_sdwa s[10:11], s61, v0 src0_sel:BYTE_0 src1_sel:DWORD
	s_and_b64 vcc, exec, s[10:11]
	s_cbranch_vccnz .LBB127_196
; %bb.194:
	v_cmp_eq_u16_sdwa s[10:11], s61, v0 src0_sel:BYTE_0 src1_sel:DWORD
	s_and_b64 vcc, exec, s[10:11]
	s_cbranch_vccz .LBB127_197
; %bb.195:
	s_mov_b64 s[10:11], 0
	s_mov_b32 s13, 0x7ff80000
	s_brev_b32 s12, 4
	s_branch .LBB127_198
.LBB127_196:
	s_mov_b64 s[14:15], -1
	s_mov_b64 s[10:11], 0
                                        ; implicit-def: $sgpr12_sgpr13
	s_branch .LBB127_199
.LBB127_197:
	s_mov_b64 s[10:11], -1
                                        ; implicit-def: $sgpr12_sgpr13
.LBB127_198:
	s_mov_b64 s[14:15], 0
.LBB127_199:
	s_and_b64 vcc, exec, s[14:15]
	s_cbranch_vccz .LBB127_201
; %bb.200:
	v_mov_b32_e32 v0, 0
	v_cmp_ne_u16_sdwa s[10:11], s61, v0 src0_sel:BYTE_0 src1_sel:DWORD
	s_mov_b64 s[12:13], 0
.LBB127_201:
	s_andn2_b64 vcc, exec, s[10:11]
	v_pk_mov_b32 v[0:1], s[12:13], s[12:13] op_sel:[0,1]
	s_cbranch_vccnz .LBB127_203
; %bb.202:
	v_pk_mov_b32 v[0:1], v[6:7], v[6:7] op_sel:[0,1]
.LBB127_203:
	v_mov_b32_e32 v2, 0
	v_mov_b32_e32 v3, v2
	global_store_dwordx4 v[10:11], v[0:3], off
	s_mov_b64 s[10:11], 0
.LBB127_204:
	s_and_b64 vcc, exec, s[10:11]
	s_cbranch_vccz .LBB127_216
; %bb.205:
	v_mov_b32_e32 v0, 0x80
	v_cmp_lt_i16_sdwa s[10:11], s61, v0 src0_sel:BYTE_0 src1_sel:DWORD
	s_and_b64 vcc, exec, s[10:11]
	s_cbranch_vccnz .LBB127_208
; %bb.206:
	v_cmp_eq_u16_sdwa s[10:11], s61, v0 src0_sel:BYTE_0 src1_sel:DWORD
	s_and_b64 vcc, exec, s[10:11]
	s_cbranch_vccz .LBB127_209
; %bb.207:
	s_mov_b64 s[10:11], 0
	s_mov_b32 s14, 0x7f800001
	s_branch .LBB127_210
.LBB127_208:
	s_mov_b64 s[12:13], -1
	s_mov_b64 s[10:11], 0
                                        ; implicit-def: $sgpr14
	s_branch .LBB127_211
.LBB127_209:
	s_mov_b64 s[10:11], -1
                                        ; implicit-def: $sgpr14
.LBB127_210:
	s_mov_b64 s[12:13], 0
.LBB127_211:
	s_and_b64 vcc, exec, s[12:13]
	v_mov_b32_e32 v0, s14
	s_cbranch_vccz .LBB127_213
; %bb.212:
	s_mov_b32 s10, 0xffff
	v_mov_b32_e32 v0, s61
	v_mov_b32_e32 v1, 0
	v_and_b32_sdwa v0, s10, v0 dst_sel:DWORD dst_unused:UNUSED_PAD src0_sel:DWORD src1_sel:BYTE_0
	v_cmp_ne_u16_sdwa s[10:11], s61, v1 src0_sel:BYTE_0 src1_sel:DWORD
.LBB127_213:
	s_andn2_b64 vcc, exec, s[10:11]
	s_cbranch_vccnz .LBB127_215
; %bb.214:
	v_mov_b32_e32 v0, s62
.LBB127_215:
	v_mov_b32_e32 v1, 0
	global_store_dwordx2 v[10:11], v[0:1], off
.LBB127_216:
	s_mov_b64 s[10:11], 0
.LBB127_217:
	s_andn2_b64 vcc, exec, s[10:11]
	s_cbranch_vccnz .LBB127_229
; %bb.218:
	v_mov_b32_e32 v0, 0x80
	v_cmp_lt_i16_sdwa s[10:11], s61, v0 src0_sel:BYTE_0 src1_sel:DWORD
	s_and_b64 vcc, exec, s[10:11]
	s_cbranch_vccnz .LBB127_221
; %bb.219:
	v_cmp_eq_u16_sdwa s[10:11], s61, v0 src0_sel:BYTE_0 src1_sel:DWORD
	s_and_b64 vcc, exec, s[10:11]
	s_cbranch_vccz .LBB127_222
; %bb.220:
	s_mov_b64 s[10:11], 0
	s_movk_i32 s14, 0x7e00
	s_branch .LBB127_223
.LBB127_221:
	s_mov_b64 s[12:13], -1
	s_mov_b64 s[10:11], 0
                                        ; implicit-def: $sgpr14
	s_branch .LBB127_224
.LBB127_222:
	s_mov_b64 s[10:11], -1
                                        ; implicit-def: $sgpr14
.LBB127_223:
	s_mov_b64 s[12:13], 0
.LBB127_224:
	s_and_b64 vcc, exec, s[12:13]
	v_mov_b32_e32 v0, s14
	s_cbranch_vccz .LBB127_226
; %bb.225:
	s_mov_b32 s10, 0xffff
	v_mov_b32_e32 v0, s61
	v_mov_b32_e32 v1, 0
	v_and_b32_sdwa v0, s10, v0 dst_sel:DWORD dst_unused:UNUSED_PAD src0_sel:DWORD src1_sel:BYTE_0
	v_cmp_ne_u16_sdwa s[10:11], s61, v1 src0_sel:BYTE_0 src1_sel:DWORD
.LBB127_226:
	s_andn2_b64 vcc, exec, s[10:11]
	s_cbranch_vccnz .LBB127_228
; %bb.227:
	v_mov_b32_e32 v0, v14
.LBB127_228:
	global_store_dword v[10:11], v0, off
.LBB127_229:
	s_mov_b64 s[10:11], 0
.LBB127_230:
	s_andn2_b64 vcc, exec, s[10:11]
	s_cbranch_vccnz .LBB127_269
; %bb.231:
	v_cmp_gt_i16_e32 vcc, 6, v13
	s_mov_b64 s[10:11], -1
	s_cbranch_vccnz .LBB127_257
; %bb.232:
	v_cmp_lt_i16_e32 vcc, 6, v13
	s_cbranch_vccz .LBB127_244
; %bb.233:
	v_mov_b32_e32 v0, 0x80
	v_cmp_lt_i16_sdwa s[10:11], s61, v0 src0_sel:BYTE_0 src1_sel:DWORD
	s_and_b64 vcc, exec, s[10:11]
	s_cbranch_vccnz .LBB127_236
; %bb.234:
	v_cmp_eq_u16_sdwa s[10:11], s61, v0 src0_sel:BYTE_0 src1_sel:DWORD
	s_and_b64 vcc, exec, s[10:11]
	s_cbranch_vccz .LBB127_237
; %bb.235:
	s_mov_b64 s[10:11], 0
	s_mov_b32 s13, 0x7ff80000
	s_brev_b32 s12, 4
	s_branch .LBB127_238
.LBB127_236:
	s_mov_b64 s[14:15], -1
	s_mov_b64 s[10:11], 0
                                        ; implicit-def: $sgpr12_sgpr13
	s_branch .LBB127_239
.LBB127_237:
	s_mov_b64 s[10:11], -1
                                        ; implicit-def: $sgpr12_sgpr13
.LBB127_238:
	s_mov_b64 s[14:15], 0
.LBB127_239:
	s_and_b64 vcc, exec, s[14:15]
	s_cbranch_vccz .LBB127_241
; %bb.240:
	v_mov_b32_e32 v0, 0
	v_cmp_ne_u16_sdwa s[10:11], s61, v0 src0_sel:BYTE_0 src1_sel:DWORD
	s_mov_b64 s[12:13], 0
.LBB127_241:
	s_andn2_b64 vcc, exec, s[10:11]
	v_pk_mov_b32 v[0:1], s[12:13], s[12:13] op_sel:[0,1]
	s_cbranch_vccnz .LBB127_243
; %bb.242:
	v_pk_mov_b32 v[0:1], v[6:7], v[6:7] op_sel:[0,1]
.LBB127_243:
	global_store_dwordx2 v[10:11], v[0:1], off
	s_mov_b64 s[10:11], 0
.LBB127_244:
	s_and_b64 vcc, exec, s[10:11]
	s_cbranch_vccz .LBB127_256
; %bb.245:
	v_mov_b32_e32 v0, 0x80
	v_cmp_lt_i16_sdwa s[10:11], s61, v0 src0_sel:BYTE_0 src1_sel:DWORD
	s_and_b64 vcc, exec, s[10:11]
	s_cbranch_vccnz .LBB127_248
; %bb.246:
	v_cmp_eq_u16_sdwa s[10:11], s61, v0 src0_sel:BYTE_0 src1_sel:DWORD
	s_and_b64 vcc, exec, s[10:11]
	s_cbranch_vccz .LBB127_249
; %bb.247:
	s_mov_b64 s[10:11], 0
	s_mov_b32 s14, 0x7f800001
	s_branch .LBB127_250
.LBB127_248:
	s_mov_b64 s[12:13], -1
	s_mov_b64 s[10:11], 0
                                        ; implicit-def: $sgpr14
	s_branch .LBB127_251
.LBB127_249:
	s_mov_b64 s[10:11], -1
                                        ; implicit-def: $sgpr14
.LBB127_250:
	s_mov_b64 s[12:13], 0
.LBB127_251:
	s_and_b64 vcc, exec, s[12:13]
	s_cbranch_vccz .LBB127_253
; %bb.252:
	v_mov_b32_e32 v0, 0
	s_mov_b32 s14, 0
	v_cmp_ne_u16_sdwa s[10:11], s61, v0 src0_sel:BYTE_0 src1_sel:DWORD
.LBB127_253:
	s_andn2_b64 vcc, exec, s[10:11]
	s_cbranch_vccnz .LBB127_255
; %bb.254:
	s_mov_b32 s14, s62
.LBB127_255:
	v_mov_b32_e32 v0, s14
	global_store_dword v[10:11], v0, off
.LBB127_256:
	s_mov_b64 s[10:11], 0
.LBB127_257:
	s_andn2_b64 vcc, exec, s[10:11]
	s_cbranch_vccnz .LBB127_269
; %bb.258:
	v_mov_b32_e32 v0, 0xff
	v_and_b32_e32 v0, s61, v0
	s_movk_i32 s10, 0x80
	v_cmp_gt_i16_e32 vcc, s10, v0
	s_cbranch_vccnz .LBB127_261
; %bb.259:
	v_cmp_eq_u16_e32 vcc, s10, v0
	s_cbranch_vccz .LBB127_262
; %bb.260:
	s_mov_b64 s[10:11], 0
	s_movk_i32 s14, 0x7e00
	s_branch .LBB127_263
.LBB127_261:
	s_mov_b64 s[12:13], -1
	s_mov_b64 s[10:11], 0
                                        ; implicit-def: $sgpr14
	s_branch .LBB127_264
.LBB127_262:
	s_mov_b64 s[10:11], -1
                                        ; implicit-def: $sgpr14
.LBB127_263:
	s_mov_b64 s[12:13], 0
.LBB127_264:
	s_and_b64 vcc, exec, s[12:13]
	v_mov_b32_e32 v1, s14
	s_cbranch_vccz .LBB127_266
; %bb.265:
	v_cmp_ne_u16_e64 s[10:11], 0, v0
	v_mov_b32_e32 v1, v0
.LBB127_266:
	s_andn2_b64 vcc, exec, s[10:11]
	s_cbranch_vccnz .LBB127_268
; %bb.267:
	v_mov_b32_e32 v1, v14
.LBB127_268:
	global_store_short v[10:11], v1, off
.LBB127_269:
	s_mov_b64 s[10:11], 0
.LBB127_270:
	s_andn2_b64 vcc, exec, s[10:11]
	s_cbranch_vccnz .LBB127_321
; %bb.271:
	v_cmp_gt_i16_e32 vcc, 2, v13
	s_mov_b64 s[10:11], -1
	s_cbranch_vccnz .LBB127_302
; %bb.272:
	v_cmp_gt_i16_e32 vcc, 3, v13
	s_cbranch_vccnz .LBB127_292
; %bb.273:
	v_cmp_lt_i16_e32 vcc, 3, v13
	s_cbranch_vccz .LBB127_282
; %bb.274:
	v_mov_b32_e32 v0, 0x80
	v_cmp_lt_i16_sdwa s[10:11], s61, v0 src0_sel:BYTE_0 src1_sel:DWORD
	s_and_b64 vcc, exec, s[10:11]
	s_cbranch_vccnz .LBB127_276
; %bb.275:
	v_cmp_ne_u16_sdwa s[10:11], s61, v0 src0_sel:BYTE_0 src1_sel:DWORD
	s_mov_b64 s[14:15], 0
	s_mov_b64 s[12:13], 0
	s_branch .LBB127_277
.LBB127_276:
	s_mov_b64 s[14:15], -1
	s_mov_b64 s[10:11], 0
                                        ; implicit-def: $sgpr12_sgpr13
.LBB127_277:
	s_andn2_b64 vcc, exec, s[14:15]
	s_cbranch_vccnz .LBB127_279
; %bb.278:
	v_mov_b32_e32 v0, 0
	v_cmp_ne_u16_sdwa s[10:11], s61, v0 src0_sel:BYTE_0 src1_sel:DWORD
	s_mov_b64 s[12:13], 0
.LBB127_279:
	s_andn2_b64 vcc, exec, s[10:11]
	v_pk_mov_b32 v[0:1], s[12:13], s[12:13] op_sel:[0,1]
	s_cbranch_vccnz .LBB127_281
; %bb.280:
	v_pk_mov_b32 v[0:1], v[4:5], v[4:5] op_sel:[0,1]
.LBB127_281:
	global_store_dwordx2 v[10:11], v[0:1], off
	s_mov_b64 s[10:11], 0
.LBB127_282:
	s_and_b64 vcc, exec, s[10:11]
	s_cbranch_vccz .LBB127_291
; %bb.283:
	v_mov_b32_e32 v0, 0x80
	v_cmp_lt_i16_sdwa s[10:11], s61, v0 src0_sel:BYTE_0 src1_sel:DWORD
	s_and_b64 vcc, exec, s[10:11]
	s_cbranch_vccnz .LBB127_285
; %bb.284:
	v_cmp_ne_u16_sdwa s[10:11], s61, v0 src0_sel:BYTE_0 src1_sel:DWORD
	s_mov_b64 s[12:13], 0
	s_mov_b32 s14, 0
	s_branch .LBB127_286
.LBB127_285:
	s_mov_b64 s[12:13], -1
	s_mov_b64 s[10:11], 0
                                        ; implicit-def: $sgpr14
.LBB127_286:
	s_andn2_b64 vcc, exec, s[12:13]
	s_cbranch_vccnz .LBB127_288
; %bb.287:
	v_mov_b32_e32 v0, 0
	s_mov_b32 s14, 0
	v_cmp_ne_u16_sdwa s[10:11], s61, v0 src0_sel:BYTE_0 src1_sel:DWORD
.LBB127_288:
	s_andn2_b64 vcc, exec, s[10:11]
	v_mov_b32_e32 v0, s14
	s_cbranch_vccnz .LBB127_290
; %bb.289:
	v_mov_b32_e32 v0, v12
.LBB127_290:
	global_store_dword v[10:11], v0, off
.LBB127_291:
	s_mov_b64 s[10:11], 0
.LBB127_292:
	s_andn2_b64 vcc, exec, s[10:11]
	s_cbranch_vccnz .LBB127_301
; %bb.293:
	v_mov_b32_e32 v0, 0x80
	v_cmp_lt_i16_sdwa s[10:11], s61, v0 src0_sel:BYTE_0 src1_sel:DWORD
	s_and_b64 vcc, exec, s[10:11]
	s_cbranch_vccnz .LBB127_295
; %bb.294:
	v_cmp_ne_u16_sdwa s[10:11], s61, v0 src0_sel:BYTE_0 src1_sel:DWORD
	s_mov_b64 s[12:13], 0
	s_mov_b32 s14, 0
	s_branch .LBB127_296
.LBB127_295:
	s_mov_b64 s[12:13], -1
	s_mov_b64 s[10:11], 0
                                        ; implicit-def: $sgpr14
.LBB127_296:
	s_andn2_b64 vcc, exec, s[12:13]
	s_cbranch_vccnz .LBB127_298
; %bb.297:
	v_mov_b32_e32 v0, 0
	s_mov_b32 s14, 0
	v_cmp_ne_u16_sdwa s[10:11], s61, v0 src0_sel:BYTE_0 src1_sel:DWORD
.LBB127_298:
	s_andn2_b64 vcc, exec, s[10:11]
	v_mov_b32_e32 v0, s14
	s_cbranch_vccnz .LBB127_300
; %bb.299:
	v_mov_b32_e32 v0, v12
.LBB127_300:
	global_store_short v[10:11], v0, off
.LBB127_301:
	s_mov_b64 s[10:11], 0
.LBB127_302:
	s_andn2_b64 vcc, exec, s[10:11]
	s_cbranch_vccnz .LBB127_321
; %bb.303:
	v_cmp_lt_i16_e32 vcc, 0, v13
	s_mov_b64 s[10:11], -1
	s_cbranch_vccz .LBB127_312
; %bb.304:
	v_mov_b32_e32 v0, 0x80
	v_cmp_lt_i16_sdwa s[10:11], s61, v0 src0_sel:BYTE_0 src1_sel:DWORD
	s_and_b64 vcc, exec, s[10:11]
	s_cbranch_vccnz .LBB127_306
; %bb.305:
	v_cmp_ne_u16_sdwa s[10:11], s61, v0 src0_sel:BYTE_0 src1_sel:DWORD
	s_mov_b64 s[12:13], 0
	s_mov_b32 s14, 0
	s_branch .LBB127_307
.LBB127_306:
	s_mov_b64 s[12:13], -1
	s_mov_b64 s[10:11], 0
                                        ; implicit-def: $sgpr14
.LBB127_307:
	s_andn2_b64 vcc, exec, s[12:13]
	s_cbranch_vccnz .LBB127_309
; %bb.308:
	v_mov_b32_e32 v0, 0
	s_mov_b32 s14, 0
	v_cmp_ne_u16_sdwa s[10:11], s61, v0 src0_sel:BYTE_0 src1_sel:DWORD
.LBB127_309:
	s_andn2_b64 vcc, exec, s[10:11]
	v_mov_b32_e32 v0, s14
	s_cbranch_vccnz .LBB127_311
; %bb.310:
	v_mov_b32_e32 v0, v12
.LBB127_311:
	global_store_byte v[10:11], v0, off
	s_mov_b64 s[10:11], 0
.LBB127_312:
	s_and_b64 vcc, exec, s[10:11]
	s_cbranch_vccz .LBB127_321
; %bb.313:
	v_mov_b32_e32 v0, 0x80
	v_cmp_lt_i16_sdwa s[10:11], s61, v0 src0_sel:BYTE_0 src1_sel:DWORD
	s_and_b64 vcc, exec, s[10:11]
	s_cbranch_vccnz .LBB127_315
; %bb.314:
	v_cmp_ne_u16_sdwa s[10:11], s61, v0 src0_sel:BYTE_0 src1_sel:DWORD
	s_mov_b64 s[12:13], 0
	s_mov_b32 s14, 0
	s_branch .LBB127_316
.LBB127_315:
	s_mov_b64 s[12:13], -1
	s_mov_b64 s[10:11], 0
                                        ; implicit-def: $sgpr14
.LBB127_316:
	s_andn2_b64 vcc, exec, s[12:13]
	s_cbranch_vccnz .LBB127_318
; %bb.317:
	v_mov_b32_e32 v0, 0
	s_mov_b32 s14, 0
	v_cmp_ne_u16_sdwa s[10:11], s61, v0 src0_sel:BYTE_0 src1_sel:DWORD
.LBB127_318:
	s_andn2_b64 vcc, exec, s[10:11]
	v_mov_b32_e32 v0, s14
	s_cbranch_vccnz .LBB127_320
; %bb.319:
	v_mov_b32_e32 v0, v4
.LBB127_320:
	global_store_byte v[10:11], v0, off
.LBB127_321:
	s_branch .LBB127_27
.LBB127_322:
	s_mov_b64 s[10:11], 0
                                        ; implicit-def: $vgpr15
.LBB127_323:
	s_and_b64 s[46:47], s[8:9], exec
	s_orn2_b64 s[10:11], s[10:11], exec
.LBB127_324:
	s_or_b64 exec, exec, s[48:49]
	s_mov_b64 s[8:9], 0
                                        ; implicit-def: $vgpr10_vgpr11
	s_and_saveexec_b64 s[48:49], s[10:11]
	s_cbranch_execz .LBB127_331
; %bb.325:
	v_cmp_gt_i32_e32 vcc, s64, v15
	s_mov_b64 s[8:9], -1
	s_mov_b64 s[50:51], s[46:47]
	s_and_saveexec_b64 s[52:53], vcc
	s_cbranch_execz .LBB127_660
; %bb.326:
	s_andn2_b64 vcc, exec, s[30:31]
	s_cbranch_vccnz .LBB127_341
; %bb.327:
	s_andn2_b64 vcc, exec, s[44:45]
	s_cbranch_vccnz .LBB127_343
; %bb.328:
	s_add_i32 s57, s65, 1
	s_mov_b32 s56, 0
	s_cmp_eq_u32 s60, 2
	v_mov_b32_e32 v0, 0
	s_cbranch_scc1 .LBB127_344
; %bb.329:
	s_and_b32 s56, s57, 28
	s_mov_b32 s58, 0
	v_mov_b32_e32 v0, 0
	s_mov_b64 s[50:51], s[24:25]
	s_mov_b64 s[54:55], s[42:43]
	v_mov_b32_e32 v2, v15
.LBB127_330:                            ; =>This Inner Loop Header: Depth=1
	s_load_dwordx8 s[8:15], s[50:51], 0x4
	s_load_dwordx4 s[16:19], s[50:51], 0x24
	s_load_dwordx4 s[20:23], s[54:55], 0x0
	s_add_u32 s50, s50, 48
	s_addc_u32 s51, s51, 0
	s_waitcnt lgkmcnt(0)
	v_mul_hi_u32 v1, s9, v2
	v_add_u32_e32 v1, v2, v1
	v_lshrrev_b32_e32 v1, s10, v1
	v_mul_lo_u32 v3, v1, s8
	v_mul_hi_u32 v10, s12, v1
	v_sub_u32_e32 v2, v2, v3
	v_add_u32_e32 v3, v1, v10
	v_lshrrev_b32_e32 v3, s13, v3
	v_mul_lo_u32 v10, v3, s11
	v_mul_hi_u32 v11, s15, v3
	v_sub_u32_e32 v1, v1, v10
	v_add_u32_e32 v10, v3, v11
	v_mul_lo_u32 v2, v2, s20
	v_mul_lo_u32 v1, v1, s21
	v_lshrrev_b32_e32 v10, s16, v10
	v_add3_u32 v0, v2, v0, v1
	v_mul_hi_u32 v2, s18, v10
	v_add_u32_e32 v2, v10, v2
	v_mul_lo_u32 v1, v10, s14
	v_lshrrev_b32_e32 v2, s19, v2
	s_add_i32 s58, s58, 4
	v_sub_u32_e32 v1, v3, v1
	v_mul_lo_u32 v3, v2, s17
	s_add_u32 s54, s54, 16
	v_sub_u32_e32 v3, v10, v3
	s_addc_u32 s55, s55, 0
	v_mul_lo_u32 v1, v1, s22
	v_mul_lo_u32 v3, v3, s23
	s_cmp_eq_u32 s56, s58
	v_add3_u32 v0, v1, v0, v3
	s_cbranch_scc0 .LBB127_330
	s_branch .LBB127_345
.LBB127_331:
	s_or_b64 exec, exec, s[48:49]
	s_mov_b64 s[0:1], 0
	s_and_saveexec_b64 s[2:3], s[46:47]
	s_cbranch_execnz .LBB127_1165
.LBB127_332:
	s_or_b64 exec, exec, s[2:3]
	s_and_saveexec_b64 s[2:3], s[52:53]
	s_cbranch_execz .LBB127_1166
.LBB127_333:
	v_mov_b32_e32 v0, 0x80
	v_cmp_lt_i16_sdwa s[10:11], s61, v0 src0_sel:BYTE_0 src1_sel:DWORD
	s_and_b64 vcc, exec, s[10:11]
	s_cbranch_vccnz .LBB127_336
; %bb.334:
	v_cmp_eq_u16_sdwa s[10:11], s61, v0 src0_sel:BYTE_0 src1_sel:DWORD
	s_and_b64 vcc, exec, s[10:11]
	s_cbranch_vccz .LBB127_342
; %bb.335:
	s_mov_b64 s[12:13], 0
	s_mov_b64 s[10:11], -1
	s_branch .LBB127_338
.LBB127_336:
	s_mov_b64 s[12:13], 0
                                        ; implicit-def: $sgpr10_sgpr11
	s_cbranch_execz .LBB127_338
; %bb.337:
	v_mov_b32_e32 v0, 0
	v_cmp_ne_u16_sdwa s[12:13], s61, v0 src0_sel:BYTE_0 src1_sel:DWORD
	s_mov_b64 s[10:11], 0
.LBB127_338:
	s_andn2_b64 vcc, exec, s[12:13]
	s_cbranch_vccnz .LBB127_340
; %bb.339:
	s_mov_b64 s[10:11], s[6:7]
.LBB127_340:
	v_cndmask_b32_e64 v0, 0, 1, s[10:11]
	global_store_byte v[10:11], v0, off
	s_or_b64 exec, exec, s[2:3]
	s_and_saveexec_b64 s[2:3], s[8:9]
	s_xor_b64 s[2:3], exec, s[2:3]
	s_cbranch_execz .LBB127_1299
	s_branch .LBB127_1167
.LBB127_341:
                                        ; implicit-def: $vgpr0
	s_andn2_b64 vcc, exec, s[8:9]
	s_cbranch_vccz .LBB127_349
	s_branch .LBB127_351
.LBB127_342:
	s_mov_b64 s[12:13], -1
                                        ; implicit-def: $sgpr10_sgpr11
	s_branch .LBB127_338
.LBB127_343:
	v_mov_b32_e32 v0, 0
	s_branch .LBB127_348
.LBB127_344:
	v_mov_b32_e32 v2, v15
.LBB127_345:
	s_and_b32 s12, s57, 3
	s_cmp_eq_u32 s12, 0
	s_cbranch_scc1 .LBB127_348
; %bb.346:
	s_lshl_b32 s8, s56, 2
	s_add_u32 s8, s8, s24
	s_addc_u32 s9, s25, 0
	s_add_u32 s8, s8, 0xc4
	s_addc_u32 s9, s9, 0
	s_mul_i32 s10, s56, 12
	s_add_u32 s10, s24, s10
	s_addc_u32 s11, s25, 0
.LBB127_347:                            ; =>This Inner Loop Header: Depth=1
	s_load_dwordx2 s[14:15], s[10:11], 0x4
	s_load_dword s13, s[10:11], 0xc
	s_load_dword s16, s[8:9], 0x0
	s_add_u32 s10, s10, 12
	s_addc_u32 s11, s11, 0
	s_waitcnt lgkmcnt(0)
	v_mul_hi_u32 v1, s15, v2
	v_add_u32_e32 v1, v2, v1
	v_lshrrev_b32_e32 v1, s13, v1
	s_add_u32 s8, s8, 4
	v_mul_lo_u32 v3, v1, s14
	s_addc_u32 s9, s9, 0
	s_add_i32 s12, s12, -1
	v_sub_u32_e32 v3, v2, v3
	s_cmp_lg_u32 s12, 0
	v_mov_b32_e32 v2, v1
	v_mad_u64_u32 v[0:1], s[14:15], v3, s16, v[0:1]
	s_cbranch_scc1 .LBB127_347
.LBB127_348:
	s_cbranch_execnz .LBB127_351
.LBB127_349:
	v_mul_hi_u32 v0, s1, v15
	v_add_u32_e32 v0, v15, v0
	v_lshrrev_b32_e32 v1, s2, v0
	v_mul_lo_u32 v0, v1, s0
	v_sub_u32_e32 v0, v15, v0
	s_andn2_b64 vcc, exec, s[40:41]
	v_mul_lo_u32 v0, v0, s36
	s_cbranch_vccnz .LBB127_351
; %bb.350:
	v_mul_hi_u32 v2, s38, v1
	v_add_u32_e32 v2, v1, v2
	v_lshrrev_b32_e32 v2, s39, v2
	v_mul_lo_u32 v2, v2, s3
	v_sub_u32_e32 v1, v1, v2
	v_mad_u64_u32 v[0:1], s[8:9], v1, s37, v[0:1]
.LBB127_351:
	v_mov_b32_e32 v1, s35
	v_add_co_u32_e32 v10, vcc, s34, v0
	v_addc_co_u32_e32 v11, vcc, 0, v1, vcc
	v_cmp_gt_i16_e32 vcc, 11, v13
	s_cbranch_vccnz .LBB127_360
; %bb.352:
	v_cmp_lt_i16_e32 vcc, 25, v13
	s_cbranch_vccz .LBB127_363
; %bb.353:
	v_cmp_lt_i16_e32 vcc, 28, v13
	s_cbranch_vccz .LBB127_364
	;; [unrolled: 3-line block ×4, first 2 shown]
; %bb.356:
	v_cmp_eq_u16_e32 vcc, 46, v13
	s_mov_b64 s[12:13], 0
	s_mov_b64 s[8:9], -1
	s_mov_b64 s[10:11], 0
	s_cbranch_vccz .LBB127_375
; %bb.357:
	v_mov_b32_e32 v0, 0x80
	v_cmp_lt_i16_sdwa s[8:9], s61, v0 src0_sel:BYTE_0 src1_sel:DWORD
	s_and_b64 vcc, exec, s[8:9]
	s_cbranch_vccnz .LBB127_367
; %bb.358:
	v_cmp_eq_u16_sdwa s[8:9], s61, v0 src0_sel:BYTE_0 src1_sel:DWORD
	s_and_b64 vcc, exec, s[8:9]
	s_cbranch_vccz .LBB127_368
; %bb.359:
	s_mov_b64 s[8:9], 0
	s_mov_b32 s14, 0x7f800001
	s_branch .LBB127_370
.LBB127_360:
	s_mov_b64 s[10:11], 0
	s_mov_b64 s[8:9], s[46:47]
	s_cbranch_execnz .LBB127_525
.LBB127_361:
	s_andn2_b64 vcc, exec, s[10:11]
	s_cbranch_vccnz .LBB127_658
.LBB127_362:
	v_add_u32_e32 v15, 0x80, v15
	s_mov_b64 s[10:11], -1
	s_branch .LBB127_659
.LBB127_363:
	s_mov_b64 s[12:13], -1
	s_mov_b64 s[10:11], 0
	s_mov_b64 s[8:9], s[46:47]
	s_branch .LBB127_445
.LBB127_364:
	s_mov_b64 s[12:13], -1
	s_mov_b64 s[10:11], 0
	s_mov_b64 s[8:9], s[46:47]
	s_branch .LBB127_402
.LBB127_365:
	s_mov_b64 s[12:13], -1
	s_mov_b64 s[10:11], 0
	s_mov_b64 s[8:9], s[46:47]
	s_branch .LBB127_389
.LBB127_366:
	s_mov_b64 s[12:13], -1
	s_mov_b64 s[10:11], 0
	s_mov_b64 s[8:9], s[46:47]
	s_branch .LBB127_375
.LBB127_367:
	s_mov_b64 s[10:11], -1
	s_mov_b64 s[8:9], 0
	s_branch .LBB127_369
.LBB127_368:
	s_mov_b64 s[8:9], -1
.LBB127_369:
                                        ; implicit-def: $sgpr14
.LBB127_370:
	s_and_b64 vcc, exec, s[10:11]
	s_cbranch_vccz .LBB127_372
; %bb.371:
	v_mov_b32_e32 v0, 0
	s_mov_b32 s14, 0
	v_cmp_ne_u16_sdwa s[8:9], s61, v0 src0_sel:BYTE_0 src1_sel:DWORD
.LBB127_372:
	s_andn2_b64 vcc, exec, s[8:9]
	s_cbranch_vccnz .LBB127_374
; %bb.373:
	s_mov_b32 s14, s62
.LBB127_374:
	s_bfe_u32 s8, s14, 0x10010
	s_add_i32 s8, s14, s8
	s_addk_i32 s8, 0x7fff
	s_lshr_b32 s10, s8, 16
	v_cmp_o_f32_e64 s[8:9], s14, s14
	s_and_b64 s[8:9], s[8:9], exec
	s_cselect_b32 s8, s10, 0x7fc0
	v_mov_b32_e32 v0, s8
	global_store_dword v[10:11], v0, off
	s_mov_b64 s[10:11], -1
	s_mov_b64 s[8:9], 0
.LBB127_375:
	s_and_b64 vcc, exec, s[12:13]
	s_cbranch_vccz .LBB127_388
; %bb.376:
	v_cmp_eq_u16_e32 vcc, 44, v13
	s_mov_b64 s[8:9], -1
	s_cbranch_vccz .LBB127_388
; %bb.377:
	v_mov_b32_e32 v0, 0xff
	v_and_b32_e32 v0, s61, v0
	s_movk_i32 s8, 0x80
	v_cmp_gt_i16_e32 vcc, s8, v0
	v_readfirstlane_b32 s13, v0
	s_cbranch_vccnz .LBB127_380
; %bb.378:
	v_mov_b32_e32 v0, 0x80
	v_cmp_eq_u16_e32 vcc, s13, v0
	s_cbranch_vccz .LBB127_381
; %bb.379:
	s_mov_b64 s[8:9], 0
	s_mov_b32 s12, 0x7f800001
	s_branch .LBB127_382
.LBB127_380:
	s_mov_b64 s[10:11], -1
	s_mov_b64 s[8:9], 0
                                        ; implicit-def: $sgpr12
	s_branch .LBB127_383
.LBB127_381:
	s_mov_b64 s[8:9], -1
                                        ; implicit-def: $sgpr12
.LBB127_382:
	s_mov_b64 s[10:11], 0
.LBB127_383:
	s_and_b64 vcc, exec, s[10:11]
	s_cbranch_vccz .LBB127_393
; %bb.384:
	s_and_b32 s12, 0xffff, s13
	v_cmp_ne_u16_e64 s[8:9], s13, 0
	s_andn2_b64 vcc, exec, s[8:9]
	s_cbranch_vccz .LBB127_394
.LBB127_385:
	s_bfe_u32 s8, s12, 0x80017
	s_cmpk_eq_i32 s8, 0xff
	v_mov_b32_e32 v0, 0xff
	s_cbranch_scc1 .LBB127_387
.LBB127_386:
	s_lshr_b32 s13, s12, 23
	s_bitcmp1_b32 s12, 22
	s_cselect_b64 s[10:11], -1, 0
	s_and_b32 s9, s12, 0x3fffff
	s_or_b32 s8, s8, s9
	s_cmp_lg_u32 s8, 0
	s_cselect_b64 s[8:9], -1, 0
	s_and_b64 s[8:9], s[10:11], s[8:9]
	v_cndmask_b32_e64 v0, 0, 1, s[8:9]
	v_add_u32_e32 v0, s13, v0
.LBB127_387:
	s_mov_b64 s[10:11], -1
	s_mov_b64 s[8:9], 0
	global_store_byte v[10:11], v0, off
.LBB127_388:
	s_mov_b64 s[12:13], 0
.LBB127_389:
	s_and_b64 vcc, exec, s[12:13]
	s_cbranch_vccz .LBB127_401
; %bb.390:
	v_cmp_eq_u16_e32 vcc, 29, v13
	s_mov_b64 s[8:9], -1
	s_cbranch_vccz .LBB127_401
; %bb.391:
	v_mov_b32_e32 v0, 0x80
	v_cmp_lt_i16_sdwa s[8:9], s61, v0 src0_sel:BYTE_0 src1_sel:DWORD
	s_and_b64 vcc, exec, s[8:9]
	s_cbranch_vccnz .LBB127_395
; %bb.392:
	v_cmp_ne_u16_sdwa s[8:9], s61, v0 src0_sel:BYTE_0 src1_sel:DWORD
	s_mov_b64 s[12:13], 0
	s_mov_b64 s[10:11], 0
	s_branch .LBB127_396
.LBB127_393:
	s_andn2_b64 vcc, exec, s[8:9]
	s_cbranch_vccnz .LBB127_385
.LBB127_394:
	s_mov_b32 s12, s63
	s_bfe_u32 s8, s12, 0x80017
	s_cmpk_eq_i32 s8, 0xff
	v_mov_b32_e32 v0, 0xff
	s_cbranch_scc0 .LBB127_386
	s_branch .LBB127_387
.LBB127_395:
	s_mov_b64 s[12:13], -1
	s_mov_b64 s[8:9], 0
                                        ; implicit-def: $sgpr10_sgpr11
.LBB127_396:
	s_andn2_b64 vcc, exec, s[12:13]
	s_cbranch_vccnz .LBB127_398
; %bb.397:
	v_mov_b32_e32 v0, 0
	v_cmp_ne_u16_sdwa s[8:9], s61, v0 src0_sel:BYTE_0 src1_sel:DWORD
	s_mov_b64 s[10:11], 0
.LBB127_398:
	s_andn2_b64 vcc, exec, s[8:9]
	v_pk_mov_b32 v[0:1], s[10:11], s[10:11] op_sel:[0,1]
	s_cbranch_vccnz .LBB127_400
; %bb.399:
	v_pk_mov_b32 v[0:1], v[8:9], v[8:9] op_sel:[0,1]
.LBB127_400:
	global_store_dwordx2 v[10:11], v[0:1], off
	s_mov_b64 s[10:11], -1
	s_mov_b64 s[8:9], 0
.LBB127_401:
	s_mov_b64 s[12:13], 0
.LBB127_402:
	s_and_b64 vcc, exec, s[12:13]
	s_cbranch_vccz .LBB127_444
; %bb.403:
	v_cmp_gt_i16_e32 vcc, 27, v13
	s_mov_b64 s[10:11], -1
	s_cbranch_vccnz .LBB127_423
; %bb.404:
	v_cmp_lt_i16_e32 vcc, 27, v13
	s_cbranch_vccz .LBB127_413
; %bb.405:
	v_mov_b32_e32 v0, 0x80
	v_cmp_lt_i16_sdwa s[10:11], s61, v0 src0_sel:BYTE_0 src1_sel:DWORD
	s_and_b64 vcc, exec, s[10:11]
	s_cbranch_vccnz .LBB127_407
; %bb.406:
	v_cmp_ne_u16_sdwa s[10:11], s61, v0 src0_sel:BYTE_0 src1_sel:DWORD
	s_mov_b64 s[12:13], 0
	s_mov_b32 s14, 0
	s_branch .LBB127_408
.LBB127_407:
	s_mov_b64 s[12:13], -1
	s_mov_b64 s[10:11], 0
                                        ; implicit-def: $sgpr14
.LBB127_408:
	s_andn2_b64 vcc, exec, s[12:13]
	s_cbranch_vccnz .LBB127_410
; %bb.409:
	v_mov_b32_e32 v0, 0
	s_mov_b32 s14, 0
	v_cmp_ne_u16_sdwa s[10:11], s61, v0 src0_sel:BYTE_0 src1_sel:DWORD
.LBB127_410:
	s_andn2_b64 vcc, exec, s[10:11]
	v_mov_b32_e32 v0, s14
	s_cbranch_vccnz .LBB127_412
; %bb.411:
	v_mov_b32_e32 v0, v16
.LBB127_412:
	global_store_dword v[10:11], v0, off
	s_mov_b64 s[10:11], 0
.LBB127_413:
	s_and_b64 vcc, exec, s[10:11]
	s_cbranch_vccz .LBB127_422
; %bb.414:
	v_mov_b32_e32 v0, 0x80
	v_cmp_lt_i16_sdwa s[10:11], s61, v0 src0_sel:BYTE_0 src1_sel:DWORD
	s_and_b64 vcc, exec, s[10:11]
	s_cbranch_vccnz .LBB127_416
; %bb.415:
	v_cmp_ne_u16_sdwa s[10:11], s61, v0 src0_sel:BYTE_0 src1_sel:DWORD
	s_mov_b64 s[12:13], 0
	s_mov_b32 s14, 0
	s_branch .LBB127_417
.LBB127_416:
	s_mov_b64 s[12:13], -1
	s_mov_b64 s[10:11], 0
                                        ; implicit-def: $sgpr14
.LBB127_417:
	s_andn2_b64 vcc, exec, s[12:13]
	s_cbranch_vccnz .LBB127_419
; %bb.418:
	v_mov_b32_e32 v0, 0
	s_mov_b32 s14, 0
	v_cmp_ne_u16_sdwa s[10:11], s61, v0 src0_sel:BYTE_0 src1_sel:DWORD
.LBB127_419:
	s_andn2_b64 vcc, exec, s[10:11]
	v_mov_b32_e32 v0, s14
	s_cbranch_vccnz .LBB127_421
; %bb.420:
	v_mov_b32_e32 v0, v16
.LBB127_421:
	global_store_short v[10:11], v0, off
.LBB127_422:
	s_mov_b64 s[10:11], 0
.LBB127_423:
	s_andn2_b64 vcc, exec, s[10:11]
	s_cbranch_vccnz .LBB127_443
; %bb.424:
	v_mov_b32_e32 v0, 0x80
	v_cmp_lt_i16_sdwa s[10:11], s61, v0 src0_sel:BYTE_0 src1_sel:DWORD
	s_and_b64 vcc, exec, s[10:11]
	s_cbranch_vccnz .LBB127_427
; %bb.425:
	v_cmp_eq_u16_sdwa s[10:11], s61, v0 src0_sel:BYTE_0 src1_sel:DWORD
	s_and_b64 vcc, exec, s[10:11]
	s_cbranch_vccz .LBB127_428
; %bb.426:
	s_mov_b64 s[10:11], 0
	s_mov_b32 s14, 0x7f800001
	s_branch .LBB127_429
.LBB127_427:
	s_mov_b64 s[12:13], -1
	s_mov_b64 s[10:11], 0
                                        ; implicit-def: $sgpr14
	s_branch .LBB127_430
.LBB127_428:
	s_mov_b64 s[10:11], -1
                                        ; implicit-def: $sgpr14
.LBB127_429:
	s_mov_b64 s[12:13], 0
.LBB127_430:
	s_and_b64 vcc, exec, s[12:13]
	s_cbranch_vccz .LBB127_433
; %bb.431:
	v_mov_b32_e32 v0, 0
	s_mov_b32 s14, 0
	v_cmp_ne_u16_sdwa s[10:11], s61, v0 src0_sel:BYTE_0 src1_sel:DWORD
	s_andn2_b64 vcc, exec, s[10:11]
	s_cbranch_vccz .LBB127_434
.LBB127_432:
	s_and_b32 s10, s14, 0x7fffffff
	s_cmp_gt_u32 s10, 0x437fffff
	v_mov_b32_e32 v1, 0x80
	s_cbranch_scc0 .LBB127_435
	s_branch .LBB127_442
.LBB127_433:
	s_andn2_b64 vcc, exec, s[10:11]
	s_cbranch_vccnz .LBB127_432
.LBB127_434:
	s_mov_b32 s14, s62
	s_and_b32 s10, s14, 0x7fffffff
	s_cmp_gt_u32 s10, 0x437fffff
	v_mov_b32_e32 v1, 0x80
	s_cbranch_scc1 .LBB127_442
.LBB127_435:
	s_cmp_lt_u32 s10, 0x3c000000
	s_cbranch_scc1 .LBB127_437
; %bb.436:
	s_bfe_u32 s10, s14, 0x10014
	s_add_i32 s10, s14, s10
	s_add_i32 s10, s10, 0x487ffff
	s_lshr_b32 s15, s10, 20
	s_mov_b64 s[12:13], 0
	s_mov_b64 s[10:11], -1
	s_branch .LBB127_438
.LBB127_437:
	s_mov_b64 s[12:13], -1
	s_mov_b64 s[10:11], 0
                                        ; implicit-def: $sgpr15
.LBB127_438:
	s_andn2_b64 vcc, exec, s[12:13]
	v_mov_b32_e32 v0, s15
                                        ; implicit-def: $sgpr12
	s_cbranch_vccnz .LBB127_440
; %bb.439:
	v_mov_b32_e32 v0, 0x46000000
	v_add_f32_e64 v0, |s14|, v0
	v_and_b32_e32 v0, 0xff, v0
	s_mov_b32 s12, 0
	v_cmp_ne_u32_e64 s[10:11], 0, v0
.LBB127_440:
	s_andn2_b64 vcc, exec, s[10:11]
	v_mov_b32_e32 v1, s12
	s_cbranch_vccnz .LBB127_442
; %bb.441:
	s_lshr_b32 s10, s14, 24
	s_and_b32 s10, s10, 0x80
	v_or_b32_e32 v1, s10, v0
.LBB127_442:
	global_store_byte v[10:11], v1, off
.LBB127_443:
	s_mov_b64 s[10:11], -1
.LBB127_444:
	s_mov_b64 s[12:13], 0
.LBB127_445:
	s_and_b64 vcc, exec, s[12:13]
	s_cbranch_vccz .LBB127_524
; %bb.446:
	v_cmp_lt_i16_e32 vcc, 22, v13
	s_mov_b64 s[12:13], -1
	s_cbranch_vccz .LBB127_496
; %bb.447:
	v_cmp_gt_i16_e32 vcc, 24, v13
	s_mov_b64 s[10:11], -1
	s_cbranch_vccnz .LBB127_473
; %bb.448:
	v_cmp_lt_i16_e32 vcc, 24, v13
	s_cbranch_vccz .LBB127_450
; %bb.449:
	v_mov_b32_e32 v0, s61
	s_mov_b64 s[10:11], 0
	global_store_byte v[10:11], v0, off
.LBB127_450:
	s_andn2_b64 vcc, exec, s[10:11]
	s_cbranch_vccnz .LBB127_472
; %bb.451:
	v_mov_b32_e32 v0, 0x80
	v_cmp_lt_i16_sdwa s[10:11], s61, v0 src0_sel:BYTE_0 src1_sel:DWORD
	s_and_b64 vcc, exec, s[10:11]
	s_cbranch_vccnz .LBB127_454
; %bb.452:
	v_cmp_eq_u16_sdwa s[10:11], s61, v0 src0_sel:BYTE_0 src1_sel:DWORD
	s_and_b64 vcc, exec, s[10:11]
	s_cbranch_vccz .LBB127_455
; %bb.453:
	s_mov_b64 s[10:11], 0
	s_mov_b32 s14, 0x7f800001
	s_branch .LBB127_456
.LBB127_454:
	s_mov_b64 s[10:11], 0
                                        ; implicit-def: $sgpr14
	s_branch .LBB127_457
.LBB127_455:
	s_mov_b64 s[10:11], -1
                                        ; implicit-def: $sgpr14
.LBB127_456:
	s_mov_b64 s[12:13], 0
.LBB127_457:
	s_and_b64 vcc, exec, s[12:13]
	s_cbranch_vccz .LBB127_462
; %bb.458:
	v_mov_b32_e32 v0, 0
	s_mov_b32 s14, 0
	v_cmp_ne_u16_sdwa s[10:11], s61, v0 src0_sel:BYTE_0 src1_sel:DWORD
	s_andn2_b64 vcc, exec, s[10:11]
	s_cbranch_vccz .LBB127_463
.LBB127_459:
	s_and_b32 s12, s14, 0x7fffffff
	s_cmp_gt_u32 s12, 0x43efffff
	s_cbranch_scc1 .LBB127_464
.LBB127_460:
	s_cmp_lt_u32 s12, 0x3c800000
	s_cbranch_scc1 .LBB127_465
; %bb.461:
	s_bfe_u32 s10, s14, 0x10014
	s_add_i32 s10, s14, s10
	s_add_i32 s10, s10, 0x407ffff
	s_lshr_b32 s11, s10, 20
	s_and_b32 s10, s10, 0xff00000
	s_cmp_lg_u32 s10, 0x7f00000
	s_cselect_b32 s13, s11, 0x7e
	s_mov_b64 s[10:11], 0
	s_branch .LBB127_466
.LBB127_462:
	s_andn2_b64 vcc, exec, s[10:11]
	s_cbranch_vccnz .LBB127_459
.LBB127_463:
	s_mov_b32 s14, s62
	s_and_b32 s12, s14, 0x7fffffff
	s_cmp_gt_u32 s12, 0x43efffff
	s_cbranch_scc0 .LBB127_460
.LBB127_464:
	s_mov_b64 s[10:11], -1
                                        ; implicit-def: $vgpr0
	s_branch .LBB127_469
.LBB127_465:
	s_mov_b64 s[10:11], -1
                                        ; implicit-def: $sgpr13
.LBB127_466:
	s_andn2_b64 vcc, exec, s[10:11]
	v_mov_b32_e32 v0, s13
	s_cbranch_vccnz .LBB127_468
; %bb.467:
	v_mov_b32_e32 v0, 0x46800000
	v_add_f32_e64 v0, |s14|, v0
.LBB127_468:
	s_mov_b64 s[10:11], 0
.LBB127_469:
	s_andn2_b64 vcc, exec, s[10:11]
	s_cbranch_vccnz .LBB127_471
; %bb.470:
	s_cmp_gt_u32 s12, 0x7f800000
	s_movk_i32 s10, 0x7f
	s_cselect_b32 s10, s10, 0x7e
	v_mov_b32_e32 v0, s10
.LBB127_471:
	s_lshr_b32 s10, s14, 24
	s_and_b32 s10, s10, 0x80
	v_or_b32_e32 v0, s10, v0
	global_store_byte v[10:11], v0, off
.LBB127_472:
	s_mov_b64 s[10:11], 0
.LBB127_473:
	s_andn2_b64 vcc, exec, s[10:11]
	s_cbranch_vccnz .LBB127_495
; %bb.474:
	v_mov_b32_e32 v0, 0x80
	v_cmp_lt_i16_sdwa s[10:11], s61, v0 src0_sel:BYTE_0 src1_sel:DWORD
	s_and_b64 vcc, exec, s[10:11]
	s_cbranch_vccnz .LBB127_477
; %bb.475:
	v_cmp_eq_u16_sdwa s[10:11], s61, v0 src0_sel:BYTE_0 src1_sel:DWORD
	s_and_b64 vcc, exec, s[10:11]
	s_cbranch_vccz .LBB127_478
; %bb.476:
	s_mov_b64 s[10:11], 0
	s_mov_b32 s14, 0x7f800001
	s_branch .LBB127_479
.LBB127_477:
	s_mov_b64 s[12:13], -1
	s_mov_b64 s[10:11], 0
                                        ; implicit-def: $sgpr14
	s_branch .LBB127_480
.LBB127_478:
	s_mov_b64 s[10:11], -1
                                        ; implicit-def: $sgpr14
.LBB127_479:
	s_mov_b64 s[12:13], 0
.LBB127_480:
	s_and_b64 vcc, exec, s[12:13]
	s_cbranch_vccz .LBB127_485
; %bb.481:
	v_mov_b32_e32 v0, 0
	s_mov_b32 s14, 0
	v_cmp_ne_u16_sdwa s[10:11], s61, v0 src0_sel:BYTE_0 src1_sel:DWORD
	s_andn2_b64 vcc, exec, s[10:11]
	s_cbranch_vccz .LBB127_486
.LBB127_482:
	s_and_b32 s12, s14, 0x7fffffff
	s_cmp_gt_u32 s12, 0x477fffff
	s_cbranch_scc1 .LBB127_487
.LBB127_483:
	s_cmp_lt_u32 s12, 0x38800000
	s_cbranch_scc1 .LBB127_488
; %bb.484:
	s_bfe_u32 s10, s14, 0x10015
	s_add_i32 s10, s14, s10
	s_add_i32 s10, s10, 0x80fffff
	s_lshr_b32 s13, s10, 21
	s_mov_b64 s[10:11], 0
	s_branch .LBB127_489
.LBB127_485:
	s_andn2_b64 vcc, exec, s[10:11]
	s_cbranch_vccnz .LBB127_482
.LBB127_486:
	s_mov_b32 s14, s62
	s_and_b32 s12, s14, 0x7fffffff
	s_cmp_gt_u32 s12, 0x477fffff
	s_cbranch_scc0 .LBB127_483
.LBB127_487:
	s_mov_b64 s[10:11], -1
                                        ; implicit-def: $vgpr0
	s_branch .LBB127_492
.LBB127_488:
	s_mov_b64 s[10:11], -1
                                        ; implicit-def: $sgpr13
.LBB127_489:
	s_andn2_b64 vcc, exec, s[10:11]
	v_mov_b32_e32 v0, s13
	s_cbranch_vccnz .LBB127_491
; %bb.490:
	v_mov_b32_e32 v0, 0x43000000
	v_add_f32_e64 v0, |s14|, v0
.LBB127_491:
	s_mov_b64 s[10:11], 0
.LBB127_492:
	s_andn2_b64 vcc, exec, s[10:11]
	s_cbranch_vccnz .LBB127_494
; %bb.493:
	s_cmp_gt_u32 s12, 0x7f800000
	s_movk_i32 s10, 0x7f
	s_cselect_b32 s10, s10, 0x7c
	v_mov_b32_e32 v0, s10
.LBB127_494:
	s_lshr_b32 s10, s14, 24
	s_and_b32 s10, s10, 0x80
	v_or_b32_e32 v0, s10, v0
	global_store_byte v[10:11], v0, off
.LBB127_495:
	s_mov_b64 s[12:13], 0
	s_mov_b64 s[10:11], -1
.LBB127_496:
	s_andn2_b64 vcc, exec, s[12:13]
	s_cbranch_vccnz .LBB127_524
; %bb.497:
	v_cmp_lt_i16_e32 vcc, 14, v13
	s_mov_b64 s[12:13], -1
	s_cbranch_vccz .LBB127_511
; %bb.498:
	v_cmp_eq_u16_e32 vcc, 15, v13
	s_mov_b64 s[8:9], -1
	s_cbranch_vccz .LBB127_510
; %bb.499:
	v_mov_b32_e32 v0, 0x80
	v_cmp_lt_i16_sdwa s[8:9], s61, v0 src0_sel:BYTE_0 src1_sel:DWORD
	s_and_b64 vcc, exec, s[8:9]
	s_cbranch_vccnz .LBB127_502
; %bb.500:
	v_cmp_eq_u16_sdwa s[8:9], s61, v0 src0_sel:BYTE_0 src1_sel:DWORD
	s_and_b64 vcc, exec, s[8:9]
	s_cbranch_vccz .LBB127_503
; %bb.501:
	s_mov_b64 s[8:9], 0
	s_mov_b32 s12, 0x7f800001
	s_branch .LBB127_504
.LBB127_502:
	s_mov_b64 s[10:11], -1
	s_mov_b64 s[8:9], 0
                                        ; implicit-def: $sgpr12
	s_branch .LBB127_505
.LBB127_503:
	s_mov_b64 s[8:9], -1
                                        ; implicit-def: $sgpr12
.LBB127_504:
	s_mov_b64 s[10:11], 0
.LBB127_505:
	s_and_b64 vcc, exec, s[10:11]
	s_cbranch_vccz .LBB127_507
; %bb.506:
	v_mov_b32_e32 v0, 0
	s_mov_b32 s12, 0
	v_cmp_ne_u16_sdwa s[8:9], s61, v0 src0_sel:BYTE_0 src1_sel:DWORD
.LBB127_507:
	s_andn2_b64 vcc, exec, s[8:9]
	s_cbranch_vccnz .LBB127_509
; %bb.508:
	s_mov_b32 s12, s62
.LBB127_509:
	s_bfe_u32 s8, s12, 0x10010
	s_add_i32 s8, s12, s8
	s_addk_i32 s8, 0x7fff
	s_lshr_b32 s10, s8, 16
	v_cmp_o_f32_e64 s[8:9], s12, s12
	s_and_b64 s[8:9], s[8:9], exec
	s_cselect_b32 s8, s10, 0x7fc0
	v_mov_b32_e32 v0, s8
	global_store_short v[10:11], v0, off
	s_mov_b64 s[10:11], -1
	s_mov_b64 s[8:9], 0
.LBB127_510:
	s_mov_b64 s[12:13], 0
.LBB127_511:
	s_and_b64 vcc, exec, s[12:13]
	s_cbranch_vccz .LBB127_524
; %bb.512:
	v_cmp_eq_u16_e32 vcc, 11, v13
	s_mov_b64 s[8:9], -1
	s_cbranch_vccz .LBB127_524
; %bb.513:
	v_mov_b32_e32 v0, 0x80
	v_cmp_lt_i16_sdwa s[8:9], s61, v0 src0_sel:BYTE_0 src1_sel:DWORD
	s_and_b64 vcc, exec, s[8:9]
	s_cbranch_vccnz .LBB127_516
; %bb.514:
	v_cmp_eq_u16_sdwa s[8:9], s61, v0 src0_sel:BYTE_0 src1_sel:DWORD
	s_and_b64 vcc, exec, s[8:9]
	s_cbranch_vccz .LBB127_517
; %bb.515:
	s_mov_b64 s[10:11], 0
	s_mov_b64 s[8:9], -1
	s_branch .LBB127_518
.LBB127_516:
	s_mov_b64 s[12:13], -1
	s_mov_b64 s[10:11], 0
                                        ; implicit-def: $sgpr8_sgpr9
	s_branch .LBB127_519
.LBB127_517:
	s_mov_b64 s[10:11], -1
                                        ; implicit-def: $sgpr8_sgpr9
.LBB127_518:
	s_mov_b64 s[12:13], 0
.LBB127_519:
	s_and_b64 vcc, exec, s[12:13]
	s_cbranch_vccz .LBB127_521
; %bb.520:
	v_mov_b32_e32 v0, 0
	v_cmp_ne_u16_sdwa s[10:11], s61, v0 src0_sel:BYTE_0 src1_sel:DWORD
	s_mov_b64 s[8:9], 0
.LBB127_521:
	s_andn2_b64 vcc, exec, s[10:11]
	s_cbranch_vccnz .LBB127_523
; %bb.522:
	s_mov_b64 s[8:9], s[6:7]
.LBB127_523:
	v_cndmask_b32_e64 v0, 0, 1, s[8:9]
	global_store_byte v[10:11], v0, off
	s_mov_b64 s[10:11], -1
	s_mov_b64 s[8:9], 0
.LBB127_524:
	s_branch .LBB127_361
.LBB127_525:
	v_cmp_gt_i16_e32 vcc, 5, v13
	s_mov_b64 s[10:11], -1
	s_cbranch_vccnz .LBB127_606
; %bb.526:
	v_cmp_gt_i16_e32 vcc, 8, v13
	s_cbranch_vccnz .LBB127_566
; %bb.527:
	v_cmp_gt_i16_e32 vcc, 9, v13
	s_cbranch_vccnz .LBB127_553
; %bb.528:
	v_cmp_lt_i16_e32 vcc, 9, v13
	s_cbranch_vccz .LBB127_540
; %bb.529:
	v_mov_b32_e32 v0, 0x80
	v_cmp_lt_i16_sdwa s[10:11], s61, v0 src0_sel:BYTE_0 src1_sel:DWORD
	s_and_b64 vcc, exec, s[10:11]
	s_cbranch_vccnz .LBB127_532
; %bb.530:
	v_cmp_eq_u16_sdwa s[10:11], s61, v0 src0_sel:BYTE_0 src1_sel:DWORD
	s_and_b64 vcc, exec, s[10:11]
	s_cbranch_vccz .LBB127_533
; %bb.531:
	s_mov_b64 s[10:11], 0
	s_mov_b32 s13, 0x7ff80000
	s_brev_b32 s12, 4
	s_branch .LBB127_534
.LBB127_532:
	s_mov_b64 s[14:15], -1
	s_mov_b64 s[10:11], 0
                                        ; implicit-def: $sgpr12_sgpr13
	s_branch .LBB127_535
.LBB127_533:
	s_mov_b64 s[10:11], -1
                                        ; implicit-def: $sgpr12_sgpr13
.LBB127_534:
	s_mov_b64 s[14:15], 0
.LBB127_535:
	s_and_b64 vcc, exec, s[14:15]
	s_cbranch_vccz .LBB127_537
; %bb.536:
	v_mov_b32_e32 v0, 0
	v_cmp_ne_u16_sdwa s[10:11], s61, v0 src0_sel:BYTE_0 src1_sel:DWORD
	s_mov_b64 s[12:13], 0
.LBB127_537:
	s_andn2_b64 vcc, exec, s[10:11]
	v_pk_mov_b32 v[0:1], s[12:13], s[12:13] op_sel:[0,1]
	s_cbranch_vccnz .LBB127_539
; %bb.538:
	v_pk_mov_b32 v[0:1], v[6:7], v[6:7] op_sel:[0,1]
.LBB127_539:
	v_mov_b32_e32 v2, 0
	v_mov_b32_e32 v3, v2
	global_store_dwordx4 v[10:11], v[0:3], off
	s_mov_b64 s[10:11], 0
.LBB127_540:
	s_and_b64 vcc, exec, s[10:11]
	s_cbranch_vccz .LBB127_552
; %bb.541:
	v_mov_b32_e32 v0, 0x80
	v_cmp_lt_i16_sdwa s[10:11], s61, v0 src0_sel:BYTE_0 src1_sel:DWORD
	s_and_b64 vcc, exec, s[10:11]
	s_cbranch_vccnz .LBB127_544
; %bb.542:
	v_cmp_eq_u16_sdwa s[10:11], s61, v0 src0_sel:BYTE_0 src1_sel:DWORD
	s_and_b64 vcc, exec, s[10:11]
	s_cbranch_vccz .LBB127_545
; %bb.543:
	s_mov_b64 s[10:11], 0
	s_mov_b32 s14, 0x7f800001
	s_branch .LBB127_546
.LBB127_544:
	s_mov_b64 s[12:13], -1
	s_mov_b64 s[10:11], 0
                                        ; implicit-def: $sgpr14
	s_branch .LBB127_547
.LBB127_545:
	s_mov_b64 s[10:11], -1
                                        ; implicit-def: $sgpr14
.LBB127_546:
	s_mov_b64 s[12:13], 0
.LBB127_547:
	s_and_b64 vcc, exec, s[12:13]
	v_mov_b32_e32 v0, s14
	s_cbranch_vccz .LBB127_549
; %bb.548:
	s_mov_b32 s10, 0xffff
	v_mov_b32_e32 v0, s61
	v_mov_b32_e32 v1, 0
	v_and_b32_sdwa v0, s10, v0 dst_sel:DWORD dst_unused:UNUSED_PAD src0_sel:DWORD src1_sel:BYTE_0
	v_cmp_ne_u16_sdwa s[10:11], s61, v1 src0_sel:BYTE_0 src1_sel:DWORD
.LBB127_549:
	s_andn2_b64 vcc, exec, s[10:11]
	s_cbranch_vccnz .LBB127_551
; %bb.550:
	v_mov_b32_e32 v0, s62
.LBB127_551:
	v_mov_b32_e32 v1, 0
	global_store_dwordx2 v[10:11], v[0:1], off
.LBB127_552:
	s_mov_b64 s[10:11], 0
.LBB127_553:
	s_andn2_b64 vcc, exec, s[10:11]
	s_cbranch_vccnz .LBB127_565
; %bb.554:
	v_mov_b32_e32 v0, 0x80
	v_cmp_lt_i16_sdwa s[10:11], s61, v0 src0_sel:BYTE_0 src1_sel:DWORD
	s_and_b64 vcc, exec, s[10:11]
	s_cbranch_vccnz .LBB127_557
; %bb.555:
	v_cmp_eq_u16_sdwa s[10:11], s61, v0 src0_sel:BYTE_0 src1_sel:DWORD
	s_and_b64 vcc, exec, s[10:11]
	s_cbranch_vccz .LBB127_558
; %bb.556:
	s_mov_b64 s[10:11], 0
	s_movk_i32 s14, 0x7e00
	s_branch .LBB127_559
.LBB127_557:
	s_mov_b64 s[12:13], -1
	s_mov_b64 s[10:11], 0
                                        ; implicit-def: $sgpr14
	s_branch .LBB127_560
.LBB127_558:
	s_mov_b64 s[10:11], -1
                                        ; implicit-def: $sgpr14
.LBB127_559:
	s_mov_b64 s[12:13], 0
.LBB127_560:
	s_and_b64 vcc, exec, s[12:13]
	v_mov_b32_e32 v0, s14
	s_cbranch_vccz .LBB127_562
; %bb.561:
	s_mov_b32 s10, 0xffff
	v_mov_b32_e32 v0, s61
	v_mov_b32_e32 v1, 0
	v_and_b32_sdwa v0, s10, v0 dst_sel:DWORD dst_unused:UNUSED_PAD src0_sel:DWORD src1_sel:BYTE_0
	v_cmp_ne_u16_sdwa s[10:11], s61, v1 src0_sel:BYTE_0 src1_sel:DWORD
.LBB127_562:
	s_andn2_b64 vcc, exec, s[10:11]
	s_cbranch_vccnz .LBB127_564
; %bb.563:
	v_mov_b32_e32 v0, v14
.LBB127_564:
	global_store_dword v[10:11], v0, off
.LBB127_565:
	s_mov_b64 s[10:11], 0
.LBB127_566:
	s_andn2_b64 vcc, exec, s[10:11]
	s_cbranch_vccnz .LBB127_605
; %bb.567:
	v_cmp_gt_i16_e32 vcc, 6, v13
	s_mov_b64 s[10:11], -1
	s_cbranch_vccnz .LBB127_593
; %bb.568:
	v_cmp_lt_i16_e32 vcc, 6, v13
	s_cbranch_vccz .LBB127_580
; %bb.569:
	v_mov_b32_e32 v0, 0x80
	v_cmp_lt_i16_sdwa s[10:11], s61, v0 src0_sel:BYTE_0 src1_sel:DWORD
	s_and_b64 vcc, exec, s[10:11]
	s_cbranch_vccnz .LBB127_572
; %bb.570:
	v_cmp_eq_u16_sdwa s[10:11], s61, v0 src0_sel:BYTE_0 src1_sel:DWORD
	s_and_b64 vcc, exec, s[10:11]
	s_cbranch_vccz .LBB127_573
; %bb.571:
	s_mov_b64 s[10:11], 0
	s_mov_b32 s13, 0x7ff80000
	s_brev_b32 s12, 4
	s_branch .LBB127_574
.LBB127_572:
	s_mov_b64 s[14:15], -1
	s_mov_b64 s[10:11], 0
                                        ; implicit-def: $sgpr12_sgpr13
	s_branch .LBB127_575
.LBB127_573:
	s_mov_b64 s[10:11], -1
                                        ; implicit-def: $sgpr12_sgpr13
.LBB127_574:
	s_mov_b64 s[14:15], 0
.LBB127_575:
	s_and_b64 vcc, exec, s[14:15]
	s_cbranch_vccz .LBB127_577
; %bb.576:
	v_mov_b32_e32 v0, 0
	v_cmp_ne_u16_sdwa s[10:11], s61, v0 src0_sel:BYTE_0 src1_sel:DWORD
	s_mov_b64 s[12:13], 0
.LBB127_577:
	s_andn2_b64 vcc, exec, s[10:11]
	v_pk_mov_b32 v[0:1], s[12:13], s[12:13] op_sel:[0,1]
	s_cbranch_vccnz .LBB127_579
; %bb.578:
	v_pk_mov_b32 v[0:1], v[6:7], v[6:7] op_sel:[0,1]
.LBB127_579:
	global_store_dwordx2 v[10:11], v[0:1], off
	s_mov_b64 s[10:11], 0
.LBB127_580:
	s_and_b64 vcc, exec, s[10:11]
	s_cbranch_vccz .LBB127_592
; %bb.581:
	v_mov_b32_e32 v0, 0x80
	v_cmp_lt_i16_sdwa s[10:11], s61, v0 src0_sel:BYTE_0 src1_sel:DWORD
	s_and_b64 vcc, exec, s[10:11]
	s_cbranch_vccnz .LBB127_584
; %bb.582:
	v_cmp_eq_u16_sdwa s[10:11], s61, v0 src0_sel:BYTE_0 src1_sel:DWORD
	s_and_b64 vcc, exec, s[10:11]
	s_cbranch_vccz .LBB127_585
; %bb.583:
	s_mov_b64 s[10:11], 0
	s_mov_b32 s14, 0x7f800001
	s_branch .LBB127_586
.LBB127_584:
	s_mov_b64 s[12:13], -1
	s_mov_b64 s[10:11], 0
                                        ; implicit-def: $sgpr14
	s_branch .LBB127_587
.LBB127_585:
	s_mov_b64 s[10:11], -1
                                        ; implicit-def: $sgpr14
.LBB127_586:
	s_mov_b64 s[12:13], 0
.LBB127_587:
	s_and_b64 vcc, exec, s[12:13]
	s_cbranch_vccz .LBB127_589
; %bb.588:
	v_mov_b32_e32 v0, 0
	s_mov_b32 s14, 0
	v_cmp_ne_u16_sdwa s[10:11], s61, v0 src0_sel:BYTE_0 src1_sel:DWORD
.LBB127_589:
	s_andn2_b64 vcc, exec, s[10:11]
	s_cbranch_vccnz .LBB127_591
; %bb.590:
	s_mov_b32 s14, s62
.LBB127_591:
	v_mov_b32_e32 v0, s14
	global_store_dword v[10:11], v0, off
.LBB127_592:
	s_mov_b64 s[10:11], 0
.LBB127_593:
	s_andn2_b64 vcc, exec, s[10:11]
	s_cbranch_vccnz .LBB127_605
; %bb.594:
	v_mov_b32_e32 v0, 0xff
	v_and_b32_e32 v0, s61, v0
	s_movk_i32 s10, 0x80
	v_cmp_gt_i16_e32 vcc, s10, v0
	s_cbranch_vccnz .LBB127_597
; %bb.595:
	v_cmp_eq_u16_e32 vcc, s10, v0
	s_cbranch_vccz .LBB127_598
; %bb.596:
	s_mov_b64 s[10:11], 0
	s_movk_i32 s14, 0x7e00
	s_branch .LBB127_599
.LBB127_597:
	s_mov_b64 s[12:13], -1
	s_mov_b64 s[10:11], 0
                                        ; implicit-def: $sgpr14
	s_branch .LBB127_600
.LBB127_598:
	s_mov_b64 s[10:11], -1
                                        ; implicit-def: $sgpr14
.LBB127_599:
	s_mov_b64 s[12:13], 0
.LBB127_600:
	s_and_b64 vcc, exec, s[12:13]
	v_mov_b32_e32 v1, s14
	s_cbranch_vccz .LBB127_602
; %bb.601:
	v_cmp_ne_u16_e64 s[10:11], 0, v0
	v_mov_b32_e32 v1, v0
.LBB127_602:
	s_andn2_b64 vcc, exec, s[10:11]
	s_cbranch_vccnz .LBB127_604
; %bb.603:
	v_mov_b32_e32 v1, v14
.LBB127_604:
	global_store_short v[10:11], v1, off
.LBB127_605:
	s_mov_b64 s[10:11], 0
.LBB127_606:
	s_andn2_b64 vcc, exec, s[10:11]
	s_cbranch_vccnz .LBB127_657
; %bb.607:
	v_cmp_gt_i16_e32 vcc, 2, v13
	s_mov_b64 s[10:11], -1
	s_cbranch_vccnz .LBB127_638
; %bb.608:
	v_cmp_gt_i16_e32 vcc, 3, v13
	s_cbranch_vccnz .LBB127_628
; %bb.609:
	v_cmp_lt_i16_e32 vcc, 3, v13
	s_cbranch_vccz .LBB127_618
; %bb.610:
	v_mov_b32_e32 v0, 0x80
	v_cmp_lt_i16_sdwa s[10:11], s61, v0 src0_sel:BYTE_0 src1_sel:DWORD
	s_and_b64 vcc, exec, s[10:11]
	s_cbranch_vccnz .LBB127_612
; %bb.611:
	v_cmp_ne_u16_sdwa s[10:11], s61, v0 src0_sel:BYTE_0 src1_sel:DWORD
	s_mov_b64 s[14:15], 0
	s_mov_b64 s[12:13], 0
	s_branch .LBB127_613
.LBB127_612:
	s_mov_b64 s[14:15], -1
	s_mov_b64 s[10:11], 0
                                        ; implicit-def: $sgpr12_sgpr13
.LBB127_613:
	s_andn2_b64 vcc, exec, s[14:15]
	s_cbranch_vccnz .LBB127_615
; %bb.614:
	v_mov_b32_e32 v0, 0
	v_cmp_ne_u16_sdwa s[10:11], s61, v0 src0_sel:BYTE_0 src1_sel:DWORD
	s_mov_b64 s[12:13], 0
.LBB127_615:
	s_andn2_b64 vcc, exec, s[10:11]
	v_pk_mov_b32 v[0:1], s[12:13], s[12:13] op_sel:[0,1]
	s_cbranch_vccnz .LBB127_617
; %bb.616:
	v_pk_mov_b32 v[0:1], v[4:5], v[4:5] op_sel:[0,1]
.LBB127_617:
	global_store_dwordx2 v[10:11], v[0:1], off
	s_mov_b64 s[10:11], 0
.LBB127_618:
	s_and_b64 vcc, exec, s[10:11]
	s_cbranch_vccz .LBB127_627
; %bb.619:
	v_mov_b32_e32 v0, 0x80
	v_cmp_lt_i16_sdwa s[10:11], s61, v0 src0_sel:BYTE_0 src1_sel:DWORD
	s_and_b64 vcc, exec, s[10:11]
	s_cbranch_vccnz .LBB127_621
; %bb.620:
	v_cmp_ne_u16_sdwa s[10:11], s61, v0 src0_sel:BYTE_0 src1_sel:DWORD
	s_mov_b64 s[12:13], 0
	s_mov_b32 s14, 0
	s_branch .LBB127_622
.LBB127_621:
	s_mov_b64 s[12:13], -1
	s_mov_b64 s[10:11], 0
                                        ; implicit-def: $sgpr14
.LBB127_622:
	s_andn2_b64 vcc, exec, s[12:13]
	s_cbranch_vccnz .LBB127_624
; %bb.623:
	v_mov_b32_e32 v0, 0
	s_mov_b32 s14, 0
	v_cmp_ne_u16_sdwa s[10:11], s61, v0 src0_sel:BYTE_0 src1_sel:DWORD
.LBB127_624:
	s_andn2_b64 vcc, exec, s[10:11]
	v_mov_b32_e32 v0, s14
	s_cbranch_vccnz .LBB127_626
; %bb.625:
	v_mov_b32_e32 v0, v12
.LBB127_626:
	global_store_dword v[10:11], v0, off
.LBB127_627:
	s_mov_b64 s[10:11], 0
.LBB127_628:
	s_andn2_b64 vcc, exec, s[10:11]
	s_cbranch_vccnz .LBB127_637
; %bb.629:
	v_mov_b32_e32 v0, 0x80
	v_cmp_lt_i16_sdwa s[10:11], s61, v0 src0_sel:BYTE_0 src1_sel:DWORD
	s_and_b64 vcc, exec, s[10:11]
	s_cbranch_vccnz .LBB127_631
; %bb.630:
	v_cmp_ne_u16_sdwa s[10:11], s61, v0 src0_sel:BYTE_0 src1_sel:DWORD
	s_mov_b64 s[12:13], 0
	s_mov_b32 s14, 0
	s_branch .LBB127_632
.LBB127_631:
	s_mov_b64 s[12:13], -1
	s_mov_b64 s[10:11], 0
                                        ; implicit-def: $sgpr14
.LBB127_632:
	s_andn2_b64 vcc, exec, s[12:13]
	s_cbranch_vccnz .LBB127_634
; %bb.633:
	v_mov_b32_e32 v0, 0
	s_mov_b32 s14, 0
	v_cmp_ne_u16_sdwa s[10:11], s61, v0 src0_sel:BYTE_0 src1_sel:DWORD
.LBB127_634:
	s_andn2_b64 vcc, exec, s[10:11]
	v_mov_b32_e32 v0, s14
	s_cbranch_vccnz .LBB127_636
; %bb.635:
	v_mov_b32_e32 v0, v12
.LBB127_636:
	global_store_short v[10:11], v0, off
.LBB127_637:
	s_mov_b64 s[10:11], 0
.LBB127_638:
	s_andn2_b64 vcc, exec, s[10:11]
	s_cbranch_vccnz .LBB127_657
; %bb.639:
	v_cmp_lt_i16_e32 vcc, 0, v13
	s_mov_b64 s[10:11], -1
	s_cbranch_vccz .LBB127_648
; %bb.640:
	v_mov_b32_e32 v0, 0x80
	v_cmp_lt_i16_sdwa s[10:11], s61, v0 src0_sel:BYTE_0 src1_sel:DWORD
	s_and_b64 vcc, exec, s[10:11]
	s_cbranch_vccnz .LBB127_642
; %bb.641:
	v_cmp_ne_u16_sdwa s[10:11], s61, v0 src0_sel:BYTE_0 src1_sel:DWORD
	s_mov_b64 s[12:13], 0
	s_mov_b32 s14, 0
	s_branch .LBB127_643
.LBB127_642:
	s_mov_b64 s[12:13], -1
	s_mov_b64 s[10:11], 0
                                        ; implicit-def: $sgpr14
.LBB127_643:
	s_andn2_b64 vcc, exec, s[12:13]
	s_cbranch_vccnz .LBB127_645
; %bb.644:
	v_mov_b32_e32 v0, 0
	s_mov_b32 s14, 0
	v_cmp_ne_u16_sdwa s[10:11], s61, v0 src0_sel:BYTE_0 src1_sel:DWORD
.LBB127_645:
	s_andn2_b64 vcc, exec, s[10:11]
	v_mov_b32_e32 v0, s14
	s_cbranch_vccnz .LBB127_647
; %bb.646:
	v_mov_b32_e32 v0, v12
.LBB127_647:
	global_store_byte v[10:11], v0, off
	s_mov_b64 s[10:11], 0
.LBB127_648:
	s_and_b64 vcc, exec, s[10:11]
	s_cbranch_vccz .LBB127_657
; %bb.649:
	v_mov_b32_e32 v0, 0x80
	v_cmp_lt_i16_sdwa s[10:11], s61, v0 src0_sel:BYTE_0 src1_sel:DWORD
	s_and_b64 vcc, exec, s[10:11]
	s_cbranch_vccnz .LBB127_651
; %bb.650:
	v_cmp_ne_u16_sdwa s[10:11], s61, v0 src0_sel:BYTE_0 src1_sel:DWORD
	s_mov_b64 s[12:13], 0
	s_mov_b32 s14, 0
	s_branch .LBB127_652
.LBB127_651:
	s_mov_b64 s[12:13], -1
	s_mov_b64 s[10:11], 0
                                        ; implicit-def: $sgpr14
.LBB127_652:
	s_andn2_b64 vcc, exec, s[12:13]
	s_cbranch_vccnz .LBB127_654
; %bb.653:
	v_mov_b32_e32 v0, 0
	s_mov_b32 s14, 0
	v_cmp_ne_u16_sdwa s[10:11], s61, v0 src0_sel:BYTE_0 src1_sel:DWORD
.LBB127_654:
	s_andn2_b64 vcc, exec, s[10:11]
	v_mov_b32_e32 v0, s14
	s_cbranch_vccnz .LBB127_656
; %bb.655:
	v_mov_b32_e32 v0, v4
.LBB127_656:
	global_store_byte v[10:11], v0, off
.LBB127_657:
	s_branch .LBB127_362
.LBB127_658:
	s_mov_b64 s[10:11], 0
                                        ; implicit-def: $vgpr15
.LBB127_659:
	s_andn2_b64 s[12:13], s[46:47], exec
	s_and_b64 s[8:9], s[8:9], exec
	s_or_b64 s[50:51], s[12:13], s[8:9]
	s_orn2_b64 s[8:9], s[10:11], exec
.LBB127_660:
	s_or_b64 exec, exec, s[52:53]
	s_mov_b64 s[10:11], 0
	s_mov_b64 s[12:13], 0
                                        ; implicit-def: $vgpr10_vgpr11
	s_and_saveexec_b64 s[52:53], s[8:9]
	s_cbranch_execz .LBB127_1164
; %bb.661:
	v_cmp_gt_i32_e32 vcc, s64, v15
	s_mov_b64 s[10:11], -1
	s_mov_b64 s[56:57], s[50:51]
	s_and_saveexec_b64 s[54:55], vcc
	s_cbranch_execz .LBB127_987
; %bb.662:
	s_andn2_b64 vcc, exec, s[30:31]
	s_cbranch_vccnz .LBB127_667
; %bb.663:
	s_andn2_b64 vcc, exec, s[44:45]
	s_cbranch_vccnz .LBB127_668
; %bb.664:
	s_add_i32 s67, s65, 1
	s_mov_b32 s66, 0
	s_cmp_eq_u32 s60, 2
	v_mov_b32_e32 v0, 0
	s_cbranch_scc1 .LBB127_669
; %bb.665:
	s_and_b32 s66, s67, 28
	s_mov_b32 s68, 0
	v_mov_b32_e32 v0, 0
	s_mov_b64 s[56:57], s[24:25]
	s_mov_b64 s[58:59], s[42:43]
	v_mov_b32_e32 v2, v15
.LBB127_666:                            ; =>This Inner Loop Header: Depth=1
	s_load_dwordx8 s[8:15], s[56:57], 0x4
	s_load_dwordx4 s[16:19], s[56:57], 0x24
	s_load_dwordx4 s[20:23], s[58:59], 0x0
	s_add_u32 s56, s56, 48
	s_addc_u32 s57, s57, 0
	s_waitcnt lgkmcnt(0)
	v_mul_hi_u32 v1, s9, v2
	v_add_u32_e32 v1, v2, v1
	v_lshrrev_b32_e32 v1, s10, v1
	v_mul_lo_u32 v3, v1, s8
	v_mul_hi_u32 v10, s12, v1
	v_sub_u32_e32 v2, v2, v3
	v_add_u32_e32 v3, v1, v10
	v_lshrrev_b32_e32 v3, s13, v3
	v_mul_lo_u32 v10, v3, s11
	v_mul_hi_u32 v11, s15, v3
	v_sub_u32_e32 v1, v1, v10
	v_add_u32_e32 v10, v3, v11
	v_mul_lo_u32 v2, v2, s20
	v_mul_lo_u32 v1, v1, s21
	v_lshrrev_b32_e32 v10, s16, v10
	v_add3_u32 v0, v2, v0, v1
	v_mul_hi_u32 v2, s18, v10
	v_add_u32_e32 v2, v10, v2
	v_mul_lo_u32 v1, v10, s14
	v_lshrrev_b32_e32 v2, s19, v2
	s_add_i32 s68, s68, 4
	v_sub_u32_e32 v1, v3, v1
	v_mul_lo_u32 v3, v2, s17
	s_add_u32 s58, s58, 16
	v_sub_u32_e32 v3, v10, v3
	s_addc_u32 s59, s59, 0
	v_mul_lo_u32 v1, v1, s22
	v_mul_lo_u32 v3, v3, s23
	s_cmp_eq_u32 s66, s68
	v_add3_u32 v0, v1, v0, v3
	s_cbranch_scc0 .LBB127_666
	s_branch .LBB127_670
.LBB127_667:
	s_mov_b64 s[8:9], -1
                                        ; implicit-def: $vgpr0
	s_branch .LBB127_674
.LBB127_668:
	v_mov_b32_e32 v0, 0
	s_branch .LBB127_673
.LBB127_669:
	v_mov_b32_e32 v2, v15
.LBB127_670:
	s_and_b32 s12, s67, 3
	s_cmp_eq_u32 s12, 0
	s_cbranch_scc1 .LBB127_673
; %bb.671:
	s_lshl_b32 s8, s66, 2
	s_add_u32 s8, s8, s24
	s_addc_u32 s9, s25, 0
	s_add_u32 s8, s8, 0xc4
	s_addc_u32 s9, s9, 0
	s_mul_i32 s10, s66, 12
	s_add_u32 s10, s24, s10
	s_addc_u32 s11, s25, 0
.LBB127_672:                            ; =>This Inner Loop Header: Depth=1
	s_load_dwordx2 s[14:15], s[10:11], 0x4
	s_load_dword s13, s[10:11], 0xc
	s_load_dword s16, s[8:9], 0x0
	s_add_u32 s10, s10, 12
	s_addc_u32 s11, s11, 0
	s_waitcnt lgkmcnt(0)
	v_mul_hi_u32 v1, s15, v2
	v_add_u32_e32 v1, v2, v1
	v_lshrrev_b32_e32 v1, s13, v1
	s_add_u32 s8, s8, 4
	v_mul_lo_u32 v3, v1, s14
	s_addc_u32 s9, s9, 0
	s_add_i32 s12, s12, -1
	v_sub_u32_e32 v3, v2, v3
	s_cmp_lg_u32 s12, 0
	v_mov_b32_e32 v2, v1
	v_mad_u64_u32 v[0:1], s[14:15], v3, s16, v[0:1]
	s_cbranch_scc1 .LBB127_672
.LBB127_673:
	s_mov_b64 s[8:9], 0
.LBB127_674:
	s_andn2_b64 vcc, exec, s[8:9]
	s_cbranch_vccnz .LBB127_677
; %bb.675:
	v_mul_hi_u32 v0, s1, v15
	v_add_u32_e32 v0, v15, v0
	v_lshrrev_b32_e32 v1, s2, v0
	v_mul_lo_u32 v0, v1, s0
	v_sub_u32_e32 v0, v15, v0
	s_andn2_b64 vcc, exec, s[40:41]
	v_mul_lo_u32 v0, v0, s36
	s_cbranch_vccnz .LBB127_677
; %bb.676:
	v_mul_hi_u32 v2, s38, v1
	v_add_u32_e32 v2, v1, v2
	v_lshrrev_b32_e32 v2, s39, v2
	v_mul_lo_u32 v2, v2, s3
	v_sub_u32_e32 v1, v1, v2
	v_mad_u64_u32 v[0:1], s[8:9], v1, s37, v[0:1]
.LBB127_677:
	v_mov_b32_e32 v1, s35
	v_add_co_u32_e32 v10, vcc, s34, v0
	v_addc_co_u32_e32 v11, vcc, 0, v1, vcc
	v_cmp_gt_i16_e32 vcc, 11, v13
	s_cbranch_vccnz .LBB127_686
; %bb.678:
	v_cmp_lt_i16_e32 vcc, 25, v13
	s_cbranch_vccz .LBB127_687
; %bb.679:
	v_cmp_lt_i16_e32 vcc, 28, v13
	s_cbranch_vccz .LBB127_688
	;; [unrolled: 3-line block ×4, first 2 shown]
; %bb.682:
	v_cmp_eq_u16_e32 vcc, 46, v13
	s_mov_b64 s[12:13], 0
	s_mov_b64 s[8:9], -1
	s_mov_b64 s[10:11], 0
	s_cbranch_vccz .LBB127_699
; %bb.683:
	v_mov_b32_e32 v0, 0x80
	v_cmp_lt_i16_sdwa s[8:9], s61, v0 src0_sel:BYTE_0 src1_sel:DWORD
	s_and_b64 vcc, exec, s[8:9]
	s_cbranch_vccnz .LBB127_691
; %bb.684:
	v_cmp_eq_u16_sdwa s[8:9], s61, v0 src0_sel:BYTE_0 src1_sel:DWORD
	s_and_b64 vcc, exec, s[8:9]
	s_cbranch_vccz .LBB127_692
; %bb.685:
	s_mov_b64 s[8:9], 0
	s_mov_b32 s14, 0x7f800001
	s_branch .LBB127_694
.LBB127_686:
	s_mov_b64 s[12:13], -1
	s_mov_b64 s[10:11], 0
	s_mov_b64 s[8:9], s[50:51]
	s_branch .LBB127_849
.LBB127_687:
	s_mov_b64 s[12:13], -1
	s_mov_b64 s[10:11], 0
	s_mov_b64 s[8:9], s[50:51]
	s_branch .LBB127_769
.LBB127_688:
	s_mov_b64 s[12:13], -1
	s_mov_b64 s[10:11], 0
	s_mov_b64 s[8:9], s[50:51]
	s_branch .LBB127_726
.LBB127_689:
	s_mov_b64 s[12:13], -1
	s_mov_b64 s[10:11], 0
	s_mov_b64 s[8:9], s[50:51]
	s_branch .LBB127_713
.LBB127_690:
	s_mov_b64 s[12:13], -1
	s_mov_b64 s[10:11], 0
	s_mov_b64 s[8:9], s[50:51]
	s_branch .LBB127_699
.LBB127_691:
	s_mov_b64 s[10:11], -1
	s_mov_b64 s[8:9], 0
	s_branch .LBB127_693
.LBB127_692:
	s_mov_b64 s[8:9], -1
.LBB127_693:
                                        ; implicit-def: $sgpr14
.LBB127_694:
	s_and_b64 vcc, exec, s[10:11]
	s_cbranch_vccz .LBB127_696
; %bb.695:
	v_mov_b32_e32 v0, 0
	s_mov_b32 s14, 0
	v_cmp_ne_u16_sdwa s[8:9], s61, v0 src0_sel:BYTE_0 src1_sel:DWORD
.LBB127_696:
	s_andn2_b64 vcc, exec, s[8:9]
	s_cbranch_vccnz .LBB127_698
; %bb.697:
	s_mov_b32 s14, s62
.LBB127_698:
	s_bfe_u32 s8, s14, 0x10010
	s_add_i32 s8, s14, s8
	s_addk_i32 s8, 0x7fff
	s_lshr_b32 s10, s8, 16
	v_cmp_o_f32_e64 s[8:9], s14, s14
	s_and_b64 s[8:9], s[8:9], exec
	s_cselect_b32 s8, s10, 0x7fc0
	v_mov_b32_e32 v0, s8
	global_store_dword v[10:11], v0, off
	s_mov_b64 s[10:11], -1
	s_mov_b64 s[8:9], 0
.LBB127_699:
	s_and_b64 vcc, exec, s[12:13]
	s_cbranch_vccz .LBB127_712
; %bb.700:
	v_cmp_eq_u16_e32 vcc, 44, v13
	s_mov_b64 s[8:9], -1
	s_cbranch_vccz .LBB127_712
; %bb.701:
	v_mov_b32_e32 v0, 0xff
	v_and_b32_e32 v0, s61, v0
	s_movk_i32 s8, 0x80
	v_cmp_gt_i16_e32 vcc, s8, v0
	v_readfirstlane_b32 s13, v0
	s_cbranch_vccnz .LBB127_704
; %bb.702:
	v_mov_b32_e32 v0, 0x80
	v_cmp_eq_u16_e32 vcc, s13, v0
	s_cbranch_vccz .LBB127_705
; %bb.703:
	s_mov_b64 s[8:9], 0
	s_mov_b32 s12, 0x7f800001
	s_branch .LBB127_706
.LBB127_704:
	s_mov_b64 s[10:11], -1
	s_mov_b64 s[8:9], 0
                                        ; implicit-def: $sgpr12
	s_branch .LBB127_707
.LBB127_705:
	s_mov_b64 s[8:9], -1
                                        ; implicit-def: $sgpr12
.LBB127_706:
	s_mov_b64 s[10:11], 0
.LBB127_707:
	s_and_b64 vcc, exec, s[10:11]
	s_cbranch_vccz .LBB127_717
; %bb.708:
	s_and_b32 s12, 0xffff, s13
	v_cmp_ne_u16_e64 s[8:9], s13, 0
	s_andn2_b64 vcc, exec, s[8:9]
	s_cbranch_vccz .LBB127_718
.LBB127_709:
	s_bfe_u32 s8, s12, 0x80017
	s_cmpk_eq_i32 s8, 0xff
	v_mov_b32_e32 v0, 0xff
	s_cbranch_scc1 .LBB127_711
.LBB127_710:
	s_lshr_b32 s13, s12, 23
	s_bitcmp1_b32 s12, 22
	s_cselect_b64 s[10:11], -1, 0
	s_and_b32 s9, s12, 0x3fffff
	s_or_b32 s8, s8, s9
	s_cmp_lg_u32 s8, 0
	s_cselect_b64 s[8:9], -1, 0
	s_and_b64 s[8:9], s[10:11], s[8:9]
	v_cndmask_b32_e64 v0, 0, 1, s[8:9]
	v_add_u32_e32 v0, s13, v0
.LBB127_711:
	s_mov_b64 s[10:11], -1
	s_mov_b64 s[8:9], 0
	global_store_byte v[10:11], v0, off
.LBB127_712:
	s_mov_b64 s[12:13], 0
.LBB127_713:
	s_and_b64 vcc, exec, s[12:13]
	s_cbranch_vccz .LBB127_725
; %bb.714:
	v_cmp_eq_u16_e32 vcc, 29, v13
	s_mov_b64 s[8:9], -1
	s_cbranch_vccz .LBB127_725
; %bb.715:
	v_mov_b32_e32 v0, 0x80
	v_cmp_lt_i16_sdwa s[8:9], s61, v0 src0_sel:BYTE_0 src1_sel:DWORD
	s_and_b64 vcc, exec, s[8:9]
	s_cbranch_vccnz .LBB127_719
; %bb.716:
	v_cmp_ne_u16_sdwa s[8:9], s61, v0 src0_sel:BYTE_0 src1_sel:DWORD
	s_mov_b64 s[12:13], 0
	s_mov_b64 s[10:11], 0
	s_branch .LBB127_720
.LBB127_717:
	s_andn2_b64 vcc, exec, s[8:9]
	s_cbranch_vccnz .LBB127_709
.LBB127_718:
	s_mov_b32 s12, s63
	s_bfe_u32 s8, s12, 0x80017
	s_cmpk_eq_i32 s8, 0xff
	v_mov_b32_e32 v0, 0xff
	s_cbranch_scc0 .LBB127_710
	s_branch .LBB127_711
.LBB127_719:
	s_mov_b64 s[12:13], -1
	s_mov_b64 s[8:9], 0
                                        ; implicit-def: $sgpr10_sgpr11
.LBB127_720:
	s_andn2_b64 vcc, exec, s[12:13]
	s_cbranch_vccnz .LBB127_722
; %bb.721:
	v_mov_b32_e32 v0, 0
	v_cmp_ne_u16_sdwa s[8:9], s61, v0 src0_sel:BYTE_0 src1_sel:DWORD
	s_mov_b64 s[10:11], 0
.LBB127_722:
	s_andn2_b64 vcc, exec, s[8:9]
	v_pk_mov_b32 v[0:1], s[10:11], s[10:11] op_sel:[0,1]
	s_cbranch_vccnz .LBB127_724
; %bb.723:
	v_pk_mov_b32 v[0:1], v[8:9], v[8:9] op_sel:[0,1]
.LBB127_724:
	global_store_dwordx2 v[10:11], v[0:1], off
	s_mov_b64 s[10:11], -1
	s_mov_b64 s[8:9], 0
.LBB127_725:
	s_mov_b64 s[12:13], 0
.LBB127_726:
	s_and_b64 vcc, exec, s[12:13]
	s_cbranch_vccz .LBB127_768
; %bb.727:
	v_cmp_gt_i16_e32 vcc, 27, v13
	s_mov_b64 s[10:11], -1
	s_cbranch_vccnz .LBB127_747
; %bb.728:
	v_cmp_lt_i16_e32 vcc, 27, v13
	s_cbranch_vccz .LBB127_737
; %bb.729:
	v_mov_b32_e32 v0, 0x80
	v_cmp_lt_i16_sdwa s[10:11], s61, v0 src0_sel:BYTE_0 src1_sel:DWORD
	s_and_b64 vcc, exec, s[10:11]
	s_cbranch_vccnz .LBB127_731
; %bb.730:
	v_cmp_ne_u16_sdwa s[10:11], s61, v0 src0_sel:BYTE_0 src1_sel:DWORD
	s_mov_b64 s[12:13], 0
	s_mov_b32 s14, 0
	s_branch .LBB127_732
.LBB127_731:
	s_mov_b64 s[12:13], -1
	s_mov_b64 s[10:11], 0
                                        ; implicit-def: $sgpr14
.LBB127_732:
	s_andn2_b64 vcc, exec, s[12:13]
	s_cbranch_vccnz .LBB127_734
; %bb.733:
	v_mov_b32_e32 v0, 0
	s_mov_b32 s14, 0
	v_cmp_ne_u16_sdwa s[10:11], s61, v0 src0_sel:BYTE_0 src1_sel:DWORD
.LBB127_734:
	s_andn2_b64 vcc, exec, s[10:11]
	v_mov_b32_e32 v0, s14
	s_cbranch_vccnz .LBB127_736
; %bb.735:
	v_mov_b32_e32 v0, v16
.LBB127_736:
	global_store_dword v[10:11], v0, off
	s_mov_b64 s[10:11], 0
.LBB127_737:
	s_and_b64 vcc, exec, s[10:11]
	s_cbranch_vccz .LBB127_746
; %bb.738:
	v_mov_b32_e32 v0, 0x80
	v_cmp_lt_i16_sdwa s[10:11], s61, v0 src0_sel:BYTE_0 src1_sel:DWORD
	s_and_b64 vcc, exec, s[10:11]
	s_cbranch_vccnz .LBB127_740
; %bb.739:
	v_cmp_ne_u16_sdwa s[10:11], s61, v0 src0_sel:BYTE_0 src1_sel:DWORD
	s_mov_b64 s[12:13], 0
	s_mov_b32 s14, 0
	s_branch .LBB127_741
.LBB127_740:
	s_mov_b64 s[12:13], -1
	s_mov_b64 s[10:11], 0
                                        ; implicit-def: $sgpr14
.LBB127_741:
	s_andn2_b64 vcc, exec, s[12:13]
	s_cbranch_vccnz .LBB127_743
; %bb.742:
	v_mov_b32_e32 v0, 0
	s_mov_b32 s14, 0
	v_cmp_ne_u16_sdwa s[10:11], s61, v0 src0_sel:BYTE_0 src1_sel:DWORD
.LBB127_743:
	s_andn2_b64 vcc, exec, s[10:11]
	v_mov_b32_e32 v0, s14
	s_cbranch_vccnz .LBB127_745
; %bb.744:
	v_mov_b32_e32 v0, v16
.LBB127_745:
	global_store_short v[10:11], v0, off
.LBB127_746:
	s_mov_b64 s[10:11], 0
.LBB127_747:
	s_andn2_b64 vcc, exec, s[10:11]
	s_cbranch_vccnz .LBB127_767
; %bb.748:
	v_mov_b32_e32 v0, 0x80
	v_cmp_lt_i16_sdwa s[10:11], s61, v0 src0_sel:BYTE_0 src1_sel:DWORD
	s_and_b64 vcc, exec, s[10:11]
	s_cbranch_vccnz .LBB127_751
; %bb.749:
	v_cmp_eq_u16_sdwa s[10:11], s61, v0 src0_sel:BYTE_0 src1_sel:DWORD
	s_and_b64 vcc, exec, s[10:11]
	s_cbranch_vccz .LBB127_752
; %bb.750:
	s_mov_b64 s[10:11], 0
	s_mov_b32 s14, 0x7f800001
	s_branch .LBB127_753
.LBB127_751:
	s_mov_b64 s[12:13], -1
	s_mov_b64 s[10:11], 0
                                        ; implicit-def: $sgpr14
	s_branch .LBB127_754
.LBB127_752:
	s_mov_b64 s[10:11], -1
                                        ; implicit-def: $sgpr14
.LBB127_753:
	s_mov_b64 s[12:13], 0
.LBB127_754:
	s_and_b64 vcc, exec, s[12:13]
	s_cbranch_vccz .LBB127_757
; %bb.755:
	v_mov_b32_e32 v0, 0
	s_mov_b32 s14, 0
	v_cmp_ne_u16_sdwa s[10:11], s61, v0 src0_sel:BYTE_0 src1_sel:DWORD
	s_andn2_b64 vcc, exec, s[10:11]
	s_cbranch_vccz .LBB127_758
.LBB127_756:
	s_and_b32 s10, s14, 0x7fffffff
	s_cmp_gt_u32 s10, 0x437fffff
	v_mov_b32_e32 v1, 0x80
	s_cbranch_scc0 .LBB127_759
	s_branch .LBB127_766
.LBB127_757:
	s_andn2_b64 vcc, exec, s[10:11]
	s_cbranch_vccnz .LBB127_756
.LBB127_758:
	s_mov_b32 s14, s62
	s_and_b32 s10, s14, 0x7fffffff
	s_cmp_gt_u32 s10, 0x437fffff
	v_mov_b32_e32 v1, 0x80
	s_cbranch_scc1 .LBB127_766
.LBB127_759:
	s_cmp_lt_u32 s10, 0x3c000000
	s_cbranch_scc1 .LBB127_761
; %bb.760:
	s_bfe_u32 s10, s14, 0x10014
	s_add_i32 s10, s14, s10
	s_add_i32 s10, s10, 0x487ffff
	s_lshr_b32 s15, s10, 20
	s_mov_b64 s[12:13], 0
	s_mov_b64 s[10:11], -1
	s_branch .LBB127_762
.LBB127_761:
	s_mov_b64 s[12:13], -1
	s_mov_b64 s[10:11], 0
                                        ; implicit-def: $sgpr15
.LBB127_762:
	s_andn2_b64 vcc, exec, s[12:13]
	v_mov_b32_e32 v0, s15
                                        ; implicit-def: $sgpr12
	s_cbranch_vccnz .LBB127_764
; %bb.763:
	v_mov_b32_e32 v0, 0x46000000
	v_add_f32_e64 v0, |s14|, v0
	v_and_b32_e32 v0, 0xff, v0
	s_mov_b32 s12, 0
	v_cmp_ne_u32_e64 s[10:11], 0, v0
.LBB127_764:
	s_andn2_b64 vcc, exec, s[10:11]
	v_mov_b32_e32 v1, s12
	s_cbranch_vccnz .LBB127_766
; %bb.765:
	s_lshr_b32 s10, s14, 24
	s_and_b32 s10, s10, 0x80
	v_or_b32_e32 v1, s10, v0
.LBB127_766:
	global_store_byte v[10:11], v1, off
.LBB127_767:
	s_mov_b64 s[10:11], -1
.LBB127_768:
	s_mov_b64 s[12:13], 0
.LBB127_769:
	s_and_b64 vcc, exec, s[12:13]
	s_cbranch_vccz .LBB127_848
; %bb.770:
	v_cmp_lt_i16_e32 vcc, 22, v13
	s_mov_b64 s[12:13], -1
	s_cbranch_vccz .LBB127_820
; %bb.771:
	v_cmp_gt_i16_e32 vcc, 24, v13
	s_mov_b64 s[10:11], -1
	s_cbranch_vccnz .LBB127_797
; %bb.772:
	v_cmp_lt_i16_e32 vcc, 24, v13
	s_cbranch_vccz .LBB127_774
; %bb.773:
	v_mov_b32_e32 v0, s61
	s_mov_b64 s[10:11], 0
	global_store_byte v[10:11], v0, off
.LBB127_774:
	s_andn2_b64 vcc, exec, s[10:11]
	s_cbranch_vccnz .LBB127_796
; %bb.775:
	v_mov_b32_e32 v0, 0x80
	v_cmp_lt_i16_sdwa s[10:11], s61, v0 src0_sel:BYTE_0 src1_sel:DWORD
	s_and_b64 vcc, exec, s[10:11]
	s_cbranch_vccnz .LBB127_778
; %bb.776:
	v_cmp_eq_u16_sdwa s[10:11], s61, v0 src0_sel:BYTE_0 src1_sel:DWORD
	s_and_b64 vcc, exec, s[10:11]
	s_cbranch_vccz .LBB127_779
; %bb.777:
	s_mov_b64 s[10:11], 0
	s_mov_b32 s14, 0x7f800001
	s_branch .LBB127_780
.LBB127_778:
	s_mov_b64 s[10:11], 0
                                        ; implicit-def: $sgpr14
	s_branch .LBB127_781
.LBB127_779:
	s_mov_b64 s[10:11], -1
                                        ; implicit-def: $sgpr14
.LBB127_780:
	s_mov_b64 s[12:13], 0
.LBB127_781:
	s_and_b64 vcc, exec, s[12:13]
	s_cbranch_vccz .LBB127_786
; %bb.782:
	v_mov_b32_e32 v0, 0
	s_mov_b32 s14, 0
	v_cmp_ne_u16_sdwa s[10:11], s61, v0 src0_sel:BYTE_0 src1_sel:DWORD
	s_andn2_b64 vcc, exec, s[10:11]
	s_cbranch_vccz .LBB127_787
.LBB127_783:
	s_and_b32 s12, s14, 0x7fffffff
	s_cmp_gt_u32 s12, 0x43efffff
	s_cbranch_scc1 .LBB127_788
.LBB127_784:
	s_cmp_lt_u32 s12, 0x3c800000
	s_cbranch_scc1 .LBB127_789
; %bb.785:
	s_bfe_u32 s10, s14, 0x10014
	s_add_i32 s10, s14, s10
	s_add_i32 s10, s10, 0x407ffff
	s_lshr_b32 s11, s10, 20
	s_and_b32 s10, s10, 0xff00000
	s_cmp_lg_u32 s10, 0x7f00000
	s_cselect_b32 s13, s11, 0x7e
	s_mov_b64 s[10:11], 0
	s_branch .LBB127_790
.LBB127_786:
	s_andn2_b64 vcc, exec, s[10:11]
	s_cbranch_vccnz .LBB127_783
.LBB127_787:
	s_mov_b32 s14, s62
	s_and_b32 s12, s14, 0x7fffffff
	s_cmp_gt_u32 s12, 0x43efffff
	s_cbranch_scc0 .LBB127_784
.LBB127_788:
	s_mov_b64 s[10:11], -1
                                        ; implicit-def: $vgpr0
	s_branch .LBB127_793
.LBB127_789:
	s_mov_b64 s[10:11], -1
                                        ; implicit-def: $sgpr13
.LBB127_790:
	s_andn2_b64 vcc, exec, s[10:11]
	v_mov_b32_e32 v0, s13
	s_cbranch_vccnz .LBB127_792
; %bb.791:
	v_mov_b32_e32 v0, 0x46800000
	v_add_f32_e64 v0, |s14|, v0
.LBB127_792:
	s_mov_b64 s[10:11], 0
.LBB127_793:
	s_andn2_b64 vcc, exec, s[10:11]
	s_cbranch_vccnz .LBB127_795
; %bb.794:
	s_cmp_gt_u32 s12, 0x7f800000
	s_movk_i32 s10, 0x7f
	s_cselect_b32 s10, s10, 0x7e
	v_mov_b32_e32 v0, s10
.LBB127_795:
	s_lshr_b32 s10, s14, 24
	s_and_b32 s10, s10, 0x80
	v_or_b32_e32 v0, s10, v0
	global_store_byte v[10:11], v0, off
.LBB127_796:
	s_mov_b64 s[10:11], 0
.LBB127_797:
	s_andn2_b64 vcc, exec, s[10:11]
	s_cbranch_vccnz .LBB127_819
; %bb.798:
	v_mov_b32_e32 v0, 0x80
	v_cmp_lt_i16_sdwa s[10:11], s61, v0 src0_sel:BYTE_0 src1_sel:DWORD
	s_and_b64 vcc, exec, s[10:11]
	s_cbranch_vccnz .LBB127_801
; %bb.799:
	v_cmp_eq_u16_sdwa s[10:11], s61, v0 src0_sel:BYTE_0 src1_sel:DWORD
	s_and_b64 vcc, exec, s[10:11]
	s_cbranch_vccz .LBB127_802
; %bb.800:
	s_mov_b64 s[10:11], 0
	s_mov_b32 s14, 0x7f800001
	s_branch .LBB127_803
.LBB127_801:
	s_mov_b64 s[12:13], -1
	s_mov_b64 s[10:11], 0
                                        ; implicit-def: $sgpr14
	s_branch .LBB127_804
.LBB127_802:
	s_mov_b64 s[10:11], -1
                                        ; implicit-def: $sgpr14
.LBB127_803:
	s_mov_b64 s[12:13], 0
.LBB127_804:
	s_and_b64 vcc, exec, s[12:13]
	s_cbranch_vccz .LBB127_809
; %bb.805:
	v_mov_b32_e32 v0, 0
	s_mov_b32 s14, 0
	v_cmp_ne_u16_sdwa s[10:11], s61, v0 src0_sel:BYTE_0 src1_sel:DWORD
	s_andn2_b64 vcc, exec, s[10:11]
	s_cbranch_vccz .LBB127_810
.LBB127_806:
	s_and_b32 s12, s14, 0x7fffffff
	s_cmp_gt_u32 s12, 0x477fffff
	s_cbranch_scc1 .LBB127_811
.LBB127_807:
	s_cmp_lt_u32 s12, 0x38800000
	s_cbranch_scc1 .LBB127_812
; %bb.808:
	s_bfe_u32 s10, s14, 0x10015
	s_add_i32 s10, s14, s10
	s_add_i32 s10, s10, 0x80fffff
	s_lshr_b32 s13, s10, 21
	s_mov_b64 s[10:11], 0
	s_branch .LBB127_813
.LBB127_809:
	s_andn2_b64 vcc, exec, s[10:11]
	s_cbranch_vccnz .LBB127_806
.LBB127_810:
	s_mov_b32 s14, s62
	s_and_b32 s12, s14, 0x7fffffff
	s_cmp_gt_u32 s12, 0x477fffff
	s_cbranch_scc0 .LBB127_807
.LBB127_811:
	s_mov_b64 s[10:11], -1
                                        ; implicit-def: $vgpr0
	s_branch .LBB127_816
.LBB127_812:
	s_mov_b64 s[10:11], -1
                                        ; implicit-def: $sgpr13
.LBB127_813:
	s_andn2_b64 vcc, exec, s[10:11]
	v_mov_b32_e32 v0, s13
	s_cbranch_vccnz .LBB127_815
; %bb.814:
	v_mov_b32_e32 v0, 0x43000000
	v_add_f32_e64 v0, |s14|, v0
.LBB127_815:
	s_mov_b64 s[10:11], 0
.LBB127_816:
	s_andn2_b64 vcc, exec, s[10:11]
	s_cbranch_vccnz .LBB127_818
; %bb.817:
	s_cmp_gt_u32 s12, 0x7f800000
	s_movk_i32 s10, 0x7f
	s_cselect_b32 s10, s10, 0x7c
	v_mov_b32_e32 v0, s10
.LBB127_818:
	s_lshr_b32 s10, s14, 24
	s_and_b32 s10, s10, 0x80
	v_or_b32_e32 v0, s10, v0
	global_store_byte v[10:11], v0, off
.LBB127_819:
	s_mov_b64 s[12:13], 0
	s_mov_b64 s[10:11], -1
.LBB127_820:
	s_andn2_b64 vcc, exec, s[12:13]
	s_cbranch_vccnz .LBB127_848
; %bb.821:
	v_cmp_lt_i16_e32 vcc, 14, v13
	s_mov_b64 s[12:13], -1
	s_cbranch_vccz .LBB127_835
; %bb.822:
	v_cmp_eq_u16_e32 vcc, 15, v13
	s_mov_b64 s[8:9], -1
	s_cbranch_vccz .LBB127_834
; %bb.823:
	v_mov_b32_e32 v0, 0x80
	v_cmp_lt_i16_sdwa s[8:9], s61, v0 src0_sel:BYTE_0 src1_sel:DWORD
	s_and_b64 vcc, exec, s[8:9]
	s_cbranch_vccnz .LBB127_826
; %bb.824:
	v_cmp_eq_u16_sdwa s[8:9], s61, v0 src0_sel:BYTE_0 src1_sel:DWORD
	s_and_b64 vcc, exec, s[8:9]
	s_cbranch_vccz .LBB127_827
; %bb.825:
	s_mov_b64 s[8:9], 0
	s_mov_b32 s12, 0x7f800001
	s_branch .LBB127_828
.LBB127_826:
	s_mov_b64 s[10:11], -1
	s_mov_b64 s[8:9], 0
                                        ; implicit-def: $sgpr12
	s_branch .LBB127_829
.LBB127_827:
	s_mov_b64 s[8:9], -1
                                        ; implicit-def: $sgpr12
.LBB127_828:
	s_mov_b64 s[10:11], 0
.LBB127_829:
	s_and_b64 vcc, exec, s[10:11]
	s_cbranch_vccz .LBB127_831
; %bb.830:
	v_mov_b32_e32 v0, 0
	s_mov_b32 s12, 0
	v_cmp_ne_u16_sdwa s[8:9], s61, v0 src0_sel:BYTE_0 src1_sel:DWORD
.LBB127_831:
	s_andn2_b64 vcc, exec, s[8:9]
	s_cbranch_vccnz .LBB127_833
; %bb.832:
	s_mov_b32 s12, s62
.LBB127_833:
	s_bfe_u32 s8, s12, 0x10010
	s_add_i32 s8, s12, s8
	s_addk_i32 s8, 0x7fff
	s_lshr_b32 s10, s8, 16
	v_cmp_o_f32_e64 s[8:9], s12, s12
	s_and_b64 s[8:9], s[8:9], exec
	s_cselect_b32 s8, s10, 0x7fc0
	v_mov_b32_e32 v0, s8
	global_store_short v[10:11], v0, off
	s_mov_b64 s[10:11], -1
	s_mov_b64 s[8:9], 0
.LBB127_834:
	s_mov_b64 s[12:13], 0
.LBB127_835:
	s_and_b64 vcc, exec, s[12:13]
	s_cbranch_vccz .LBB127_848
; %bb.836:
	v_cmp_eq_u16_e32 vcc, 11, v13
	s_mov_b64 s[8:9], -1
	s_cbranch_vccz .LBB127_848
; %bb.837:
	v_mov_b32_e32 v0, 0x80
	v_cmp_lt_i16_sdwa s[8:9], s61, v0 src0_sel:BYTE_0 src1_sel:DWORD
	s_and_b64 vcc, exec, s[8:9]
	s_cbranch_vccnz .LBB127_840
; %bb.838:
	v_cmp_eq_u16_sdwa s[8:9], s61, v0 src0_sel:BYTE_0 src1_sel:DWORD
	s_and_b64 vcc, exec, s[8:9]
	s_cbranch_vccz .LBB127_841
; %bb.839:
	s_mov_b64 s[10:11], 0
	s_mov_b64 s[8:9], -1
	s_branch .LBB127_842
.LBB127_840:
	s_mov_b64 s[12:13], -1
	s_mov_b64 s[10:11], 0
                                        ; implicit-def: $sgpr8_sgpr9
	s_branch .LBB127_843
.LBB127_841:
	s_mov_b64 s[10:11], -1
                                        ; implicit-def: $sgpr8_sgpr9
.LBB127_842:
	s_mov_b64 s[12:13], 0
.LBB127_843:
	s_and_b64 vcc, exec, s[12:13]
	s_cbranch_vccz .LBB127_845
; %bb.844:
	v_mov_b32_e32 v0, 0
	v_cmp_ne_u16_sdwa s[10:11], s61, v0 src0_sel:BYTE_0 src1_sel:DWORD
	s_mov_b64 s[8:9], 0
.LBB127_845:
	s_andn2_b64 vcc, exec, s[10:11]
	s_cbranch_vccnz .LBB127_847
; %bb.846:
	s_mov_b64 s[8:9], s[6:7]
.LBB127_847:
	v_cndmask_b32_e64 v0, 0, 1, s[8:9]
	global_store_byte v[10:11], v0, off
	s_mov_b64 s[10:11], -1
	s_mov_b64 s[8:9], 0
.LBB127_848:
	s_mov_b64 s[12:13], 0
.LBB127_849:
	s_and_b64 vcc, exec, s[12:13]
	s_cbranch_vccz .LBB127_983
; %bb.850:
	v_cmp_gt_i16_e32 vcc, 5, v13
	s_mov_b64 s[10:11], -1
	s_cbranch_vccnz .LBB127_931
; %bb.851:
	v_cmp_gt_i16_e32 vcc, 8, v13
	s_cbranch_vccnz .LBB127_891
; %bb.852:
	v_cmp_gt_i16_e32 vcc, 9, v13
	s_cbranch_vccnz .LBB127_878
; %bb.853:
	v_cmp_lt_i16_e32 vcc, 9, v13
	s_cbranch_vccz .LBB127_865
; %bb.854:
	v_mov_b32_e32 v0, 0x80
	v_cmp_lt_i16_sdwa s[10:11], s61, v0 src0_sel:BYTE_0 src1_sel:DWORD
	s_and_b64 vcc, exec, s[10:11]
	s_cbranch_vccnz .LBB127_857
; %bb.855:
	v_cmp_eq_u16_sdwa s[10:11], s61, v0 src0_sel:BYTE_0 src1_sel:DWORD
	s_and_b64 vcc, exec, s[10:11]
	s_cbranch_vccz .LBB127_858
; %bb.856:
	s_mov_b64 s[10:11], 0
	s_mov_b32 s13, 0x7ff80000
	s_brev_b32 s12, 4
	s_branch .LBB127_859
.LBB127_857:
	s_mov_b64 s[14:15], -1
	s_mov_b64 s[10:11], 0
                                        ; implicit-def: $sgpr12_sgpr13
	s_branch .LBB127_860
.LBB127_858:
	s_mov_b64 s[10:11], -1
                                        ; implicit-def: $sgpr12_sgpr13
.LBB127_859:
	s_mov_b64 s[14:15], 0
.LBB127_860:
	s_and_b64 vcc, exec, s[14:15]
	s_cbranch_vccz .LBB127_862
; %bb.861:
	v_mov_b32_e32 v0, 0
	v_cmp_ne_u16_sdwa s[10:11], s61, v0 src0_sel:BYTE_0 src1_sel:DWORD
	s_mov_b64 s[12:13], 0
.LBB127_862:
	s_andn2_b64 vcc, exec, s[10:11]
	v_pk_mov_b32 v[0:1], s[12:13], s[12:13] op_sel:[0,1]
	s_cbranch_vccnz .LBB127_864
; %bb.863:
	v_pk_mov_b32 v[0:1], v[6:7], v[6:7] op_sel:[0,1]
.LBB127_864:
	v_mov_b32_e32 v2, 0
	v_mov_b32_e32 v3, v2
	global_store_dwordx4 v[10:11], v[0:3], off
	s_mov_b64 s[10:11], 0
.LBB127_865:
	s_and_b64 vcc, exec, s[10:11]
	s_cbranch_vccz .LBB127_877
; %bb.866:
	v_mov_b32_e32 v0, 0x80
	v_cmp_lt_i16_sdwa s[10:11], s61, v0 src0_sel:BYTE_0 src1_sel:DWORD
	s_and_b64 vcc, exec, s[10:11]
	s_cbranch_vccnz .LBB127_869
; %bb.867:
	v_cmp_eq_u16_sdwa s[10:11], s61, v0 src0_sel:BYTE_0 src1_sel:DWORD
	s_and_b64 vcc, exec, s[10:11]
	s_cbranch_vccz .LBB127_870
; %bb.868:
	s_mov_b64 s[10:11], 0
	s_mov_b32 s14, 0x7f800001
	s_branch .LBB127_871
.LBB127_869:
	s_mov_b64 s[12:13], -1
	s_mov_b64 s[10:11], 0
                                        ; implicit-def: $sgpr14
	s_branch .LBB127_872
.LBB127_870:
	s_mov_b64 s[10:11], -1
                                        ; implicit-def: $sgpr14
.LBB127_871:
	s_mov_b64 s[12:13], 0
.LBB127_872:
	s_and_b64 vcc, exec, s[12:13]
	v_mov_b32_e32 v0, s14
	s_cbranch_vccz .LBB127_874
; %bb.873:
	s_mov_b32 s10, 0xffff
	v_mov_b32_e32 v0, s61
	v_mov_b32_e32 v1, 0
	v_and_b32_sdwa v0, s10, v0 dst_sel:DWORD dst_unused:UNUSED_PAD src0_sel:DWORD src1_sel:BYTE_0
	v_cmp_ne_u16_sdwa s[10:11], s61, v1 src0_sel:BYTE_0 src1_sel:DWORD
.LBB127_874:
	s_andn2_b64 vcc, exec, s[10:11]
	s_cbranch_vccnz .LBB127_876
; %bb.875:
	v_mov_b32_e32 v0, s62
.LBB127_876:
	v_mov_b32_e32 v1, 0
	global_store_dwordx2 v[10:11], v[0:1], off
.LBB127_877:
	s_mov_b64 s[10:11], 0
.LBB127_878:
	s_andn2_b64 vcc, exec, s[10:11]
	s_cbranch_vccnz .LBB127_890
; %bb.879:
	v_mov_b32_e32 v0, 0x80
	v_cmp_lt_i16_sdwa s[10:11], s61, v0 src0_sel:BYTE_0 src1_sel:DWORD
	s_and_b64 vcc, exec, s[10:11]
	s_cbranch_vccnz .LBB127_882
; %bb.880:
	v_cmp_eq_u16_sdwa s[10:11], s61, v0 src0_sel:BYTE_0 src1_sel:DWORD
	s_and_b64 vcc, exec, s[10:11]
	s_cbranch_vccz .LBB127_883
; %bb.881:
	s_mov_b64 s[10:11], 0
	s_movk_i32 s14, 0x7e00
	s_branch .LBB127_884
.LBB127_882:
	s_mov_b64 s[12:13], -1
	s_mov_b64 s[10:11], 0
                                        ; implicit-def: $sgpr14
	s_branch .LBB127_885
.LBB127_883:
	s_mov_b64 s[10:11], -1
                                        ; implicit-def: $sgpr14
.LBB127_884:
	s_mov_b64 s[12:13], 0
.LBB127_885:
	s_and_b64 vcc, exec, s[12:13]
	v_mov_b32_e32 v0, s14
	s_cbranch_vccz .LBB127_887
; %bb.886:
	s_mov_b32 s10, 0xffff
	v_mov_b32_e32 v0, s61
	v_mov_b32_e32 v1, 0
	v_and_b32_sdwa v0, s10, v0 dst_sel:DWORD dst_unused:UNUSED_PAD src0_sel:DWORD src1_sel:BYTE_0
	v_cmp_ne_u16_sdwa s[10:11], s61, v1 src0_sel:BYTE_0 src1_sel:DWORD
.LBB127_887:
	s_andn2_b64 vcc, exec, s[10:11]
	s_cbranch_vccnz .LBB127_889
; %bb.888:
	v_mov_b32_e32 v0, v14
.LBB127_889:
	global_store_dword v[10:11], v0, off
.LBB127_890:
	s_mov_b64 s[10:11], 0
.LBB127_891:
	s_andn2_b64 vcc, exec, s[10:11]
	s_cbranch_vccnz .LBB127_930
; %bb.892:
	v_cmp_gt_i16_e32 vcc, 6, v13
	s_mov_b64 s[10:11], -1
	s_cbranch_vccnz .LBB127_918
; %bb.893:
	v_cmp_lt_i16_e32 vcc, 6, v13
	s_cbranch_vccz .LBB127_905
; %bb.894:
	v_mov_b32_e32 v0, 0x80
	v_cmp_lt_i16_sdwa s[10:11], s61, v0 src0_sel:BYTE_0 src1_sel:DWORD
	s_and_b64 vcc, exec, s[10:11]
	s_cbranch_vccnz .LBB127_897
; %bb.895:
	v_cmp_eq_u16_sdwa s[10:11], s61, v0 src0_sel:BYTE_0 src1_sel:DWORD
	s_and_b64 vcc, exec, s[10:11]
	s_cbranch_vccz .LBB127_898
; %bb.896:
	s_mov_b64 s[10:11], 0
	s_mov_b32 s13, 0x7ff80000
	s_brev_b32 s12, 4
	s_branch .LBB127_899
.LBB127_897:
	s_mov_b64 s[14:15], -1
	s_mov_b64 s[10:11], 0
                                        ; implicit-def: $sgpr12_sgpr13
	s_branch .LBB127_900
.LBB127_898:
	s_mov_b64 s[10:11], -1
                                        ; implicit-def: $sgpr12_sgpr13
.LBB127_899:
	s_mov_b64 s[14:15], 0
.LBB127_900:
	s_and_b64 vcc, exec, s[14:15]
	s_cbranch_vccz .LBB127_902
; %bb.901:
	v_mov_b32_e32 v0, 0
	v_cmp_ne_u16_sdwa s[10:11], s61, v0 src0_sel:BYTE_0 src1_sel:DWORD
	s_mov_b64 s[12:13], 0
.LBB127_902:
	s_andn2_b64 vcc, exec, s[10:11]
	v_pk_mov_b32 v[0:1], s[12:13], s[12:13] op_sel:[0,1]
	s_cbranch_vccnz .LBB127_904
; %bb.903:
	v_pk_mov_b32 v[0:1], v[6:7], v[6:7] op_sel:[0,1]
.LBB127_904:
	global_store_dwordx2 v[10:11], v[0:1], off
	s_mov_b64 s[10:11], 0
.LBB127_905:
	s_and_b64 vcc, exec, s[10:11]
	s_cbranch_vccz .LBB127_917
; %bb.906:
	v_mov_b32_e32 v0, 0x80
	v_cmp_lt_i16_sdwa s[10:11], s61, v0 src0_sel:BYTE_0 src1_sel:DWORD
	s_and_b64 vcc, exec, s[10:11]
	s_cbranch_vccnz .LBB127_909
; %bb.907:
	v_cmp_eq_u16_sdwa s[10:11], s61, v0 src0_sel:BYTE_0 src1_sel:DWORD
	s_and_b64 vcc, exec, s[10:11]
	s_cbranch_vccz .LBB127_910
; %bb.908:
	s_mov_b64 s[10:11], 0
	s_mov_b32 s14, 0x7f800001
	s_branch .LBB127_911
.LBB127_909:
	s_mov_b64 s[12:13], -1
	s_mov_b64 s[10:11], 0
                                        ; implicit-def: $sgpr14
	s_branch .LBB127_912
.LBB127_910:
	s_mov_b64 s[10:11], -1
                                        ; implicit-def: $sgpr14
.LBB127_911:
	s_mov_b64 s[12:13], 0
.LBB127_912:
	s_and_b64 vcc, exec, s[12:13]
	s_cbranch_vccz .LBB127_914
; %bb.913:
	v_mov_b32_e32 v0, 0
	s_mov_b32 s14, 0
	v_cmp_ne_u16_sdwa s[10:11], s61, v0 src0_sel:BYTE_0 src1_sel:DWORD
.LBB127_914:
	s_andn2_b64 vcc, exec, s[10:11]
	s_cbranch_vccnz .LBB127_916
; %bb.915:
	s_mov_b32 s14, s62
.LBB127_916:
	v_mov_b32_e32 v0, s14
	global_store_dword v[10:11], v0, off
.LBB127_917:
	s_mov_b64 s[10:11], 0
.LBB127_918:
	s_andn2_b64 vcc, exec, s[10:11]
	s_cbranch_vccnz .LBB127_930
; %bb.919:
	v_mov_b32_e32 v0, 0xff
	v_and_b32_e32 v0, s61, v0
	s_movk_i32 s10, 0x80
	v_cmp_gt_i16_e32 vcc, s10, v0
	s_cbranch_vccnz .LBB127_922
; %bb.920:
	v_cmp_eq_u16_e32 vcc, s10, v0
	s_cbranch_vccz .LBB127_923
; %bb.921:
	s_mov_b64 s[10:11], 0
	s_movk_i32 s14, 0x7e00
	s_branch .LBB127_924
.LBB127_922:
	s_mov_b64 s[12:13], -1
	s_mov_b64 s[10:11], 0
                                        ; implicit-def: $sgpr14
	s_branch .LBB127_925
.LBB127_923:
	s_mov_b64 s[10:11], -1
                                        ; implicit-def: $sgpr14
.LBB127_924:
	s_mov_b64 s[12:13], 0
.LBB127_925:
	s_and_b64 vcc, exec, s[12:13]
	v_mov_b32_e32 v1, s14
	s_cbranch_vccz .LBB127_927
; %bb.926:
	v_cmp_ne_u16_e64 s[10:11], 0, v0
	v_mov_b32_e32 v1, v0
.LBB127_927:
	s_andn2_b64 vcc, exec, s[10:11]
	s_cbranch_vccnz .LBB127_929
; %bb.928:
	v_mov_b32_e32 v1, v14
.LBB127_929:
	global_store_short v[10:11], v1, off
.LBB127_930:
	s_mov_b64 s[10:11], 0
.LBB127_931:
	s_andn2_b64 vcc, exec, s[10:11]
	s_cbranch_vccnz .LBB127_982
; %bb.932:
	v_cmp_gt_i16_e32 vcc, 2, v13
	s_mov_b64 s[10:11], -1
	s_cbranch_vccnz .LBB127_963
; %bb.933:
	v_cmp_gt_i16_e32 vcc, 3, v13
	s_cbranch_vccnz .LBB127_953
; %bb.934:
	v_cmp_lt_i16_e32 vcc, 3, v13
	s_cbranch_vccz .LBB127_943
; %bb.935:
	v_mov_b32_e32 v0, 0x80
	v_cmp_lt_i16_sdwa s[10:11], s61, v0 src0_sel:BYTE_0 src1_sel:DWORD
	s_and_b64 vcc, exec, s[10:11]
	s_cbranch_vccnz .LBB127_937
; %bb.936:
	v_cmp_ne_u16_sdwa s[10:11], s61, v0 src0_sel:BYTE_0 src1_sel:DWORD
	s_mov_b64 s[14:15], 0
	s_mov_b64 s[12:13], 0
	s_branch .LBB127_938
.LBB127_937:
	s_mov_b64 s[14:15], -1
	s_mov_b64 s[10:11], 0
                                        ; implicit-def: $sgpr12_sgpr13
.LBB127_938:
	s_andn2_b64 vcc, exec, s[14:15]
	s_cbranch_vccnz .LBB127_940
; %bb.939:
	v_mov_b32_e32 v0, 0
	v_cmp_ne_u16_sdwa s[10:11], s61, v0 src0_sel:BYTE_0 src1_sel:DWORD
	s_mov_b64 s[12:13], 0
.LBB127_940:
	s_andn2_b64 vcc, exec, s[10:11]
	v_pk_mov_b32 v[0:1], s[12:13], s[12:13] op_sel:[0,1]
	s_cbranch_vccnz .LBB127_942
; %bb.941:
	v_pk_mov_b32 v[0:1], v[4:5], v[4:5] op_sel:[0,1]
.LBB127_942:
	global_store_dwordx2 v[10:11], v[0:1], off
	s_mov_b64 s[10:11], 0
.LBB127_943:
	s_and_b64 vcc, exec, s[10:11]
	s_cbranch_vccz .LBB127_952
; %bb.944:
	v_mov_b32_e32 v0, 0x80
	v_cmp_lt_i16_sdwa s[10:11], s61, v0 src0_sel:BYTE_0 src1_sel:DWORD
	s_and_b64 vcc, exec, s[10:11]
	s_cbranch_vccnz .LBB127_946
; %bb.945:
	v_cmp_ne_u16_sdwa s[10:11], s61, v0 src0_sel:BYTE_0 src1_sel:DWORD
	s_mov_b64 s[12:13], 0
	s_mov_b32 s14, 0
	s_branch .LBB127_947
.LBB127_946:
	s_mov_b64 s[12:13], -1
	s_mov_b64 s[10:11], 0
                                        ; implicit-def: $sgpr14
.LBB127_947:
	s_andn2_b64 vcc, exec, s[12:13]
	s_cbranch_vccnz .LBB127_949
; %bb.948:
	v_mov_b32_e32 v0, 0
	s_mov_b32 s14, 0
	v_cmp_ne_u16_sdwa s[10:11], s61, v0 src0_sel:BYTE_0 src1_sel:DWORD
.LBB127_949:
	s_andn2_b64 vcc, exec, s[10:11]
	v_mov_b32_e32 v0, s14
	s_cbranch_vccnz .LBB127_951
; %bb.950:
	v_mov_b32_e32 v0, v12
.LBB127_951:
	global_store_dword v[10:11], v0, off
.LBB127_952:
	s_mov_b64 s[10:11], 0
.LBB127_953:
	s_andn2_b64 vcc, exec, s[10:11]
	s_cbranch_vccnz .LBB127_962
; %bb.954:
	v_mov_b32_e32 v0, 0x80
	v_cmp_lt_i16_sdwa s[10:11], s61, v0 src0_sel:BYTE_0 src1_sel:DWORD
	s_and_b64 vcc, exec, s[10:11]
	s_cbranch_vccnz .LBB127_956
; %bb.955:
	v_cmp_ne_u16_sdwa s[10:11], s61, v0 src0_sel:BYTE_0 src1_sel:DWORD
	s_mov_b64 s[12:13], 0
	s_mov_b32 s14, 0
	s_branch .LBB127_957
.LBB127_956:
	s_mov_b64 s[12:13], -1
	s_mov_b64 s[10:11], 0
                                        ; implicit-def: $sgpr14
.LBB127_957:
	s_andn2_b64 vcc, exec, s[12:13]
	s_cbranch_vccnz .LBB127_959
; %bb.958:
	v_mov_b32_e32 v0, 0
	s_mov_b32 s14, 0
	v_cmp_ne_u16_sdwa s[10:11], s61, v0 src0_sel:BYTE_0 src1_sel:DWORD
.LBB127_959:
	s_andn2_b64 vcc, exec, s[10:11]
	v_mov_b32_e32 v0, s14
	s_cbranch_vccnz .LBB127_961
; %bb.960:
	v_mov_b32_e32 v0, v12
.LBB127_961:
	global_store_short v[10:11], v0, off
.LBB127_962:
	s_mov_b64 s[10:11], 0
.LBB127_963:
	s_andn2_b64 vcc, exec, s[10:11]
	s_cbranch_vccnz .LBB127_982
; %bb.964:
	v_cmp_lt_i16_e32 vcc, 0, v13
	s_mov_b64 s[10:11], -1
	s_cbranch_vccz .LBB127_973
; %bb.965:
	v_mov_b32_e32 v0, 0x80
	v_cmp_lt_i16_sdwa s[10:11], s61, v0 src0_sel:BYTE_0 src1_sel:DWORD
	s_and_b64 vcc, exec, s[10:11]
	s_cbranch_vccnz .LBB127_967
; %bb.966:
	v_cmp_ne_u16_sdwa s[10:11], s61, v0 src0_sel:BYTE_0 src1_sel:DWORD
	s_mov_b64 s[12:13], 0
	s_mov_b32 s14, 0
	s_branch .LBB127_968
.LBB127_967:
	s_mov_b64 s[12:13], -1
	s_mov_b64 s[10:11], 0
                                        ; implicit-def: $sgpr14
.LBB127_968:
	s_andn2_b64 vcc, exec, s[12:13]
	s_cbranch_vccnz .LBB127_970
; %bb.969:
	v_mov_b32_e32 v0, 0
	s_mov_b32 s14, 0
	v_cmp_ne_u16_sdwa s[10:11], s61, v0 src0_sel:BYTE_0 src1_sel:DWORD
.LBB127_970:
	s_andn2_b64 vcc, exec, s[10:11]
	v_mov_b32_e32 v0, s14
	s_cbranch_vccnz .LBB127_972
; %bb.971:
	v_mov_b32_e32 v0, v12
.LBB127_972:
	global_store_byte v[10:11], v0, off
	s_mov_b64 s[10:11], 0
.LBB127_973:
	s_and_b64 vcc, exec, s[10:11]
	s_cbranch_vccz .LBB127_982
; %bb.974:
	v_mov_b32_e32 v0, 0x80
	v_cmp_lt_i16_sdwa s[10:11], s61, v0 src0_sel:BYTE_0 src1_sel:DWORD
	s_and_b64 vcc, exec, s[10:11]
	s_cbranch_vccnz .LBB127_976
; %bb.975:
	v_cmp_ne_u16_sdwa s[10:11], s61, v0 src0_sel:BYTE_0 src1_sel:DWORD
	s_mov_b64 s[12:13], 0
	s_mov_b32 s14, 0
	s_branch .LBB127_977
.LBB127_976:
	s_mov_b64 s[12:13], -1
	s_mov_b64 s[10:11], 0
                                        ; implicit-def: $sgpr14
.LBB127_977:
	s_andn2_b64 vcc, exec, s[12:13]
	s_cbranch_vccnz .LBB127_979
; %bb.978:
	v_mov_b32_e32 v0, 0
	s_mov_b32 s14, 0
	v_cmp_ne_u16_sdwa s[10:11], s61, v0 src0_sel:BYTE_0 src1_sel:DWORD
.LBB127_979:
	s_andn2_b64 vcc, exec, s[10:11]
	v_mov_b32_e32 v0, s14
	s_cbranch_vccnz .LBB127_981
; %bb.980:
	v_mov_b32_e32 v0, v4
.LBB127_981:
	global_store_byte v[10:11], v0, off
.LBB127_982:
	s_mov_b64 s[10:11], -1
.LBB127_983:
	s_andn2_b64 vcc, exec, s[10:11]
	s_cbranch_vccnz .LBB127_985
; %bb.984:
	v_add_u32_e32 v15, 0x80, v15
	s_mov_b64 s[10:11], -1
	s_branch .LBB127_986
.LBB127_985:
	s_mov_b64 s[10:11], 0
                                        ; implicit-def: $vgpr15
.LBB127_986:
	s_andn2_b64 s[12:13], s[50:51], exec
	s_and_b64 s[8:9], s[8:9], exec
	s_or_b64 s[56:57], s[12:13], s[8:9]
	s_orn2_b64 s[10:11], s[10:11], exec
.LBB127_987:
	s_or_b64 exec, exec, s[54:55]
	s_mov_b64 s[8:9], 0
	s_mov_b64 s[12:13], 0
                                        ; implicit-def: $vgpr10_vgpr11
	s_and_saveexec_b64 s[54:55], s[10:11]
	s_cbranch_execz .LBB127_1163
; %bb.988:
	v_cmp_gt_i32_e32 vcc, s64, v15
	s_mov_b64 s[10:11], s[56:57]
                                        ; implicit-def: $vgpr10_vgpr11
	s_and_saveexec_b64 s[58:59], vcc
	s_cbranch_execz .LBB127_1162
; %bb.989:
	s_andn2_b64 vcc, exec, s[30:31]
	s_cbranch_vccnz .LBB127_994
; %bb.990:
	s_andn2_b64 vcc, exec, s[44:45]
	s_cbranch_vccnz .LBB127_995
; %bb.991:
	s_add_i32 s65, s65, 1
	s_mov_b32 s64, 0
	s_cmp_eq_u32 s60, 2
	v_mov_b32_e32 v0, 0
	s_cbranch_scc1 .LBB127_996
; %bb.992:
	s_and_b32 s64, s65, 28
	s_mov_b32 s66, 0
	v_mov_b32_e32 v0, 0
	s_mov_b64 s[44:45], s[24:25]
	v_mov_b32_e32 v2, v15
.LBB127_993:                            ; =>This Inner Loop Header: Depth=1
	s_load_dwordx8 s[8:15], s[44:45], 0x4
	s_load_dwordx4 s[16:19], s[44:45], 0x24
	s_load_dwordx4 s[20:23], s[42:43], 0x0
	s_add_u32 s44, s44, 48
	s_addc_u32 s45, s45, 0
	s_waitcnt lgkmcnt(0)
	v_mul_hi_u32 v1, s9, v2
	v_add_u32_e32 v1, v2, v1
	v_lshrrev_b32_e32 v1, s10, v1
	v_mul_lo_u32 v3, v1, s8
	v_mul_hi_u32 v10, s12, v1
	v_sub_u32_e32 v2, v2, v3
	v_add_u32_e32 v3, v1, v10
	v_lshrrev_b32_e32 v3, s13, v3
	v_mul_lo_u32 v10, v3, s11
	v_mul_hi_u32 v11, s15, v3
	v_sub_u32_e32 v1, v1, v10
	v_add_u32_e32 v10, v3, v11
	v_mul_lo_u32 v2, v2, s20
	v_mul_lo_u32 v1, v1, s21
	v_lshrrev_b32_e32 v10, s16, v10
	v_add3_u32 v0, v2, v0, v1
	v_mul_hi_u32 v2, s18, v10
	v_add_u32_e32 v2, v10, v2
	v_mul_lo_u32 v1, v10, s14
	v_lshrrev_b32_e32 v2, s19, v2
	s_add_i32 s66, s66, 4
	v_sub_u32_e32 v1, v3, v1
	v_mul_lo_u32 v3, v2, s17
	s_add_u32 s42, s42, 16
	v_sub_u32_e32 v3, v10, v3
	s_addc_u32 s43, s43, 0
	v_mul_lo_u32 v1, v1, s22
	v_mul_lo_u32 v3, v3, s23
	s_cmp_eq_u32 s64, s66
	v_add3_u32 v0, v1, v0, v3
	s_cbranch_scc0 .LBB127_993
	s_branch .LBB127_997
.LBB127_994:
	s_mov_b64 s[8:9], -1
                                        ; implicit-def: $vgpr0
	s_branch .LBB127_1001
.LBB127_995:
	v_mov_b32_e32 v0, 0
	s_branch .LBB127_1000
.LBB127_996:
	v_mov_b32_e32 v2, v15
.LBB127_997:
	s_and_b32 s12, s65, 3
	s_cmp_eq_u32 s12, 0
	s_cbranch_scc1 .LBB127_1000
; %bb.998:
	s_lshl_b32 s8, s64, 2
	s_add_u32 s8, s8, s24
	s_addc_u32 s9, s25, 0
	s_add_u32 s8, s8, 0xc4
	s_addc_u32 s9, s9, 0
	s_mul_i32 s10, s64, 12
	s_add_u32 s10, s24, s10
	s_addc_u32 s11, s25, 0
.LBB127_999:                            ; =>This Inner Loop Header: Depth=1
	s_load_dwordx2 s[14:15], s[10:11], 0x4
	s_load_dword s13, s[10:11], 0xc
	s_load_dword s16, s[8:9], 0x0
	s_add_u32 s10, s10, 12
	s_addc_u32 s11, s11, 0
	s_waitcnt lgkmcnt(0)
	v_mul_hi_u32 v1, s15, v2
	v_add_u32_e32 v1, v2, v1
	v_lshrrev_b32_e32 v1, s13, v1
	s_add_u32 s8, s8, 4
	v_mul_lo_u32 v3, v1, s14
	s_addc_u32 s9, s9, 0
	s_add_i32 s12, s12, -1
	v_sub_u32_e32 v3, v2, v3
	s_cmp_lg_u32 s12, 0
	v_mov_b32_e32 v2, v1
	v_mad_u64_u32 v[0:1], s[14:15], v3, s16, v[0:1]
	s_cbranch_scc1 .LBB127_999
.LBB127_1000:
	s_mov_b64 s[8:9], 0
.LBB127_1001:
	s_andn2_b64 vcc, exec, s[8:9]
	s_cbranch_vccnz .LBB127_1004
; %bb.1002:
	v_mul_hi_u32 v0, s1, v15
	v_add_u32_e32 v0, v15, v0
	v_lshrrev_b32_e32 v1, s2, v0
	v_mul_lo_u32 v0, v1, s0
	v_sub_u32_e32 v0, v15, v0
	s_andn2_b64 vcc, exec, s[40:41]
	v_mul_lo_u32 v0, v0, s36
	s_cbranch_vccnz .LBB127_1004
; %bb.1003:
	v_mul_hi_u32 v2, s38, v1
	v_add_u32_e32 v2, v1, v2
	v_lshrrev_b32_e32 v2, s39, v2
	v_mul_lo_u32 v2, v2, s3
	v_sub_u32_e32 v1, v1, v2
	v_mad_u64_u32 v[0:1], s[0:1], v1, s37, v[0:1]
.LBB127_1004:
	v_mov_b32_e32 v1, s35
	v_add_co_u32_e32 v10, vcc, s34, v0
	v_addc_co_u32_e32 v11, vcc, 0, v1, vcc
	v_cmp_gt_i16_e32 vcc, 11, v13
	s_cbranch_vccnz .LBB127_1013
; %bb.1005:
	v_cmp_lt_i16_e32 vcc, 25, v13
	s_mov_b64 s[8:9], -1
	s_mov_b64 s[0:1], s[56:57]
	s_cbranch_vccz .LBB127_1092
; %bb.1006:
	v_cmp_lt_i16_e32 vcc, 28, v13
	s_mov_b64 s[2:3], -1
	s_mov_b64 s[0:1], s[56:57]
	s_cbranch_vccz .LBB127_1050
; %bb.1007:
	v_cmp_lt_i16_e32 vcc, 43, v13
	s_mov_b64 s[0:1], s[56:57]
	s_cbranch_vccz .LBB127_1037
; %bb.1008:
	v_cmp_lt_i16_e32 vcc, 45, v13
	s_mov_b64 s[0:1], s[56:57]
	s_cbranch_vccz .LBB127_1023
; %bb.1009:
	v_cmp_eq_u16_e32 vcc, 46, v13
	s_mov_b64 s[0:1], -1
	s_cbranch_vccz .LBB127_1022
; %bb.1010:
	v_mov_b32_e32 v0, 0x80
	v_cmp_lt_i16_sdwa s[0:1], s61, v0 src0_sel:BYTE_0 src1_sel:DWORD
	s_and_b64 vcc, exec, s[0:1]
	s_cbranch_vccnz .LBB127_1014
; %bb.1011:
	v_cmp_eq_u16_sdwa s[0:1], s61, v0 src0_sel:BYTE_0 src1_sel:DWORD
	s_and_b64 vcc, exec, s[0:1]
	s_cbranch_vccz .LBB127_1015
; %bb.1012:
	s_mov_b64 s[0:1], 0
	s_mov_b32 s8, 0x7f800001
	s_branch .LBB127_1016
.LBB127_1013:
	s_mov_b64 s[8:9], 0
	s_mov_b64 s[2:3], -1
	s_mov_b64 s[0:1], s[56:57]
	s_branch .LBB127_1161
.LBB127_1014:
	s_mov_b64 s[0:1], 0
                                        ; implicit-def: $sgpr8
	s_branch .LBB127_1017
.LBB127_1015:
	s_mov_b64 s[0:1], -1
                                        ; implicit-def: $sgpr8
.LBB127_1016:
	s_mov_b64 s[2:3], 0
.LBB127_1017:
	s_and_b64 vcc, exec, s[2:3]
	s_cbranch_vccz .LBB127_1019
; %bb.1018:
	v_mov_b32_e32 v0, 0
	s_mov_b32 s8, 0
	v_cmp_ne_u16_sdwa s[0:1], s61, v0 src0_sel:BYTE_0 src1_sel:DWORD
.LBB127_1019:
	s_andn2_b64 vcc, exec, s[0:1]
	s_cbranch_vccnz .LBB127_1021
; %bb.1020:
	s_mov_b32 s8, s62
.LBB127_1021:
	s_bfe_u32 s0, s8, 0x10010
	s_add_i32 s0, s8, s0
	s_addk_i32 s0, 0x7fff
	s_lshr_b32 s2, s0, 16
	v_cmp_o_f32_e64 s[0:1], s8, s8
	s_and_b64 s[0:1], s[0:1], exec
	s_cselect_b32 s0, s2, 0x7fc0
	v_mov_b32_e32 v0, s0
	global_store_dword v[10:11], v0, off
	s_mov_b64 s[0:1], 0
.LBB127_1022:
	s_mov_b64 s[2:3], 0
.LBB127_1023:
	s_and_b64 vcc, exec, s[2:3]
	s_cbranch_vccz .LBB127_1036
; %bb.1024:
	v_cmp_eq_u16_e32 vcc, 44, v13
	s_mov_b64 s[0:1], -1
	s_cbranch_vccz .LBB127_1036
; %bb.1025:
	v_mov_b32_e32 v0, 0xff
	v_and_b32_e32 v0, s61, v0
	s_movk_i32 s0, 0x80
	v_cmp_gt_i16_e32 vcc, s0, v0
	v_readfirstlane_b32 s9, v0
	s_cbranch_vccnz .LBB127_1028
; %bb.1026:
	v_mov_b32_e32 v0, 0x80
	v_cmp_eq_u16_e32 vcc, s9, v0
	s_cbranch_vccz .LBB127_1029
; %bb.1027:
	s_mov_b64 s[0:1], 0
	s_mov_b32 s8, 0x7f800001
	s_branch .LBB127_1030
.LBB127_1028:
	s_mov_b64 s[2:3], -1
	s_mov_b64 s[0:1], 0
                                        ; implicit-def: $sgpr8
	s_branch .LBB127_1031
.LBB127_1029:
	s_mov_b64 s[0:1], -1
                                        ; implicit-def: $sgpr8
.LBB127_1030:
	s_mov_b64 s[2:3], 0
.LBB127_1031:
	s_and_b64 vcc, exec, s[2:3]
	s_cbranch_vccz .LBB127_1041
; %bb.1032:
	s_and_b32 s8, 0xffff, s9
	v_cmp_ne_u16_e64 s[0:1], s9, 0
	s_andn2_b64 vcc, exec, s[0:1]
	s_cbranch_vccz .LBB127_1042
.LBB127_1033:
	s_bfe_u32 s0, s8, 0x80017
	s_cmpk_eq_i32 s0, 0xff
	v_mov_b32_e32 v0, 0xff
	s_cbranch_scc1 .LBB127_1035
.LBB127_1034:
	s_lshr_b32 s9, s8, 23
	s_bitcmp1_b32 s8, 22
	s_cselect_b64 s[2:3], -1, 0
	s_and_b32 s1, s8, 0x3fffff
	s_or_b32 s0, s0, s1
	s_cmp_lg_u32 s0, 0
	s_cselect_b64 s[0:1], -1, 0
	s_and_b64 s[0:1], s[2:3], s[0:1]
	v_cndmask_b32_e64 v0, 0, 1, s[0:1]
	v_add_u32_e32 v0, s9, v0
.LBB127_1035:
	s_mov_b64 s[0:1], 0
	global_store_byte v[10:11], v0, off
.LBB127_1036:
	s_mov_b64 s[2:3], 0
.LBB127_1037:
	s_and_b64 vcc, exec, s[2:3]
	s_cbranch_vccz .LBB127_1049
; %bb.1038:
	v_cmp_eq_u16_e32 vcc, 29, v13
	s_mov_b64 s[0:1], -1
	s_cbranch_vccz .LBB127_1049
; %bb.1039:
	v_mov_b32_e32 v0, 0x80
	v_cmp_lt_i16_sdwa s[0:1], s61, v0 src0_sel:BYTE_0 src1_sel:DWORD
	s_and_b64 vcc, exec, s[0:1]
	s_cbranch_vccnz .LBB127_1043
; %bb.1040:
	v_cmp_ne_u16_sdwa s[0:1], s61, v0 src0_sel:BYTE_0 src1_sel:DWORD
	s_mov_b64 s[8:9], 0
	s_mov_b64 s[2:3], 0
	s_branch .LBB127_1044
.LBB127_1041:
	s_andn2_b64 vcc, exec, s[0:1]
	s_cbranch_vccnz .LBB127_1033
.LBB127_1042:
	s_mov_b32 s8, s63
	s_bfe_u32 s0, s8, 0x80017
	s_cmpk_eq_i32 s0, 0xff
	v_mov_b32_e32 v0, 0xff
	s_cbranch_scc0 .LBB127_1034
	s_branch .LBB127_1035
.LBB127_1043:
	s_mov_b64 s[8:9], -1
	s_mov_b64 s[0:1], 0
                                        ; implicit-def: $sgpr2_sgpr3
.LBB127_1044:
	s_andn2_b64 vcc, exec, s[8:9]
	s_cbranch_vccnz .LBB127_1046
; %bb.1045:
	v_mov_b32_e32 v0, 0
	v_cmp_ne_u16_sdwa s[0:1], s61, v0 src0_sel:BYTE_0 src1_sel:DWORD
	s_mov_b64 s[2:3], 0
.LBB127_1046:
	s_andn2_b64 vcc, exec, s[0:1]
	v_pk_mov_b32 v[0:1], s[2:3], s[2:3] op_sel:[0,1]
	s_cbranch_vccnz .LBB127_1048
; %bb.1047:
	v_pk_mov_b32 v[0:1], v[8:9], v[8:9] op_sel:[0,1]
.LBB127_1048:
	s_mov_b64 s[0:1], 0
	global_store_dwordx2 v[10:11], v[0:1], off
.LBB127_1049:
	s_mov_b64 s[2:3], 0
.LBB127_1050:
	s_and_b64 vcc, exec, s[2:3]
	s_cbranch_vccz .LBB127_1091
; %bb.1051:
	v_cmp_gt_i16_e32 vcc, 27, v13
	s_mov_b64 s[2:3], -1
	s_cbranch_vccnz .LBB127_1071
; %bb.1052:
	v_cmp_lt_i16_e32 vcc, 27, v13
	s_cbranch_vccz .LBB127_1061
; %bb.1053:
	v_mov_b32_e32 v0, 0x80
	v_cmp_lt_i16_sdwa s[2:3], s61, v0 src0_sel:BYTE_0 src1_sel:DWORD
	s_and_b64 vcc, exec, s[2:3]
	s_cbranch_vccnz .LBB127_1055
; %bb.1054:
	v_cmp_ne_u16_sdwa s[2:3], s61, v0 src0_sel:BYTE_0 src1_sel:DWORD
	s_mov_b64 s[8:9], 0
	s_mov_b32 s10, 0
	s_branch .LBB127_1056
.LBB127_1055:
	s_mov_b64 s[8:9], -1
	s_mov_b64 s[2:3], 0
                                        ; implicit-def: $sgpr10
.LBB127_1056:
	s_andn2_b64 vcc, exec, s[8:9]
	s_cbranch_vccnz .LBB127_1058
; %bb.1057:
	v_mov_b32_e32 v0, 0
	s_mov_b32 s10, 0
	v_cmp_ne_u16_sdwa s[2:3], s61, v0 src0_sel:BYTE_0 src1_sel:DWORD
.LBB127_1058:
	s_andn2_b64 vcc, exec, s[2:3]
	v_mov_b32_e32 v0, s10
	s_cbranch_vccnz .LBB127_1060
; %bb.1059:
	v_mov_b32_e32 v0, v16
.LBB127_1060:
	global_store_dword v[10:11], v0, off
	s_mov_b64 s[2:3], 0
.LBB127_1061:
	s_and_b64 vcc, exec, s[2:3]
	s_cbranch_vccz .LBB127_1070
; %bb.1062:
	v_mov_b32_e32 v0, 0x80
	v_cmp_lt_i16_sdwa s[2:3], s61, v0 src0_sel:BYTE_0 src1_sel:DWORD
	s_and_b64 vcc, exec, s[2:3]
	s_cbranch_vccnz .LBB127_1064
; %bb.1063:
	v_cmp_ne_u16_sdwa s[2:3], s61, v0 src0_sel:BYTE_0 src1_sel:DWORD
	s_mov_b64 s[8:9], 0
	s_mov_b32 s10, 0
	s_branch .LBB127_1065
.LBB127_1064:
	s_mov_b64 s[8:9], -1
	s_mov_b64 s[2:3], 0
                                        ; implicit-def: $sgpr10
.LBB127_1065:
	s_andn2_b64 vcc, exec, s[8:9]
	s_cbranch_vccnz .LBB127_1067
; %bb.1066:
	v_mov_b32_e32 v0, 0
	s_mov_b32 s10, 0
	v_cmp_ne_u16_sdwa s[2:3], s61, v0 src0_sel:BYTE_0 src1_sel:DWORD
.LBB127_1067:
	s_andn2_b64 vcc, exec, s[2:3]
	v_mov_b32_e32 v0, s10
	s_cbranch_vccnz .LBB127_1069
; %bb.1068:
	v_mov_b32_e32 v0, v16
.LBB127_1069:
	global_store_short v[10:11], v0, off
.LBB127_1070:
	s_mov_b64 s[2:3], 0
.LBB127_1071:
	s_andn2_b64 vcc, exec, s[2:3]
	s_cbranch_vccnz .LBB127_1091
; %bb.1072:
	v_mov_b32_e32 v0, 0x80
	v_cmp_lt_i16_sdwa s[2:3], s61, v0 src0_sel:BYTE_0 src1_sel:DWORD
	s_and_b64 vcc, exec, s[2:3]
	s_cbranch_vccnz .LBB127_1075
; %bb.1073:
	v_cmp_eq_u16_sdwa s[2:3], s61, v0 src0_sel:BYTE_0 src1_sel:DWORD
	s_and_b64 vcc, exec, s[2:3]
	s_cbranch_vccz .LBB127_1076
; %bb.1074:
	s_mov_b64 s[2:3], 0
	s_mov_b32 s10, 0x7f800001
	s_branch .LBB127_1077
.LBB127_1075:
	s_mov_b64 s[8:9], -1
	s_mov_b64 s[2:3], 0
                                        ; implicit-def: $sgpr10
	s_branch .LBB127_1078
.LBB127_1076:
	s_mov_b64 s[2:3], -1
                                        ; implicit-def: $sgpr10
.LBB127_1077:
	s_mov_b64 s[8:9], 0
.LBB127_1078:
	s_and_b64 vcc, exec, s[8:9]
	s_cbranch_vccz .LBB127_1081
; %bb.1079:
	v_mov_b32_e32 v0, 0
	s_mov_b32 s10, 0
	v_cmp_ne_u16_sdwa s[2:3], s61, v0 src0_sel:BYTE_0 src1_sel:DWORD
	s_andn2_b64 vcc, exec, s[2:3]
	s_cbranch_vccz .LBB127_1082
.LBB127_1080:
	s_and_b32 s2, s10, 0x7fffffff
	s_cmp_gt_u32 s2, 0x437fffff
	v_mov_b32_e32 v1, 0x80
	s_cbranch_scc0 .LBB127_1083
	s_branch .LBB127_1090
.LBB127_1081:
	s_andn2_b64 vcc, exec, s[2:3]
	s_cbranch_vccnz .LBB127_1080
.LBB127_1082:
	s_mov_b32 s10, s62
	s_and_b32 s2, s10, 0x7fffffff
	s_cmp_gt_u32 s2, 0x437fffff
	v_mov_b32_e32 v1, 0x80
	s_cbranch_scc1 .LBB127_1090
.LBB127_1083:
	s_cmp_lt_u32 s2, 0x3c000000
	s_cbranch_scc1 .LBB127_1085
; %bb.1084:
	s_bfe_u32 s2, s10, 0x10014
	s_add_i32 s2, s10, s2
	s_add_i32 s2, s2, 0x487ffff
	s_lshr_b32 s11, s2, 20
	s_mov_b64 s[8:9], 0
	s_mov_b64 s[2:3], -1
	s_branch .LBB127_1086
.LBB127_1085:
	s_mov_b64 s[8:9], -1
	s_mov_b64 s[2:3], 0
                                        ; implicit-def: $sgpr11
.LBB127_1086:
	s_andn2_b64 vcc, exec, s[8:9]
	v_mov_b32_e32 v0, s11
                                        ; implicit-def: $sgpr8
	s_cbranch_vccnz .LBB127_1088
; %bb.1087:
	v_mov_b32_e32 v0, 0x46000000
	v_add_f32_e64 v0, |s10|, v0
	v_and_b32_e32 v0, 0xff, v0
	s_mov_b32 s8, 0
	v_cmp_ne_u32_e64 s[2:3], 0, v0
.LBB127_1088:
	s_andn2_b64 vcc, exec, s[2:3]
	v_mov_b32_e32 v1, s8
	s_cbranch_vccnz .LBB127_1090
; %bb.1089:
	s_lshr_b32 s2, s10, 24
	s_and_b32 s2, s2, 0x80
	v_or_b32_e32 v1, s2, v0
.LBB127_1090:
	global_store_byte v[10:11], v1, off
.LBB127_1091:
	s_mov_b64 s[8:9], 0
.LBB127_1092:
	s_mov_b64 s[2:3], 0
	s_and_b64 vcc, exec, s[8:9]
	s_cbranch_vccz .LBB127_1101
; %bb.1093:
	v_cmp_lt_i16_e32 vcc, 22, v13
	s_mov_b64 s[8:9], -1
	s_cbranch_vccz .LBB127_1144
; %bb.1094:
	v_cmp_gt_i16_e32 vcc, 24, v13
	s_cbranch_vccnz .LBB127_1121
; %bb.1095:
	v_cmp_lt_i16_e32 vcc, 24, v13
	s_cbranch_vccz .LBB127_1097
; %bb.1096:
	v_mov_b32_e32 v0, s61
	s_mov_b64 s[8:9], 0
	global_store_byte v[10:11], v0, off
.LBB127_1097:
	s_andn2_b64 vcc, exec, s[8:9]
	s_cbranch_vccnz .LBB127_1120
; %bb.1098:
	v_mov_b32_e32 v0, 0x80
	v_cmp_lt_i16_sdwa s[8:9], s61, v0 src0_sel:BYTE_0 src1_sel:DWORD
	s_and_b64 vcc, exec, s[8:9]
	s_cbranch_vccnz .LBB127_1102
; %bb.1099:
	v_cmp_eq_u16_sdwa s[8:9], s61, v0 src0_sel:BYTE_0 src1_sel:DWORD
	s_and_b64 vcc, exec, s[8:9]
	s_cbranch_vccz .LBB127_1103
; %bb.1100:
	s_mov_b64 s[8:9], 0
	s_mov_b32 s12, 0x7f800001
	s_branch .LBB127_1104
.LBB127_1101:
	s_mov_b64 s[8:9], 0
	s_branch .LBB127_1161
.LBB127_1102:
	s_mov_b64 s[10:11], -1
	s_mov_b64 s[8:9], 0
                                        ; implicit-def: $sgpr12
	s_branch .LBB127_1105
.LBB127_1103:
	s_mov_b64 s[8:9], -1
                                        ; implicit-def: $sgpr12
.LBB127_1104:
	s_mov_b64 s[10:11], 0
.LBB127_1105:
	s_and_b64 vcc, exec, s[10:11]
	s_cbranch_vccz .LBB127_1110
; %bb.1106:
	v_mov_b32_e32 v0, 0
	s_mov_b32 s12, 0
	v_cmp_ne_u16_sdwa s[8:9], s61, v0 src0_sel:BYTE_0 src1_sel:DWORD
	s_andn2_b64 vcc, exec, s[8:9]
	s_cbranch_vccz .LBB127_1111
.LBB127_1107:
	s_and_b32 s10, s12, 0x7fffffff
	s_cmp_gt_u32 s10, 0x43efffff
	s_cbranch_scc1 .LBB127_1112
.LBB127_1108:
	s_cmp_lt_u32 s10, 0x3c800000
	s_cbranch_scc1 .LBB127_1113
; %bb.1109:
	s_bfe_u32 s8, s12, 0x10014
	s_add_i32 s8, s12, s8
	s_add_i32 s8, s8, 0x407ffff
	s_lshr_b32 s9, s8, 20
	s_and_b32 s8, s8, 0xff00000
	s_cmp_lg_u32 s8, 0x7f00000
	s_cselect_b32 s11, s9, 0x7e
	s_mov_b64 s[8:9], 0
	s_branch .LBB127_1114
.LBB127_1110:
	s_andn2_b64 vcc, exec, s[8:9]
	s_cbranch_vccnz .LBB127_1107
.LBB127_1111:
	s_mov_b32 s12, s62
	s_and_b32 s10, s12, 0x7fffffff
	s_cmp_gt_u32 s10, 0x43efffff
	s_cbranch_scc0 .LBB127_1108
.LBB127_1112:
	s_mov_b64 s[8:9], -1
                                        ; implicit-def: $vgpr0
	s_branch .LBB127_1117
.LBB127_1113:
	s_mov_b64 s[8:9], -1
                                        ; implicit-def: $sgpr11
.LBB127_1114:
	s_andn2_b64 vcc, exec, s[8:9]
	v_mov_b32_e32 v0, s11
	s_cbranch_vccnz .LBB127_1116
; %bb.1115:
	v_mov_b32_e32 v0, 0x46800000
	v_add_f32_e64 v0, |s12|, v0
.LBB127_1116:
	s_mov_b64 s[8:9], 0
.LBB127_1117:
	s_andn2_b64 vcc, exec, s[8:9]
	s_cbranch_vccnz .LBB127_1119
; %bb.1118:
	s_cmp_gt_u32 s10, 0x7f800000
	s_movk_i32 s8, 0x7f
	s_cselect_b32 s8, s8, 0x7e
	v_mov_b32_e32 v0, s8
.LBB127_1119:
	s_lshr_b32 s8, s12, 24
	s_and_b32 s8, s8, 0x80
	v_or_b32_e32 v0, s8, v0
	global_store_byte v[10:11], v0, off
.LBB127_1120:
	s_mov_b64 s[8:9], 0
.LBB127_1121:
	s_andn2_b64 vcc, exec, s[8:9]
	s_cbranch_vccnz .LBB127_1143
; %bb.1122:
	v_mov_b32_e32 v0, 0x80
	v_cmp_lt_i16_sdwa s[8:9], s61, v0 src0_sel:BYTE_0 src1_sel:DWORD
	s_and_b64 vcc, exec, s[8:9]
	s_cbranch_vccnz .LBB127_1125
; %bb.1123:
	v_cmp_eq_u16_sdwa s[8:9], s61, v0 src0_sel:BYTE_0 src1_sel:DWORD
	s_and_b64 vcc, exec, s[8:9]
	s_cbranch_vccz .LBB127_1126
; %bb.1124:
	s_mov_b64 s[8:9], 0
	s_mov_b32 s12, 0x7f800001
	s_branch .LBB127_1127
.LBB127_1125:
	s_mov_b64 s[10:11], -1
	s_mov_b64 s[8:9], 0
                                        ; implicit-def: $sgpr12
	s_branch .LBB127_1128
.LBB127_1126:
	s_mov_b64 s[8:9], -1
                                        ; implicit-def: $sgpr12
.LBB127_1127:
	s_mov_b64 s[10:11], 0
.LBB127_1128:
	s_and_b64 vcc, exec, s[10:11]
	s_cbranch_vccz .LBB127_1133
; %bb.1129:
	v_mov_b32_e32 v0, 0
	s_mov_b32 s12, 0
	v_cmp_ne_u16_sdwa s[8:9], s61, v0 src0_sel:BYTE_0 src1_sel:DWORD
	s_andn2_b64 vcc, exec, s[8:9]
	s_cbranch_vccz .LBB127_1134
.LBB127_1130:
	s_and_b32 s10, s12, 0x7fffffff
	s_cmp_gt_u32 s10, 0x477fffff
	s_cbranch_scc1 .LBB127_1135
.LBB127_1131:
	s_cmp_lt_u32 s10, 0x38800000
	s_cbranch_scc1 .LBB127_1136
; %bb.1132:
	s_bfe_u32 s8, s12, 0x10015
	s_add_i32 s8, s12, s8
	s_add_i32 s8, s8, 0x80fffff
	s_lshr_b32 s11, s8, 21
	s_mov_b64 s[8:9], 0
	s_branch .LBB127_1137
.LBB127_1133:
	s_andn2_b64 vcc, exec, s[8:9]
	s_cbranch_vccnz .LBB127_1130
.LBB127_1134:
	s_mov_b32 s12, s62
	s_and_b32 s10, s12, 0x7fffffff
	s_cmp_gt_u32 s10, 0x477fffff
	s_cbranch_scc0 .LBB127_1131
.LBB127_1135:
	s_mov_b64 s[8:9], -1
                                        ; implicit-def: $vgpr0
	s_branch .LBB127_1140
.LBB127_1136:
	s_mov_b64 s[8:9], -1
                                        ; implicit-def: $sgpr11
.LBB127_1137:
	s_andn2_b64 vcc, exec, s[8:9]
	v_mov_b32_e32 v0, s11
	s_cbranch_vccnz .LBB127_1139
; %bb.1138:
	v_mov_b32_e32 v0, 0x43000000
	v_add_f32_e64 v0, |s12|, v0
.LBB127_1139:
	s_mov_b64 s[8:9], 0
.LBB127_1140:
	s_andn2_b64 vcc, exec, s[8:9]
	s_cbranch_vccnz .LBB127_1142
; %bb.1141:
	s_cmp_gt_u32 s10, 0x7f800000
	s_movk_i32 s8, 0x7f
	s_cselect_b32 s8, s8, 0x7c
	v_mov_b32_e32 v0, s8
.LBB127_1142:
	s_lshr_b32 s8, s12, 24
	s_and_b32 s8, s8, 0x80
	v_or_b32_e32 v0, s8, v0
	global_store_byte v[10:11], v0, off
.LBB127_1143:
	s_mov_b64 s[8:9], 0
.LBB127_1144:
	s_andn2_b64 vcc, exec, s[8:9]
	s_mov_b64 s[8:9], 0
	s_cbranch_vccnz .LBB127_1161
; %bb.1145:
	v_cmp_lt_i16_e32 vcc, 14, v13
	s_mov_b64 s[10:11], -1
	s_cbranch_vccz .LBB127_1159
; %bb.1146:
	v_cmp_eq_u16_e32 vcc, 15, v13
	s_mov_b64 s[0:1], -1
	s_cbranch_vccz .LBB127_1158
; %bb.1147:
	v_mov_b32_e32 v0, 0x80
	v_cmp_lt_i16_sdwa s[0:1], s61, v0 src0_sel:BYTE_0 src1_sel:DWORD
	s_and_b64 vcc, exec, s[0:1]
	s_cbranch_vccnz .LBB127_1150
; %bb.1148:
	v_cmp_eq_u16_sdwa s[0:1], s61, v0 src0_sel:BYTE_0 src1_sel:DWORD
	s_and_b64 vcc, exec, s[0:1]
	s_cbranch_vccz .LBB127_1151
; %bb.1149:
	s_mov_b64 s[0:1], 0
	s_mov_b32 s10, 0x7f800001
	s_branch .LBB127_1153
.LBB127_1150:
	s_mov_b64 s[8:9], -1
	s_mov_b64 s[0:1], 0
	s_branch .LBB127_1152
.LBB127_1151:
	s_mov_b64 s[0:1], -1
.LBB127_1152:
                                        ; implicit-def: $sgpr10
.LBB127_1153:
	s_and_b64 vcc, exec, s[8:9]
	s_cbranch_vccz .LBB127_1155
; %bb.1154:
	v_mov_b32_e32 v0, 0
	s_mov_b32 s10, 0
	v_cmp_ne_u16_sdwa s[0:1], s61, v0 src0_sel:BYTE_0 src1_sel:DWORD
.LBB127_1155:
	s_andn2_b64 vcc, exec, s[0:1]
	s_cbranch_vccnz .LBB127_1157
; %bb.1156:
	s_mov_b32 s10, s62
.LBB127_1157:
	s_bfe_u32 s0, s10, 0x10010
	s_add_i32 s0, s10, s0
	s_addk_i32 s0, 0x7fff
	s_lshr_b32 s8, s0, 16
	v_cmp_o_f32_e64 s[0:1], s10, s10
	s_and_b64 s[0:1], s[0:1], exec
	s_cselect_b32 s0, s8, 0x7fc0
	v_mov_b32_e32 v0, s0
	global_store_short v[10:11], v0, off
	s_mov_b64 s[0:1], 0
.LBB127_1158:
	s_mov_b64 s[10:11], 0
.LBB127_1159:
	s_mov_b64 s[8:9], 0
	s_and_b64 vcc, exec, s[10:11]
	s_cbranch_vccz .LBB127_1161
; %bb.1160:
	v_cmp_ne_u16_e32 vcc, 11, v13
	s_andn2_b64 s[0:1], s[0:1], exec
	s_and_b64 s[10:11], vcc, exec
	s_mov_b64 s[8:9], -1
	s_or_b64 s[0:1], s[0:1], s[10:11]
.LBB127_1161:
	s_and_b64 s[12:13], s[2:3], exec
	s_andn2_b64 s[2:3], s[56:57], exec
	s_and_b64 s[0:1], s[0:1], exec
	s_and_b64 s[8:9], s[8:9], exec
	s_or_b64 s[10:11], s[2:3], s[0:1]
.LBB127_1162:
	s_or_b64 exec, exec, s[58:59]
	s_andn2_b64 s[0:1], s[56:57], exec
	s_and_b64 s[2:3], s[10:11], exec
	s_and_b64 s[12:13], s[12:13], exec
	;; [unrolled: 1-line block ×3, first 2 shown]
	s_or_b64 s[56:57], s[0:1], s[2:3]
.LBB127_1163:
	s_or_b64 exec, exec, s[54:55]
	s_andn2_b64 s[0:1], s[50:51], exec
	s_and_b64 s[2:3], s[56:57], exec
	s_and_b64 s[12:13], s[12:13], exec
	;; [unrolled: 1-line block ×3, first 2 shown]
	s_or_b64 s[50:51], s[0:1], s[2:3]
.LBB127_1164:
	s_or_b64 exec, exec, s[52:53]
	s_andn2_b64 s[0:1], s[46:47], exec
	s_and_b64 s[2:3], s[50:51], exec
	s_and_b64 s[8:9], s[12:13], exec
	;; [unrolled: 1-line block ×3, first 2 shown]
	s_or_b64 s[46:47], s[0:1], s[2:3]
	s_or_b64 exec, exec, s[48:49]
	s_mov_b64 s[0:1], 0
	s_and_saveexec_b64 s[2:3], s[46:47]
	s_cbranch_execz .LBB127_332
.LBB127_1165:
	s_mov_b64 s[0:1], exec
	s_andn2_b64 s[52:53], s[52:53], exec
	s_trap 2
	s_or_b64 exec, exec, s[2:3]
	s_and_saveexec_b64 s[2:3], s[52:53]
	s_cbranch_execnz .LBB127_333
.LBB127_1166:
	s_or_b64 exec, exec, s[2:3]
	s_and_saveexec_b64 s[2:3], s[8:9]
	s_xor_b64 s[2:3], exec, s[2:3]
	s_cbranch_execz .LBB127_1299
.LBB127_1167:
	v_cmp_gt_i16_e32 vcc, 5, v13
	s_mov_b64 s[6:7], -1
	s_cbranch_vccnz .LBB127_1248
; %bb.1168:
	v_cmp_gt_i16_e32 vcc, 8, v13
	s_cbranch_vccnz .LBB127_1208
; %bb.1169:
	v_cmp_gt_i16_e32 vcc, 9, v13
	s_cbranch_vccnz .LBB127_1195
; %bb.1170:
	v_cmp_lt_i16_e32 vcc, 9, v13
	s_cbranch_vccz .LBB127_1182
; %bb.1171:
	v_mov_b32_e32 v0, 0x80
	v_cmp_lt_i16_sdwa s[6:7], s61, v0 src0_sel:BYTE_0 src1_sel:DWORD
	s_and_b64 vcc, exec, s[6:7]
	s_cbranch_vccnz .LBB127_1174
; %bb.1172:
	v_cmp_eq_u16_sdwa s[6:7], s61, v0 src0_sel:BYTE_0 src1_sel:DWORD
	s_and_b64 vcc, exec, s[6:7]
	s_cbranch_vccz .LBB127_1175
; %bb.1173:
	s_mov_b64 s[6:7], 0
	s_mov_b32 s9, 0x7ff80000
	s_brev_b32 s8, 4
	s_branch .LBB127_1176
.LBB127_1174:
	s_mov_b64 s[10:11], -1
	s_mov_b64 s[6:7], 0
                                        ; implicit-def: $sgpr8_sgpr9
	s_branch .LBB127_1177
.LBB127_1175:
	s_mov_b64 s[6:7], -1
                                        ; implicit-def: $sgpr8_sgpr9
.LBB127_1176:
	s_mov_b64 s[10:11], 0
.LBB127_1177:
	s_and_b64 vcc, exec, s[10:11]
	s_cbranch_vccz .LBB127_1179
; %bb.1178:
	v_mov_b32_e32 v0, 0
	v_cmp_ne_u16_sdwa s[6:7], s61, v0 src0_sel:BYTE_0 src1_sel:DWORD
	s_mov_b64 s[8:9], 0
.LBB127_1179:
	s_andn2_b64 vcc, exec, s[6:7]
	v_pk_mov_b32 v[0:1], s[8:9], s[8:9] op_sel:[0,1]
	s_cbranch_vccnz .LBB127_1181
; %bb.1180:
	v_pk_mov_b32 v[0:1], v[6:7], v[6:7] op_sel:[0,1]
.LBB127_1181:
	v_mov_b32_e32 v2, 0
	v_mov_b32_e32 v3, v2
	global_store_dwordx4 v[10:11], v[0:3], off
	s_mov_b64 s[6:7], 0
.LBB127_1182:
	s_and_b64 vcc, exec, s[6:7]
	s_cbranch_vccz .LBB127_1194
; %bb.1183:
	v_mov_b32_e32 v0, 0x80
	v_cmp_lt_i16_sdwa s[6:7], s61, v0 src0_sel:BYTE_0 src1_sel:DWORD
	s_and_b64 vcc, exec, s[6:7]
	s_cbranch_vccnz .LBB127_1186
; %bb.1184:
	v_cmp_eq_u16_sdwa s[6:7], s61, v0 src0_sel:BYTE_0 src1_sel:DWORD
	s_and_b64 vcc, exec, s[6:7]
	s_cbranch_vccz .LBB127_1187
; %bb.1185:
	s_mov_b64 s[6:7], 0
	s_mov_b32 s10, 0x7f800001
	s_branch .LBB127_1188
.LBB127_1186:
	s_mov_b64 s[8:9], -1
	s_mov_b64 s[6:7], 0
                                        ; implicit-def: $sgpr10
	s_branch .LBB127_1189
.LBB127_1187:
	s_mov_b64 s[6:7], -1
                                        ; implicit-def: $sgpr10
.LBB127_1188:
	s_mov_b64 s[8:9], 0
.LBB127_1189:
	s_and_b64 vcc, exec, s[8:9]
	v_mov_b32_e32 v0, s10
	s_cbranch_vccz .LBB127_1191
; %bb.1190:
	s_mov_b32 s6, 0xffff
	v_mov_b32_e32 v0, s61
	v_mov_b32_e32 v1, 0
	v_and_b32_sdwa v0, s6, v0 dst_sel:DWORD dst_unused:UNUSED_PAD src0_sel:DWORD src1_sel:BYTE_0
	v_cmp_ne_u16_sdwa s[6:7], s61, v1 src0_sel:BYTE_0 src1_sel:DWORD
.LBB127_1191:
	s_andn2_b64 vcc, exec, s[6:7]
	s_cbranch_vccnz .LBB127_1193
; %bb.1192:
	v_mov_b32_e32 v0, s62
.LBB127_1193:
	v_mov_b32_e32 v1, 0
	global_store_dwordx2 v[10:11], v[0:1], off
.LBB127_1194:
	s_mov_b64 s[6:7], 0
.LBB127_1195:
	s_andn2_b64 vcc, exec, s[6:7]
	s_cbranch_vccnz .LBB127_1207
; %bb.1196:
	v_mov_b32_e32 v0, 0x80
	v_cmp_lt_i16_sdwa s[6:7], s61, v0 src0_sel:BYTE_0 src1_sel:DWORD
	s_and_b64 vcc, exec, s[6:7]
	s_cbranch_vccnz .LBB127_1199
; %bb.1197:
	v_cmp_eq_u16_sdwa s[6:7], s61, v0 src0_sel:BYTE_0 src1_sel:DWORD
	s_and_b64 vcc, exec, s[6:7]
	s_cbranch_vccz .LBB127_1200
; %bb.1198:
	s_mov_b64 s[6:7], 0
	s_movk_i32 s10, 0x7e00
	s_branch .LBB127_1201
.LBB127_1199:
	s_mov_b64 s[8:9], -1
	s_mov_b64 s[6:7], 0
                                        ; implicit-def: $sgpr10
	s_branch .LBB127_1202
.LBB127_1200:
	s_mov_b64 s[6:7], -1
                                        ; implicit-def: $sgpr10
.LBB127_1201:
	s_mov_b64 s[8:9], 0
.LBB127_1202:
	s_and_b64 vcc, exec, s[8:9]
	v_mov_b32_e32 v0, s10
	s_cbranch_vccz .LBB127_1204
; %bb.1203:
	s_mov_b32 s6, 0xffff
	v_mov_b32_e32 v0, s61
	v_mov_b32_e32 v1, 0
	v_and_b32_sdwa v0, s6, v0 dst_sel:DWORD dst_unused:UNUSED_PAD src0_sel:DWORD src1_sel:BYTE_0
	v_cmp_ne_u16_sdwa s[6:7], s61, v1 src0_sel:BYTE_0 src1_sel:DWORD
.LBB127_1204:
	s_andn2_b64 vcc, exec, s[6:7]
	s_cbranch_vccnz .LBB127_1206
; %bb.1205:
	v_mov_b32_e32 v0, v14
.LBB127_1206:
	global_store_dword v[10:11], v0, off
.LBB127_1207:
	s_mov_b64 s[6:7], 0
.LBB127_1208:
	s_andn2_b64 vcc, exec, s[6:7]
	s_cbranch_vccnz .LBB127_1247
; %bb.1209:
	v_cmp_gt_i16_e32 vcc, 6, v13
	s_mov_b64 s[6:7], -1
	s_cbranch_vccnz .LBB127_1235
; %bb.1210:
	v_cmp_lt_i16_e32 vcc, 6, v13
	s_cbranch_vccz .LBB127_1222
; %bb.1211:
	v_mov_b32_e32 v0, 0x80
	v_cmp_lt_i16_sdwa s[6:7], s61, v0 src0_sel:BYTE_0 src1_sel:DWORD
	s_and_b64 vcc, exec, s[6:7]
	s_cbranch_vccnz .LBB127_1214
; %bb.1212:
	v_cmp_eq_u16_sdwa s[6:7], s61, v0 src0_sel:BYTE_0 src1_sel:DWORD
	s_and_b64 vcc, exec, s[6:7]
	s_cbranch_vccz .LBB127_1215
; %bb.1213:
	s_mov_b64 s[6:7], 0
	s_mov_b32 s9, 0x7ff80000
	s_brev_b32 s8, 4
	s_branch .LBB127_1216
.LBB127_1214:
	s_mov_b64 s[10:11], -1
	s_mov_b64 s[6:7], 0
                                        ; implicit-def: $sgpr8_sgpr9
	s_branch .LBB127_1217
.LBB127_1215:
	s_mov_b64 s[6:7], -1
                                        ; implicit-def: $sgpr8_sgpr9
.LBB127_1216:
	s_mov_b64 s[10:11], 0
.LBB127_1217:
	s_and_b64 vcc, exec, s[10:11]
	s_cbranch_vccz .LBB127_1219
; %bb.1218:
	v_mov_b32_e32 v0, 0
	v_cmp_ne_u16_sdwa s[6:7], s61, v0 src0_sel:BYTE_0 src1_sel:DWORD
	s_mov_b64 s[8:9], 0
.LBB127_1219:
	s_andn2_b64 vcc, exec, s[6:7]
	v_pk_mov_b32 v[0:1], s[8:9], s[8:9] op_sel:[0,1]
	s_cbranch_vccnz .LBB127_1221
; %bb.1220:
	v_pk_mov_b32 v[0:1], v[6:7], v[6:7] op_sel:[0,1]
.LBB127_1221:
	global_store_dwordx2 v[10:11], v[0:1], off
	s_mov_b64 s[6:7], 0
.LBB127_1222:
	s_and_b64 vcc, exec, s[6:7]
	s_cbranch_vccz .LBB127_1234
; %bb.1223:
	v_mov_b32_e32 v0, 0x80
	v_cmp_lt_i16_sdwa s[6:7], s61, v0 src0_sel:BYTE_0 src1_sel:DWORD
	s_and_b64 vcc, exec, s[6:7]
	s_cbranch_vccnz .LBB127_1226
; %bb.1224:
	v_cmp_eq_u16_sdwa s[6:7], s61, v0 src0_sel:BYTE_0 src1_sel:DWORD
	s_and_b64 vcc, exec, s[6:7]
	s_cbranch_vccz .LBB127_1227
; %bb.1225:
	s_mov_b64 s[6:7], 0
	s_mov_b32 s10, 0x7f800001
	s_branch .LBB127_1228
.LBB127_1226:
	s_mov_b64 s[8:9], -1
	s_mov_b64 s[6:7], 0
                                        ; implicit-def: $sgpr10
	s_branch .LBB127_1229
.LBB127_1227:
	s_mov_b64 s[6:7], -1
                                        ; implicit-def: $sgpr10
.LBB127_1228:
	s_mov_b64 s[8:9], 0
.LBB127_1229:
	s_and_b64 vcc, exec, s[8:9]
	s_cbranch_vccz .LBB127_1231
; %bb.1230:
	v_mov_b32_e32 v0, 0
	s_mov_b32 s10, 0
	v_cmp_ne_u16_sdwa s[6:7], s61, v0 src0_sel:BYTE_0 src1_sel:DWORD
.LBB127_1231:
	s_andn2_b64 vcc, exec, s[6:7]
	s_cbranch_vccnz .LBB127_1233
; %bb.1232:
	s_mov_b32 s10, s62
.LBB127_1233:
	v_mov_b32_e32 v0, s10
	global_store_dword v[10:11], v0, off
.LBB127_1234:
	s_mov_b64 s[6:7], 0
.LBB127_1235:
	s_andn2_b64 vcc, exec, s[6:7]
	s_cbranch_vccnz .LBB127_1247
; %bb.1236:
	v_mov_b32_e32 v0, 0xff
	v_and_b32_e32 v0, s61, v0
	s_movk_i32 s6, 0x80
	v_cmp_gt_i16_e32 vcc, s6, v0
	s_cbranch_vccnz .LBB127_1239
; %bb.1237:
	v_cmp_eq_u16_e32 vcc, s6, v0
	s_cbranch_vccz .LBB127_1240
; %bb.1238:
	s_mov_b64 s[6:7], 0
	s_movk_i32 s10, 0x7e00
	s_branch .LBB127_1241
.LBB127_1239:
	s_mov_b64 s[8:9], -1
	s_mov_b64 s[6:7], 0
                                        ; implicit-def: $sgpr10
	s_branch .LBB127_1242
.LBB127_1240:
	s_mov_b64 s[6:7], -1
                                        ; implicit-def: $sgpr10
.LBB127_1241:
	s_mov_b64 s[8:9], 0
.LBB127_1242:
	s_and_b64 vcc, exec, s[8:9]
	v_mov_b32_e32 v1, s10
	s_cbranch_vccz .LBB127_1244
; %bb.1243:
	v_cmp_ne_u16_e64 s[6:7], 0, v0
	v_mov_b32_e32 v1, v0
.LBB127_1244:
	s_andn2_b64 vcc, exec, s[6:7]
	s_cbranch_vccnz .LBB127_1246
; %bb.1245:
	v_mov_b32_e32 v1, v14
.LBB127_1246:
	global_store_short v[10:11], v1, off
.LBB127_1247:
	s_mov_b64 s[6:7], 0
.LBB127_1248:
	s_andn2_b64 vcc, exec, s[6:7]
	s_cbranch_vccnz .LBB127_1299
; %bb.1249:
	v_cmp_gt_i16_e32 vcc, 2, v13
	s_mov_b64 s[6:7], -1
	s_cbranch_vccnz .LBB127_1280
; %bb.1250:
	v_cmp_gt_i16_e32 vcc, 3, v13
	s_cbranch_vccnz .LBB127_1270
; %bb.1251:
	v_cmp_lt_i16_e32 vcc, 3, v13
	s_cbranch_vccz .LBB127_1260
; %bb.1252:
	v_mov_b32_e32 v0, 0x80
	v_cmp_lt_i16_sdwa s[6:7], s61, v0 src0_sel:BYTE_0 src1_sel:DWORD
	s_and_b64 vcc, exec, s[6:7]
	s_cbranch_vccnz .LBB127_1254
; %bb.1253:
	v_cmp_ne_u16_sdwa s[6:7], s61, v0 src0_sel:BYTE_0 src1_sel:DWORD
	s_mov_b64 s[10:11], 0
	s_mov_b64 s[8:9], 0
	s_branch .LBB127_1255
.LBB127_1254:
	s_mov_b64 s[10:11], -1
	s_mov_b64 s[6:7], 0
                                        ; implicit-def: $sgpr8_sgpr9
.LBB127_1255:
	s_andn2_b64 vcc, exec, s[10:11]
	s_cbranch_vccnz .LBB127_1257
; %bb.1256:
	v_mov_b32_e32 v0, 0
	v_cmp_ne_u16_sdwa s[6:7], s61, v0 src0_sel:BYTE_0 src1_sel:DWORD
	s_mov_b64 s[8:9], 0
.LBB127_1257:
	s_andn2_b64 vcc, exec, s[6:7]
	v_pk_mov_b32 v[0:1], s[8:9], s[8:9] op_sel:[0,1]
	s_cbranch_vccnz .LBB127_1259
; %bb.1258:
	v_pk_mov_b32 v[0:1], v[4:5], v[4:5] op_sel:[0,1]
.LBB127_1259:
	global_store_dwordx2 v[10:11], v[0:1], off
	s_mov_b64 s[6:7], 0
.LBB127_1260:
	s_and_b64 vcc, exec, s[6:7]
	s_cbranch_vccz .LBB127_1269
; %bb.1261:
	v_mov_b32_e32 v0, 0x80
	v_cmp_lt_i16_sdwa s[6:7], s61, v0 src0_sel:BYTE_0 src1_sel:DWORD
	s_and_b64 vcc, exec, s[6:7]
	s_cbranch_vccnz .LBB127_1263
; %bb.1262:
	v_cmp_ne_u16_sdwa s[6:7], s61, v0 src0_sel:BYTE_0 src1_sel:DWORD
	s_mov_b64 s[8:9], 0
	s_mov_b32 s10, 0
	s_branch .LBB127_1264
.LBB127_1263:
	s_mov_b64 s[8:9], -1
	s_mov_b64 s[6:7], 0
                                        ; implicit-def: $sgpr10
.LBB127_1264:
	s_andn2_b64 vcc, exec, s[8:9]
	s_cbranch_vccnz .LBB127_1266
; %bb.1265:
	v_mov_b32_e32 v0, 0
	s_mov_b32 s10, 0
	v_cmp_ne_u16_sdwa s[6:7], s61, v0 src0_sel:BYTE_0 src1_sel:DWORD
.LBB127_1266:
	s_andn2_b64 vcc, exec, s[6:7]
	v_mov_b32_e32 v0, s10
	s_cbranch_vccnz .LBB127_1268
; %bb.1267:
	v_mov_b32_e32 v0, v12
.LBB127_1268:
	global_store_dword v[10:11], v0, off
.LBB127_1269:
	s_mov_b64 s[6:7], 0
.LBB127_1270:
	s_andn2_b64 vcc, exec, s[6:7]
	s_cbranch_vccnz .LBB127_1279
; %bb.1271:
	v_mov_b32_e32 v0, 0x80
	v_cmp_lt_i16_sdwa s[6:7], s61, v0 src0_sel:BYTE_0 src1_sel:DWORD
	s_and_b64 vcc, exec, s[6:7]
	s_cbranch_vccnz .LBB127_1273
; %bb.1272:
	v_cmp_ne_u16_sdwa s[6:7], s61, v0 src0_sel:BYTE_0 src1_sel:DWORD
	s_mov_b64 s[8:9], 0
	s_mov_b32 s10, 0
	s_branch .LBB127_1274
.LBB127_1273:
	s_mov_b64 s[8:9], -1
	s_mov_b64 s[6:7], 0
                                        ; implicit-def: $sgpr10
.LBB127_1274:
	s_andn2_b64 vcc, exec, s[8:9]
	s_cbranch_vccnz .LBB127_1276
; %bb.1275:
	v_mov_b32_e32 v0, 0
	s_mov_b32 s10, 0
	v_cmp_ne_u16_sdwa s[6:7], s61, v0 src0_sel:BYTE_0 src1_sel:DWORD
.LBB127_1276:
	s_andn2_b64 vcc, exec, s[6:7]
	v_mov_b32_e32 v0, s10
	s_cbranch_vccnz .LBB127_1278
; %bb.1277:
	v_mov_b32_e32 v0, v12
.LBB127_1278:
	global_store_short v[10:11], v0, off
.LBB127_1279:
	s_mov_b64 s[6:7], 0
.LBB127_1280:
	s_andn2_b64 vcc, exec, s[6:7]
	s_cbranch_vccnz .LBB127_1299
; %bb.1281:
	v_cmp_lt_i16_e32 vcc, 0, v13
	s_mov_b64 s[6:7], -1
	s_cbranch_vccz .LBB127_1290
; %bb.1282:
	v_mov_b32_e32 v0, 0x80
	v_cmp_lt_i16_sdwa s[6:7], s61, v0 src0_sel:BYTE_0 src1_sel:DWORD
	s_and_b64 vcc, exec, s[6:7]
	s_cbranch_vccnz .LBB127_1284
; %bb.1283:
	v_cmp_ne_u16_sdwa s[6:7], s61, v0 src0_sel:BYTE_0 src1_sel:DWORD
	s_mov_b64 s[8:9], 0
	s_mov_b32 s10, 0
	s_branch .LBB127_1285
.LBB127_1284:
	s_mov_b64 s[8:9], -1
	s_mov_b64 s[6:7], 0
                                        ; implicit-def: $sgpr10
.LBB127_1285:
	s_andn2_b64 vcc, exec, s[8:9]
	s_cbranch_vccnz .LBB127_1287
; %bb.1286:
	v_mov_b32_e32 v0, 0
	s_mov_b32 s10, 0
	v_cmp_ne_u16_sdwa s[6:7], s61, v0 src0_sel:BYTE_0 src1_sel:DWORD
.LBB127_1287:
	s_andn2_b64 vcc, exec, s[6:7]
	v_mov_b32_e32 v0, s10
	s_cbranch_vccnz .LBB127_1289
; %bb.1288:
	v_mov_b32_e32 v0, v12
.LBB127_1289:
	global_store_byte v[10:11], v0, off
	s_mov_b64 s[6:7], 0
.LBB127_1290:
	s_and_b64 vcc, exec, s[6:7]
	s_cbranch_vccz .LBB127_1299
; %bb.1291:
	v_mov_b32_e32 v0, 0x80
	v_cmp_lt_i16_sdwa s[6:7], s61, v0 src0_sel:BYTE_0 src1_sel:DWORD
	s_and_b64 vcc, exec, s[6:7]
	s_cbranch_vccnz .LBB127_1293
; %bb.1292:
	v_cmp_ne_u16_sdwa s[6:7], s61, v0 src0_sel:BYTE_0 src1_sel:DWORD
	s_mov_b64 s[8:9], 0
	s_mov_b32 s10, 0
	s_branch .LBB127_1294
.LBB127_1293:
	s_mov_b64 s[8:9], -1
	s_mov_b64 s[6:7], 0
                                        ; implicit-def: $sgpr10
.LBB127_1294:
	s_andn2_b64 vcc, exec, s[8:9]
	s_cbranch_vccnz .LBB127_1296
; %bb.1295:
	v_mov_b32_e32 v0, 0
	s_mov_b32 s10, 0
	v_cmp_ne_u16_sdwa s[6:7], s61, v0 src0_sel:BYTE_0 src1_sel:DWORD
.LBB127_1296:
	s_andn2_b64 vcc, exec, s[6:7]
	v_mov_b32_e32 v0, s10
	s_cbranch_vccnz .LBB127_1298
; %bb.1297:
	v_mov_b32_e32 v0, v4
.LBB127_1298:
	global_store_byte v[10:11], v0, off
.LBB127_1299:
	s_or_b64 exec, exec, s[2:3]
	s_and_b64 s[6:7], s[0:1], exec
                                        ; implicit-def: $vgpr2
                                        ; implicit-def: $vgpr15
.LBB127_1300:
	s_or_saveexec_b64 s[26:27], s[26:27]
	s_mov_b64 s[2:3], 0
                                        ; implicit-def: $vgpr4_vgpr5
                                        ; implicit-def: $vgpr6
                                        ; implicit-def: $sgpr16
	s_xor_b64 exec, exec, s[26:27]
	s_cbranch_execz .LBB127_2288
; %bb.1301:
	v_cndmask_b32_e64 v0, 0, 1, s[30:31]
	v_cmp_ne_u32_e64 s[0:1], 1, v0
	s_andn2_b64 vcc, exec, s[30:31]
	s_cbranch_vccnz .LBB127_1307
; %bb.1302:
	s_mov_b32 s30, 0
	s_cmp_eq_u32 s33, 0
	v_mov_b32_e32 v0, 0
	s_cbranch_scc1 .LBB127_1311
; %bb.1303:
	s_min_u32 s31, s60, 15
	s_add_i32 s31, s31, 1
	s_cmp_eq_u32 s60, 2
	v_mov_b32_e32 v0, 0
	s_cbranch_scc1 .LBB127_1308
; %bb.1304:
	s_add_u32 s2, s24, 0xc4
	s_addc_u32 s3, s25, 0
	s_and_b32 s30, s31, 28
	s_mov_b32 s34, 0
	v_mov_b32_e32 v0, 0
	s_mov_b64 s[28:29], s[24:25]
	v_mov_b32_e32 v3, v15
.LBB127_1305:                           ; =>This Inner Loop Header: Depth=1
	s_load_dwordx8 s[8:15], s[28:29], 0x4
	s_load_dwordx4 s[16:19], s[28:29], 0x24
	s_load_dwordx4 s[20:23], s[2:3], 0x0
	s_add_u32 s28, s28, 48
	s_addc_u32 s29, s29, 0
	s_waitcnt lgkmcnt(0)
	v_mul_hi_u32 v1, s9, v3
	v_add_u32_e32 v1, v3, v1
	v_lshrrev_b32_e32 v1, s10, v1
	v_mul_lo_u32 v4, v1, s8
	v_mul_hi_u32 v5, s12, v1
	v_sub_u32_e32 v3, v3, v4
	v_add_u32_e32 v4, v1, v5
	v_lshrrev_b32_e32 v4, s13, v4
	v_mul_lo_u32 v5, v4, s11
	v_mul_hi_u32 v6, s15, v4
	v_sub_u32_e32 v1, v1, v5
	v_add_u32_e32 v5, v4, v6
	v_mul_lo_u32 v3, v3, s20
	v_mul_lo_u32 v1, v1, s21
	v_lshrrev_b32_e32 v5, s16, v5
	v_add3_u32 v0, v3, v0, v1
	v_mul_hi_u32 v3, s18, v5
	v_add_u32_e32 v3, v5, v3
	v_mul_lo_u32 v1, v5, s14
	v_lshrrev_b32_e32 v3, s19, v3
	s_add_i32 s34, s34, 4
	v_sub_u32_e32 v1, v4, v1
	v_mul_lo_u32 v4, v3, s17
	s_add_u32 s2, s2, 16
	v_sub_u32_e32 v4, v5, v4
	s_addc_u32 s3, s3, 0
	v_mul_lo_u32 v1, v1, s22
	v_mul_lo_u32 v4, v4, s23
	s_cmp_lg_u32 s30, s34
	v_add3_u32 v0, v1, v0, v4
	s_cbranch_scc1 .LBB127_1305
; %bb.1306:
	s_and_b32 s10, s31, 3
	s_cmp_eq_u32 s10, 0
	s_cbranch_scc0 .LBB127_1309
	s_branch .LBB127_1311
.LBB127_1307:
                                        ; implicit-def: $vgpr0
	s_branch .LBB127_1312
.LBB127_1308:
	v_mov_b32_e32 v3, v15
	s_and_b32 s10, s31, 3
	s_cmp_eq_u32 s10, 0
	s_cbranch_scc1 .LBB127_1311
.LBB127_1309:
	s_lshl_b32 s2, s30, 2
	s_add_u32 s2, s2, s24
	s_addc_u32 s3, 0, s25
	s_add_u32 s2, s2, 0xc4
	s_addc_u32 s3, s3, 0
	s_mul_i32 s8, s30, 12
	s_add_u32 s8, s24, s8
	s_addc_u32 s9, 0, s25
.LBB127_1310:                           ; =>This Inner Loop Header: Depth=1
	s_load_dwordx2 s[12:13], s[8:9], 0x4
	s_load_dword s11, s[8:9], 0xc
	s_load_dword s14, s[2:3], 0x0
	s_add_u32 s8, s8, 12
	s_addc_u32 s9, s9, 0
	s_waitcnt lgkmcnt(0)
	v_mul_hi_u32 v1, s13, v3
	v_add_u32_e32 v1, v3, v1
	v_lshrrev_b32_e32 v1, s11, v1
	s_add_u32 s2, s2, 4
	v_mul_lo_u32 v4, v1, s12
	s_addc_u32 s3, s3, 0
	s_add_i32 s10, s10, -1
	v_sub_u32_e32 v4, v3, v4
	s_cmp_lg_u32 s10, 0
	v_mov_b32_e32 v3, v1
	v_mad_u64_u32 v[0:1], s[12:13], v4, s14, v[0:1]
	s_cbranch_scc1 .LBB127_1310
.LBB127_1311:
	s_cbranch_execnz .LBB127_1314
.LBB127_1312:
	s_load_dwordx4 s[8:11], s[24:25], 0x4
	s_load_dword s2, s[24:25], 0xc4
	s_cmp_lt_u32 s33, 2
	s_waitcnt lgkmcnt(0)
	v_mul_hi_u32 v0, s9, v15
	v_add_u32_e32 v0, v15, v0
	v_lshrrev_b32_e32 v1, s10, v0
	v_mul_lo_u32 v0, v1, s8
	v_sub_u32_e32 v0, v15, v0
	v_mul_lo_u32 v0, v0, s2
	s_cbranch_scc1 .LBB127_1314
; %bb.1313:
	s_load_dwordx4 s[8:11], s[24:25], 0x10
	s_load_dword s2, s[24:25], 0xc8
	s_waitcnt lgkmcnt(0)
	v_mul_hi_u32 v3, s9, v1
	v_add_u32_e32 v3, v1, v3
	v_lshrrev_b32_e32 v3, s10, v3
	v_mul_lo_u32 v3, v3, s8
	v_sub_u32_e32 v1, v1, v3
	v_mad_u64_u32 v[0:1], s[2:3], v1, s2, v[0:1]
.LBB127_1314:
	s_and_b64 vcc, exec, s[0:1]
	v_add_u32_e32 v1, 0x80, v15
	s_cbranch_vccnz .LBB127_1320
; %bb.1315:
	s_mov_b32 s30, 0
	s_cmp_eq_u32 s33, 0
	v_mov_b32_e32 v8, 0
	s_cbranch_scc1 .LBB127_1324
; %bb.1316:
	s_min_u32 s31, s60, 15
	s_add_i32 s31, s31, 1
	s_cmp_eq_u32 s60, 2
	v_mov_b32_e32 v8, 0
	s_cbranch_scc1 .LBB127_1321
; %bb.1317:
	s_add_u32 s2, s24, 0xc4
	s_addc_u32 s3, s25, 0
	s_and_b32 s30, s31, 28
	s_mov_b32 s34, 0
	v_mov_b32_e32 v8, 0
	s_mov_b64 s[28:29], s[24:25]
	v_mov_b32_e32 v3, v1
.LBB127_1318:                           ; =>This Inner Loop Header: Depth=1
	s_load_dwordx8 s[8:15], s[28:29], 0x4
	s_load_dwordx4 s[16:19], s[28:29], 0x24
	s_load_dwordx4 s[20:23], s[2:3], 0x0
	s_add_u32 s28, s28, 48
	s_addc_u32 s29, s29, 0
	s_waitcnt lgkmcnt(0)
	v_mul_hi_u32 v4, s9, v3
	v_add_u32_e32 v4, v3, v4
	v_lshrrev_b32_e32 v4, s10, v4
	v_mul_lo_u32 v5, v4, s8
	v_mul_hi_u32 v6, s12, v4
	v_sub_u32_e32 v3, v3, v5
	v_add_u32_e32 v5, v4, v6
	v_lshrrev_b32_e32 v5, s13, v5
	v_mul_lo_u32 v6, v5, s11
	v_mul_hi_u32 v7, s15, v5
	v_sub_u32_e32 v4, v4, v6
	v_add_u32_e32 v6, v5, v7
	v_mul_lo_u32 v3, v3, s20
	v_mul_lo_u32 v4, v4, s21
	v_lshrrev_b32_e32 v6, s16, v6
	v_add3_u32 v4, v3, v8, v4
	v_mul_lo_u32 v3, v6, s14
	v_mul_hi_u32 v7, s18, v6
	v_sub_u32_e32 v3, v5, v3
	v_add_u32_e32 v5, v6, v7
	v_mul_lo_u32 v7, v3, s22
	v_lshrrev_b32_e32 v3, s19, v5
	s_add_i32 s34, s34, 4
	v_mul_lo_u32 v5, v3, s17
	s_add_u32 s2, s2, 16
	v_sub_u32_e32 v5, v6, v5
	s_addc_u32 s3, s3, 0
	v_mul_lo_u32 v5, v5, s23
	s_cmp_lg_u32 s30, s34
	v_add3_u32 v8, v7, v4, v5
	s_cbranch_scc1 .LBB127_1318
; %bb.1319:
	s_and_b32 s10, s31, 3
	s_cmp_eq_u32 s10, 0
	s_cbranch_scc0 .LBB127_1322
	s_branch .LBB127_1324
.LBB127_1320:
                                        ; implicit-def: $vgpr8
	s_branch .LBB127_1325
.LBB127_1321:
	v_mov_b32_e32 v3, v1
	s_and_b32 s10, s31, 3
	s_cmp_eq_u32 s10, 0
	s_cbranch_scc1 .LBB127_1324
.LBB127_1322:
	s_lshl_b32 s2, s30, 2
	s_add_u32 s2, s2, s24
	s_addc_u32 s3, 0, s25
	s_add_u32 s2, s2, 0xc4
	s_addc_u32 s3, s3, 0
	s_mul_i32 s8, s30, 12
	s_add_u32 s8, s24, s8
	s_addc_u32 s9, 0, s25
.LBB127_1323:                           ; =>This Inner Loop Header: Depth=1
	s_load_dwordx2 s[12:13], s[8:9], 0x4
	s_load_dword s11, s[8:9], 0xc
	s_load_dword s14, s[2:3], 0x0
	s_add_u32 s8, s8, 12
	s_addc_u32 s9, s9, 0
	s_waitcnt lgkmcnt(0)
	v_mul_hi_u32 v4, s13, v3
	v_add_u32_e32 v4, v3, v4
	v_lshrrev_b32_e32 v4, s11, v4
	s_add_u32 s2, s2, 4
	v_mul_lo_u32 v5, v4, s12
	s_addc_u32 s3, s3, 0
	s_add_i32 s10, s10, -1
	v_sub_u32_e32 v5, v3, v5
	s_cmp_lg_u32 s10, 0
	v_mov_b32_e32 v3, v4
	v_mad_u64_u32 v[8:9], s[12:13], v5, s14, v[8:9]
	s_cbranch_scc1 .LBB127_1323
.LBB127_1324:
	s_cbranch_execnz .LBB127_1327
.LBB127_1325:
	s_load_dwordx4 s[8:11], s[24:25], 0x4
	s_load_dword s2, s[24:25], 0xc4
	s_cmp_lt_u32 s33, 2
	s_waitcnt lgkmcnt(0)
	v_mul_hi_u32 v3, s9, v1
	v_add_u32_e32 v3, v1, v3
	v_lshrrev_b32_e32 v3, s10, v3
	v_mul_lo_u32 v4, v3, s8
	v_sub_u32_e32 v1, v1, v4
	v_mul_lo_u32 v8, v1, s2
	s_cbranch_scc1 .LBB127_1327
; %bb.1326:
	s_load_dwordx4 s[8:11], s[24:25], 0x10
	s_load_dword s2, s[24:25], 0xc8
	s_waitcnt lgkmcnt(0)
	v_mul_hi_u32 v1, s9, v3
	v_add_u32_e32 v1, v3, v1
	v_lshrrev_b32_e32 v1, s10, v1
	v_mul_lo_u32 v1, v1, s8
	v_sub_u32_e32 v1, v3, v1
	v_mad_u64_u32 v[8:9], s[2:3], v1, s2, v[8:9]
.LBB127_1327:
	s_and_b64 vcc, exec, s[0:1]
	v_add_u32_e32 v1, 0x100, v15
	s_cbranch_vccnz .LBB127_1333
; %bb.1328:
	s_mov_b32 s30, 0
	s_cmp_eq_u32 s33, 0
	v_mov_b32_e32 v6, 0
	s_cbranch_scc1 .LBB127_1337
; %bb.1329:
	s_min_u32 s31, s60, 15
	s_add_i32 s31, s31, 1
	s_cmp_eq_u32 s60, 2
	v_mov_b32_e32 v6, 0
	s_cbranch_scc1 .LBB127_1334
; %bb.1330:
	s_add_u32 s2, s24, 0xc4
	s_addc_u32 s3, s25, 0
	s_and_b32 s30, s31, 28
	s_mov_b32 s34, 0
	v_mov_b32_e32 v6, 0
	s_mov_b64 s[28:29], s[24:25]
	v_mov_b32_e32 v3, v1
.LBB127_1331:                           ; =>This Inner Loop Header: Depth=1
	s_load_dwordx8 s[8:15], s[28:29], 0x4
	s_load_dwordx4 s[16:19], s[28:29], 0x24
	s_load_dwordx4 s[20:23], s[2:3], 0x0
	s_add_u32 s28, s28, 48
	s_addc_u32 s29, s29, 0
	s_waitcnt lgkmcnt(0)
	v_mul_hi_u32 v4, s9, v3
	v_add_u32_e32 v4, v3, v4
	v_lshrrev_b32_e32 v4, s10, v4
	v_mul_lo_u32 v5, v4, s8
	v_mul_hi_u32 v7, s12, v4
	v_sub_u32_e32 v3, v3, v5
	v_add_u32_e32 v5, v4, v7
	v_lshrrev_b32_e32 v5, s13, v5
	v_mul_lo_u32 v7, v5, s11
	v_mul_hi_u32 v9, s15, v5
	v_sub_u32_e32 v4, v4, v7
	v_add_u32_e32 v7, v5, v9
	v_mul_lo_u32 v3, v3, s20
	v_mul_lo_u32 v4, v4, s21
	v_lshrrev_b32_e32 v7, s16, v7
	v_add3_u32 v4, v3, v6, v4
	v_mul_lo_u32 v3, v7, s14
	v_mul_hi_u32 v6, s18, v7
	v_sub_u32_e32 v3, v5, v3
	v_add_u32_e32 v5, v7, v6
	v_mul_lo_u32 v6, v3, s22
	v_lshrrev_b32_e32 v3, s19, v5
	s_add_i32 s34, s34, 4
	v_mul_lo_u32 v5, v3, s17
	s_add_u32 s2, s2, 16
	v_sub_u32_e32 v5, v7, v5
	s_addc_u32 s3, s3, 0
	v_mul_lo_u32 v5, v5, s23
	s_cmp_lg_u32 s30, s34
	v_add3_u32 v6, v6, v4, v5
	s_cbranch_scc1 .LBB127_1331
; %bb.1332:
	s_and_b32 s10, s31, 3
	s_cmp_eq_u32 s10, 0
	s_cbranch_scc0 .LBB127_1335
	s_branch .LBB127_1337
.LBB127_1333:
                                        ; implicit-def: $vgpr6
	s_branch .LBB127_1338
.LBB127_1334:
	v_mov_b32_e32 v3, v1
	s_and_b32 s10, s31, 3
	s_cmp_eq_u32 s10, 0
	s_cbranch_scc1 .LBB127_1337
.LBB127_1335:
	s_lshl_b32 s2, s30, 2
	s_add_u32 s2, s2, s24
	s_addc_u32 s3, 0, s25
	s_add_u32 s2, s2, 0xc4
	s_addc_u32 s3, s3, 0
	s_mul_i32 s8, s30, 12
	s_add_u32 s8, s24, s8
	s_addc_u32 s9, 0, s25
.LBB127_1336:                           ; =>This Inner Loop Header: Depth=1
	s_load_dwordx2 s[12:13], s[8:9], 0x4
	s_load_dword s11, s[8:9], 0xc
	s_load_dword s14, s[2:3], 0x0
	s_add_u32 s8, s8, 12
	s_addc_u32 s9, s9, 0
	s_waitcnt lgkmcnt(0)
	v_mul_hi_u32 v4, s13, v3
	v_add_u32_e32 v4, v3, v4
	v_lshrrev_b32_e32 v4, s11, v4
	s_add_u32 s2, s2, 4
	v_mul_lo_u32 v5, v4, s12
	s_addc_u32 s3, s3, 0
	s_add_i32 s10, s10, -1
	v_sub_u32_e32 v5, v3, v5
	s_cmp_lg_u32 s10, 0
	v_mov_b32_e32 v3, v4
	v_mad_u64_u32 v[6:7], s[12:13], v5, s14, v[6:7]
	s_cbranch_scc1 .LBB127_1336
.LBB127_1337:
	s_cbranch_execnz .LBB127_1340
.LBB127_1338:
	s_load_dwordx4 s[8:11], s[24:25], 0x4
	s_load_dword s2, s[24:25], 0xc4
	s_cmp_lt_u32 s33, 2
	s_waitcnt lgkmcnt(0)
	v_mul_hi_u32 v3, s9, v1
	v_add_u32_e32 v3, v1, v3
	v_lshrrev_b32_e32 v3, s10, v3
	v_mul_lo_u32 v4, v3, s8
	v_sub_u32_e32 v1, v1, v4
	v_mul_lo_u32 v6, v1, s2
	s_cbranch_scc1 .LBB127_1340
; %bb.1339:
	s_load_dwordx4 s[8:11], s[24:25], 0x10
	s_load_dword s2, s[24:25], 0xc8
	s_waitcnt lgkmcnt(0)
	v_mul_hi_u32 v1, s9, v3
	v_add_u32_e32 v1, v3, v1
	v_lshrrev_b32_e32 v1, s10, v1
	v_mul_lo_u32 v1, v1, s8
	v_sub_u32_e32 v1, v3, v1
	v_mad_u64_u32 v[6:7], s[2:3], v1, s2, v[6:7]
.LBB127_1340:
	s_and_b64 vcc, exec, s[0:1]
	s_cbranch_vccnz .LBB127_1346
; %bb.1341:
	s_mov_b32 s28, 0
	s_cmp_eq_u32 s33, 0
	v_mov_b32_e32 v4, 0
	s_cbranch_scc1 .LBB127_1350
; %bb.1342:
	s_min_u32 s29, s60, 15
	s_add_i32 s29, s29, 1
	s_cmp_eq_u32 s60, 2
	v_mov_b32_e32 v4, 0
	s_cbranch_scc1 .LBB127_1347
; %bb.1343:
	s_add_u32 s20, s24, 0xc4
	s_addc_u32 s21, s25, 0
	s_and_b32 s28, s29, 28
	s_mov_b32 s30, 0
	v_mov_b32_e32 v4, 0
	s_mov_b64 s[22:23], s[24:25]
	v_mov_b32_e32 v1, v2
.LBB127_1344:                           ; =>This Inner Loop Header: Depth=1
	s_load_dwordx8 s[8:15], s[22:23], 0x4
	s_load_dwordx4 s[0:3], s[22:23], 0x24
	s_load_dwordx4 s[16:19], s[20:21], 0x0
	s_add_u32 s22, s22, 48
	s_addc_u32 s23, s23, 0
	s_waitcnt lgkmcnt(0)
	v_mul_hi_u32 v3, s9, v1
	v_add_u32_e32 v3, v1, v3
	v_lshrrev_b32_e32 v3, s10, v3
	v_mul_lo_u32 v5, v3, s8
	v_mul_hi_u32 v7, s12, v3
	v_sub_u32_e32 v1, v1, v5
	v_add_u32_e32 v5, v3, v7
	v_lshrrev_b32_e32 v5, s13, v5
	v_mul_lo_u32 v7, v5, s11
	v_mul_hi_u32 v9, s15, v5
	v_sub_u32_e32 v3, v3, v7
	v_add_u32_e32 v7, v5, v9
	v_mul_lo_u32 v1, v1, s16
	v_mul_lo_u32 v3, v3, s17
	v_lshrrev_b32_e32 v7, s0, v7
	v_add3_u32 v3, v1, v4, v3
	v_mul_lo_u32 v1, v7, s14
	v_mul_hi_u32 v4, s2, v7
	v_sub_u32_e32 v1, v5, v1
	v_add_u32_e32 v4, v7, v4
	v_mul_lo_u32 v5, v1, s18
	v_lshrrev_b32_e32 v1, s3, v4
	s_add_i32 s30, s30, 4
	v_mul_lo_u32 v4, v1, s1
	s_add_u32 s20, s20, 16
	v_sub_u32_e32 v4, v7, v4
	s_addc_u32 s21, s21, 0
	v_mul_lo_u32 v4, v4, s19
	s_cmp_lg_u32 s28, s30
	v_add3_u32 v4, v5, v3, v4
	s_cbranch_scc1 .LBB127_1344
; %bb.1345:
	s_and_b32 s8, s29, 3
	s_cmp_eq_u32 s8, 0
	s_cbranch_scc0 .LBB127_1348
	s_branch .LBB127_1350
.LBB127_1346:
                                        ; implicit-def: $vgpr4
	s_branch .LBB127_1351
.LBB127_1347:
	v_mov_b32_e32 v1, v2
	s_and_b32 s8, s29, 3
	s_cmp_eq_u32 s8, 0
	s_cbranch_scc1 .LBB127_1350
.LBB127_1348:
	s_lshl_b32 s0, s28, 2
	s_add_u32 s0, s0, s24
	s_addc_u32 s1, 0, s25
	s_add_u32 s0, s0, 0xc4
	s_addc_u32 s1, s1, 0
	s_mul_i32 s2, s28, 12
	s_add_u32 s2, s24, s2
	s_addc_u32 s3, 0, s25
.LBB127_1349:                           ; =>This Inner Loop Header: Depth=1
	s_load_dwordx2 s[10:11], s[2:3], 0x4
	s_load_dword s9, s[2:3], 0xc
	s_load_dword s12, s[0:1], 0x0
	s_add_u32 s2, s2, 12
	s_addc_u32 s3, s3, 0
	s_waitcnt lgkmcnt(0)
	v_mul_hi_u32 v3, s11, v1
	v_add_u32_e32 v3, v1, v3
	v_lshrrev_b32_e32 v3, s9, v3
	s_add_u32 s0, s0, 4
	v_mul_lo_u32 v5, v3, s10
	s_addc_u32 s1, s1, 0
	s_add_i32 s8, s8, -1
	v_sub_u32_e32 v5, v1, v5
	s_cmp_lg_u32 s8, 0
	v_mov_b32_e32 v1, v3
	v_mad_u64_u32 v[4:5], s[10:11], v5, s12, v[4:5]
	s_cbranch_scc1 .LBB127_1349
.LBB127_1350:
	s_cbranch_execnz .LBB127_1353
.LBB127_1351:
	s_load_dwordx4 s[0:3], s[24:25], 0x4
	s_waitcnt lgkmcnt(0)
	s_load_dword s3, s[24:25], 0xc4
	s_cmp_lt_u32 s33, 2
	v_mul_hi_u32 v1, s1, v2
	v_add_u32_e32 v1, v2, v1
	v_lshrrev_b32_e32 v1, s2, v1
	v_mul_lo_u32 v3, v1, s0
	v_sub_u32_e32 v2, v2, v3
	s_waitcnt lgkmcnt(0)
	v_mul_lo_u32 v4, v2, s3
	s_cbranch_scc1 .LBB127_1353
; %bb.1352:
	s_load_dwordx4 s[0:3], s[24:25], 0x10
	s_waitcnt lgkmcnt(0)
	s_load_dword s3, s[24:25], 0xc8
	v_mul_hi_u32 v2, s1, v1
	v_add_u32_e32 v2, v1, v2
	v_lshrrev_b32_e32 v2, s2, v2
	v_mul_lo_u32 v2, v2, s0
	v_sub_u32_e32 v1, v1, v2
	s_waitcnt lgkmcnt(0)
	v_mad_u64_u32 v[4:5], s[0:1], v1, s3, v[4:5]
.LBB127_1353:
	s_load_dwordx2 s[2:3], s[24:25], 0x108
	s_load_dword s16, s[24:25], 0x110
	s_waitcnt lgkmcnt(0)
	v_mov_b32_e32 v1, s3
	v_add_co_u32_e32 v10, vcc, s2, v0
	v_mov_b32_e32 v0, 11
	v_addc_co_u32_e32 v11, vcc, 0, v1, vcc
	v_cmp_lt_i16_sdwa s[0:1], s16, v0 src0_sel:BYTE_1 src1_sel:DWORD
	s_and_b64 vcc, exec, s[0:1]
	s_cbranch_vccnz .LBB127_1362
; %bb.1354:
	v_mov_b32_e32 v0, 25
	v_cmp_gt_i16_sdwa s[0:1], s16, v0 src0_sel:BYTE_1 src1_sel:DWORD
	s_mov_b64 s[12:13], -1
	s_mov_b64 s[8:9], 0
	s_and_b64 vcc, exec, s[0:1]
	s_mov_b64 s[10:11], 0
	s_mov_b64 s[0:1], 0
	s_cbranch_vccz .LBB127_1444
; %bb.1355:
	v_mov_b32_e32 v0, 28
	v_cmp_gt_i16_sdwa s[0:1], s16, v0 src0_sel:BYTE_1 src1_sel:DWORD
	s_and_b64 vcc, exec, s[0:1]
	s_cbranch_vccz .LBB127_1364
; %bb.1356:
	v_mov_b32_e32 v0, 43
	v_cmp_gt_i16_sdwa s[0:1], s16, v0 src0_sel:BYTE_1 src1_sel:DWORD
	s_and_b64 vcc, exec, s[0:1]
	;; [unrolled: 5-line block ×3, first 2 shown]
	s_cbranch_vccz .LBB127_1366
; %bb.1358:
	v_mov_b32_e32 v0, 46
	v_cmp_eq_u16_sdwa s[10:11], s16, v0 src0_sel:BYTE_1 src1_sel:DWORD
	s_mov_b64 s[0:1], -1
	s_mov_b64 s[12:13], 0
	s_and_b64 vcc, exec, s[10:11]
	s_mov_b64 s[10:11], 0
	s_cbranch_vccz .LBB127_1375
; %bb.1359:
	v_mov_b32_e32 v0, 0x80
	v_cmp_lt_i16_sdwa s[0:1], s16, v0 src0_sel:BYTE_0 src1_sel:DWORD
	s_and_b64 vcc, exec, s[0:1]
	s_cbranch_vccnz .LBB127_1367
; %bb.1360:
	v_cmp_eq_u16_sdwa s[0:1], s16, v0 src0_sel:BYTE_0 src1_sel:DWORD
	s_and_b64 vcc, exec, s[0:1]
	s_cbranch_vccz .LBB127_1368
; %bb.1361:
	s_mov_b64 s[0:1], 0
	s_mov_b32 s14, 0x7f800001
	s_branch .LBB127_1370
.LBB127_1362:
	s_mov_b64 s[10:11], 0
	s_mov_b64 s[0:1], s[6:7]
	s_cbranch_execnz .LBB127_1525
.LBB127_1363:
	s_andn2_b64 vcc, exec, s[10:11]
	s_cbranch_vccz .LBB127_1659
	s_branch .LBB127_2286
.LBB127_1364:
	s_mov_b64 s[0:1], 0
	s_and_b64 vcc, exec, s[12:13]
	s_cbranch_vccnz .LBB127_1402
	s_branch .LBB127_1443
.LBB127_1365:
	s_mov_b64 s[0:1], 0
	s_branch .LBB127_1389
.LBB127_1366:
	s_mov_b64 s[0:1], 0
	s_branch .LBB127_1375
.LBB127_1367:
	s_mov_b64 s[10:11], -1
	s_mov_b64 s[0:1], 0
	s_branch .LBB127_1369
.LBB127_1368:
	s_mov_b64 s[0:1], -1
.LBB127_1369:
                                        ; implicit-def: $sgpr14
.LBB127_1370:
	s_and_b64 vcc, exec, s[10:11]
	s_cbranch_vccz .LBB127_1372
; %bb.1371:
	v_mov_b32_e32 v0, 0
	s_mov_b32 s14, 0
	v_cmp_ne_u16_sdwa s[0:1], s16, v0 src0_sel:BYTE_0 src1_sel:DWORD
.LBB127_1372:
	s_andn2_b64 vcc, exec, s[0:1]
	s_cbranch_vccnz .LBB127_1374
; %bb.1373:
	s_and_b32 s1, s16, 3
	s_flbit_i32_b32 s11, s1
	s_min_u32 s11, s11, 32
	v_lshrrev_b16_e64 v0, 2, s16
	s_sub_i32 s14, s11, 29
	v_readfirstlane_b32 s10, v0
	s_lshl_b32 s14, s16, s14
	s_lshl_b32 s0, s16, 24
	s_and_b32 s10, s10, 31
	s_sub_i32 s11, 30, s11
	s_and_b32 s14, s14, 3
	s_cmp_eq_u32 s10, 0
	s_cselect_b32 s10, s11, s10
	s_cselect_b32 s1, s14, s1
	s_lshl_b32 s10, s10, 23
	s_and_b32 s0, s0, 0x80000000
	s_add_i32 s10, s10, 0x37800000
	s_lshl_b32 s1, s1, 21
	s_or_b32 s0, s0, s10
	s_or_b32 s14, s0, s1
.LBB127_1374:
	s_bfe_u32 s0, s14, 0x10010
	s_add_i32 s0, s14, s0
	s_addk_i32 s0, 0x7fff
	s_lshr_b32 s10, s0, 16
	v_cmp_o_f32_e64 s[0:1], s14, s14
	s_and_b64 s[0:1], s[0:1], exec
	s_cselect_b32 s0, s10, 0x7fc0
	v_mov_b32_e32 v0, s0
	global_store_dword v[10:11], v0, off
	s_mov_b64 s[0:1], 0
	s_mov_b64 s[10:11], -1
.LBB127_1375:
	s_and_b64 vcc, exec, s[12:13]
	s_cbranch_vccz .LBB127_1388
; %bb.1376:
	v_mov_b32_e32 v0, 44
	v_cmp_eq_u16_sdwa s[12:13], s16, v0 src0_sel:BYTE_1 src1_sel:DWORD
	s_mov_b64 s[0:1], -1
	s_and_b64 vcc, exec, s[12:13]
	s_cbranch_vccz .LBB127_1388
; %bb.1377:
	v_mov_b32_e32 v0, 0xff
	v_and_b32_e32 v0, s16, v0
	s_movk_i32 s0, 0x80
	v_cmp_gt_i16_e32 vcc, s0, v0
	v_readfirstlane_b32 s13, v0
	s_cbranch_vccnz .LBB127_1380
; %bb.1378:
	v_mov_b32_e32 v0, 0x80
	v_cmp_eq_u16_e32 vcc, s13, v0
	s_cbranch_vccz .LBB127_1381
; %bb.1379:
	s_mov_b64 s[0:1], 0
	s_mov_b32 s12, 0x7f800001
	s_branch .LBB127_1382
.LBB127_1380:
	s_mov_b64 s[10:11], -1
	s_mov_b64 s[0:1], 0
                                        ; implicit-def: $sgpr12
	s_branch .LBB127_1383
.LBB127_1381:
	s_mov_b64 s[0:1], -1
                                        ; implicit-def: $sgpr12
.LBB127_1382:
	s_mov_b64 s[10:11], 0
.LBB127_1383:
	s_and_b64 vcc, exec, s[10:11]
	s_cbranch_vccz .LBB127_1393
; %bb.1384:
	s_and_b32 s12, 0xffff, s13
	v_cmp_ne_u16_e64 s[0:1], s13, 0
	s_andn2_b64 vcc, exec, s[0:1]
	s_cbranch_vccz .LBB127_1394
.LBB127_1385:
	s_bfe_u32 s0, s12, 0x80017
	s_cmpk_eq_i32 s0, 0xff
	v_mov_b32_e32 v0, 0xff
	s_cbranch_scc1 .LBB127_1387
.LBB127_1386:
	s_lshr_b32 s13, s12, 23
	s_bitcmp1_b32 s12, 22
	s_cselect_b64 s[10:11], -1, 0
	s_and_b32 s1, s12, 0x3fffff
	s_or_b32 s0, s0, s1
	s_cmp_lg_u32 s0, 0
	s_cselect_b64 s[0:1], -1, 0
	s_and_b64 s[0:1], s[10:11], s[0:1]
	v_cndmask_b32_e64 v0, 0, 1, s[0:1]
	v_add_u32_e32 v0, s13, v0
.LBB127_1387:
	s_mov_b64 s[0:1], 0
	s_mov_b64 s[10:11], -1
	global_store_byte v[10:11], v0, off
.LBB127_1388:
	s_mov_b64 s[12:13], 0
.LBB127_1389:
	s_and_b64 vcc, exec, s[12:13]
	s_cbranch_vccz .LBB127_1401
; %bb.1390:
	v_mov_b32_e32 v0, 29
	v_cmp_eq_u16_sdwa s[12:13], s16, v0 src0_sel:BYTE_1 src1_sel:DWORD
	s_mov_b64 s[0:1], -1
	s_and_b64 vcc, exec, s[12:13]
	s_cbranch_vccz .LBB127_1401
; %bb.1391:
	v_mov_b32_e32 v0, 0x80
	v_cmp_lt_i16_sdwa s[0:1], s16, v0 src0_sel:BYTE_0 src1_sel:DWORD
	s_and_b64 vcc, exec, s[0:1]
	s_cbranch_vccnz .LBB127_1395
; %bb.1392:
	v_cmp_ne_u16_sdwa s[0:1], s16, v0 src0_sel:BYTE_0 src1_sel:DWORD
	s_mov_b64 s[12:13], 0
	s_mov_b64 s[10:11], 0
	s_branch .LBB127_1396
.LBB127_1393:
	s_andn2_b64 vcc, exec, s[0:1]
	s_cbranch_vccnz .LBB127_1385
.LBB127_1394:
	s_and_b32 s0, s16, 3
	s_flbit_i32_b32 s10, s0
	s_min_u32 s10, s10, 32
	v_lshrrev_b16_e64 v0, 2, s16
	s_sub_i32 s11, s10, 29
	v_readfirstlane_b32 s1, v0
	s_lshl_b32 s11, s16, s11
	s_and_b32 s1, s1, 31
	s_sub_i32 s10, 30, s10
	s_and_b32 s11, s11, 3
	s_cmp_eq_u32 s1, 0
	s_cselect_b32 s1, s10, s1
	s_cselect_b32 s0, s11, s0
	s_lshl_b32 s0, s0, 21
	s_lshl_b32 s1, s1, 23
	s_or_b32 s0, s1, s0
	s_add_i32 s12, s0, 0x37800000
	s_bfe_u32 s0, s12, 0x80017
	s_cmpk_eq_i32 s0, 0xff
	v_mov_b32_e32 v0, 0xff
	s_cbranch_scc0 .LBB127_1386
	s_branch .LBB127_1387
.LBB127_1395:
	s_mov_b64 s[12:13], -1
	s_mov_b64 s[0:1], 0
                                        ; implicit-def: $sgpr10_sgpr11
.LBB127_1396:
	s_andn2_b64 vcc, exec, s[12:13]
	s_cbranch_vccnz .LBB127_1398
; %bb.1397:
	v_mov_b32_e32 v0, 0
	v_cmp_ne_u16_sdwa s[0:1], s16, v0 src0_sel:BYTE_0 src1_sel:DWORD
	s_mov_b64 s[10:11], 0
.LBB127_1398:
	s_andn2_b64 vcc, exec, s[0:1]
	v_pk_mov_b32 v[0:1], s[10:11], s[10:11] op_sel:[0,1]
	s_cbranch_vccnz .LBB127_1400
; %bb.1399:
	s_and_b32 s1, s16, 3
	s_flbit_i32_b32 s11, s1
	s_min_u32 s11, s11, 32
	v_lshrrev_b16_e64 v0, 2, s16
	s_sub_i32 s12, s11, 29
	v_readfirstlane_b32 s10, v0
	s_lshl_b32 s12, s16, s12
	s_lshl_b32 s0, s16, 24
	s_and_b32 s10, s10, 31
	s_sub_i32 s11, 30, s11
	s_and_b32 s12, s12, 3
	s_cmp_eq_u32 s10, 0
	s_cselect_b32 s10, s11, s10
	s_cselect_b32 s1, s12, s1
	s_lshl_b32 s10, s10, 23
	s_and_b32 s0, s0, 0x80000000
	s_add_i32 s10, s10, 0x37800000
	s_lshl_b32 s1, s1, 21
	s_or_b32 s0, s0, s10
	s_or_b32 s0, s0, s1
	v_trunc_f32_e32 v0, s0
	v_mul_f32_e32 v1, 0x2f800000, v0
	v_floor_f32_e32 v1, v1
	v_fmac_f32_e32 v0, 0xcf800000, v1
	v_cvt_u32_f32_e32 v0, v0
	v_cvt_u32_f32_e32 v1, v1
.LBB127_1400:
	global_store_dwordx2 v[10:11], v[0:1], off
	s_mov_b64 s[0:1], 0
	s_mov_b64 s[10:11], -1
.LBB127_1401:
	s_branch .LBB127_1443
.LBB127_1402:
	v_mov_b32_e32 v0, 27
	v_cmp_lt_i16_sdwa s[12:13], s16, v0 src0_sel:BYTE_1 src1_sel:DWORD
	s_mov_b64 s[10:11], -1
	s_and_b64 vcc, exec, s[12:13]
	s_cbranch_vccnz .LBB127_1422
; %bb.1403:
	v_cmp_gt_i16_sdwa s[12:13], s16, v0 src0_sel:BYTE_1 src1_sel:DWORD
	s_and_b64 vcc, exec, s[12:13]
	s_cbranch_vccz .LBB127_1412
; %bb.1404:
	v_mov_b32_e32 v0, 0x80
	v_cmp_lt_i16_sdwa s[10:11], s16, v0 src0_sel:BYTE_0 src1_sel:DWORD
	s_and_b64 vcc, exec, s[10:11]
	s_cbranch_vccnz .LBB127_1406
; %bb.1405:
	v_cmp_ne_u16_sdwa s[10:11], s16, v0 src0_sel:BYTE_0 src1_sel:DWORD
	s_mov_b64 s[12:13], 0
	s_mov_b32 s14, 0
	s_branch .LBB127_1407
.LBB127_1406:
	s_mov_b64 s[12:13], -1
	s_mov_b64 s[10:11], 0
                                        ; implicit-def: $sgpr14
.LBB127_1407:
	s_andn2_b64 vcc, exec, s[12:13]
	s_cbranch_vccnz .LBB127_1409
; %bb.1408:
	v_mov_b32_e32 v0, 0
	s_mov_b32 s14, 0
	v_cmp_ne_u16_sdwa s[10:11], s16, v0 src0_sel:BYTE_0 src1_sel:DWORD
.LBB127_1409:
	s_andn2_b64 vcc, exec, s[10:11]
	v_mov_b32_e32 v0, s14
	s_cbranch_vccnz .LBB127_1411
; %bb.1410:
	s_and_b32 s11, s16, 3
	s_flbit_i32_b32 s13, s11
	s_min_u32 s13, s13, 32
	v_lshrrev_b16_e64 v0, 2, s16
	s_sub_i32 s14, s13, 29
	v_readfirstlane_b32 s12, v0
	s_lshl_b32 s14, s16, s14
	s_lshl_b32 s10, s16, 24
	s_and_b32 s12, s12, 31
	s_sub_i32 s13, 30, s13
	s_and_b32 s14, s14, 3
	s_cmp_eq_u32 s12, 0
	s_cselect_b32 s12, s13, s12
	s_cselect_b32 s11, s14, s11
	s_lshl_b32 s12, s12, 23
	s_and_b32 s10, s10, 0x80000000
	s_add_i32 s12, s12, 0x37800000
	s_lshl_b32 s11, s11, 21
	s_or_b32 s10, s10, s12
	s_or_b32 s10, s10, s11
	v_cvt_u32_f32_e32 v0, s10
.LBB127_1411:
	global_store_dword v[10:11], v0, off
	s_mov_b64 s[10:11], 0
.LBB127_1412:
	s_and_b64 vcc, exec, s[10:11]
	s_cbranch_vccz .LBB127_1421
; %bb.1413:
	v_mov_b32_e32 v0, 0x80
	v_cmp_lt_i16_sdwa s[10:11], s16, v0 src0_sel:BYTE_0 src1_sel:DWORD
	s_and_b64 vcc, exec, s[10:11]
	s_cbranch_vccnz .LBB127_1415
; %bb.1414:
	v_cmp_ne_u16_sdwa s[10:11], s16, v0 src0_sel:BYTE_0 src1_sel:DWORD
	s_mov_b64 s[12:13], 0
	s_mov_b32 s14, 0
	s_branch .LBB127_1416
.LBB127_1415:
	s_mov_b64 s[12:13], -1
	s_mov_b64 s[10:11], 0
                                        ; implicit-def: $sgpr14
.LBB127_1416:
	s_andn2_b64 vcc, exec, s[12:13]
	s_cbranch_vccnz .LBB127_1418
; %bb.1417:
	v_mov_b32_e32 v0, 0
	s_mov_b32 s14, 0
	v_cmp_ne_u16_sdwa s[10:11], s16, v0 src0_sel:BYTE_0 src1_sel:DWORD
.LBB127_1418:
	s_andn2_b64 vcc, exec, s[10:11]
	v_mov_b32_e32 v0, s14
	s_cbranch_vccnz .LBB127_1420
; %bb.1419:
	s_and_b32 s11, s16, 3
	s_flbit_i32_b32 s13, s11
	s_min_u32 s13, s13, 32
	v_lshrrev_b16_e64 v0, 2, s16
	s_sub_i32 s14, s13, 29
	v_readfirstlane_b32 s12, v0
	s_lshl_b32 s14, s16, s14
	s_lshl_b32 s10, s16, 24
	s_and_b32 s12, s12, 31
	s_sub_i32 s13, 30, s13
	s_and_b32 s14, s14, 3
	s_cmp_eq_u32 s12, 0
	s_cselect_b32 s12, s13, s12
	s_cselect_b32 s11, s14, s11
	s_lshl_b32 s12, s12, 23
	s_and_b32 s10, s10, 0x80000000
	s_add_i32 s12, s12, 0x37800000
	s_lshl_b32 s11, s11, 21
	s_or_b32 s10, s10, s12
	s_or_b32 s10, s10, s11
	v_cvt_u32_f32_e32 v0, s10
.LBB127_1420:
	global_store_short v[10:11], v0, off
.LBB127_1421:
	s_mov_b64 s[10:11], 0
.LBB127_1422:
	s_andn2_b64 vcc, exec, s[10:11]
	s_cbranch_vccnz .LBB127_1442
; %bb.1423:
	v_mov_b32_e32 v0, 0x80
	v_cmp_lt_i16_sdwa s[10:11], s16, v0 src0_sel:BYTE_0 src1_sel:DWORD
	s_and_b64 vcc, exec, s[10:11]
	s_cbranch_vccnz .LBB127_1426
; %bb.1424:
	v_cmp_eq_u16_sdwa s[10:11], s16, v0 src0_sel:BYTE_0 src1_sel:DWORD
	s_and_b64 vcc, exec, s[10:11]
	s_cbranch_vccz .LBB127_1427
; %bb.1425:
	s_mov_b64 s[10:11], 0
	s_mov_b32 s14, 0x7f800001
	s_branch .LBB127_1428
.LBB127_1426:
	s_mov_b64 s[12:13], -1
	s_mov_b64 s[10:11], 0
                                        ; implicit-def: $sgpr14
	s_branch .LBB127_1429
.LBB127_1427:
	s_mov_b64 s[10:11], -1
                                        ; implicit-def: $sgpr14
.LBB127_1428:
	s_mov_b64 s[12:13], 0
.LBB127_1429:
	s_and_b64 vcc, exec, s[12:13]
	s_cbranch_vccz .LBB127_1432
; %bb.1430:
	v_mov_b32_e32 v0, 0
	s_mov_b32 s14, 0
	v_cmp_ne_u16_sdwa s[10:11], s16, v0 src0_sel:BYTE_0 src1_sel:DWORD
	s_andn2_b64 vcc, exec, s[10:11]
	s_cbranch_vccz .LBB127_1433
.LBB127_1431:
	s_and_b32 s10, s14, 0x7fffffff
	s_cmp_gt_u32 s10, 0x437fffff
	v_mov_b32_e32 v1, 0x80
	s_cbranch_scc0 .LBB127_1434
	s_branch .LBB127_1441
.LBB127_1432:
	s_andn2_b64 vcc, exec, s[10:11]
	s_cbranch_vccnz .LBB127_1431
.LBB127_1433:
	s_and_b32 s11, s16, 3
	s_flbit_i32_b32 s13, s11
	s_min_u32 s13, s13, 32
	v_lshrrev_b16_e64 v0, 2, s16
	s_sub_i32 s14, s13, 29
	v_readfirstlane_b32 s12, v0
	s_lshl_b32 s14, s16, s14
	s_lshl_b32 s10, s16, 24
	s_and_b32 s12, s12, 31
	s_sub_i32 s13, 30, s13
	s_and_b32 s14, s14, 3
	s_cmp_eq_u32 s12, 0
	s_cselect_b32 s12, s13, s12
	s_cselect_b32 s11, s14, s11
	s_lshl_b32 s12, s12, 23
	s_and_b32 s10, s10, 0x80000000
	s_add_i32 s12, s12, 0x37800000
	s_lshl_b32 s11, s11, 21
	s_or_b32 s10, s10, s12
	s_or_b32 s14, s10, s11
	s_and_b32 s10, s14, 0x7fffffff
	s_cmp_gt_u32 s10, 0x437fffff
	v_mov_b32_e32 v1, 0x80
	s_cbranch_scc1 .LBB127_1441
.LBB127_1434:
	s_cmp_gt_u32 s10, 0x3bffffff
	s_cbranch_scc0 .LBB127_1436
; %bb.1435:
	s_bfe_u32 s10, s14, 0x10014
	s_add_i32 s10, s14, s10
	s_add_i32 s10, s10, 0x487ffff
	s_lshr_b32 s15, s10, 20
	s_mov_b64 s[12:13], 0
	s_mov_b64 s[10:11], -1
	s_branch .LBB127_1437
.LBB127_1436:
	s_mov_b64 s[12:13], -1
	s_mov_b64 s[10:11], 0
                                        ; implicit-def: $sgpr15
.LBB127_1437:
	s_andn2_b64 vcc, exec, s[12:13]
	v_mov_b32_e32 v0, s15
                                        ; implicit-def: $sgpr12
	s_cbranch_vccnz .LBB127_1439
; %bb.1438:
	v_mov_b32_e32 v0, 0x46000000
	v_add_f32_e64 v0, |s14|, v0
	v_and_b32_e32 v0, 0xff, v0
	s_mov_b32 s12, 0
	v_cmp_ne_u32_e64 s[10:11], 0, v0
.LBB127_1439:
	s_andn2_b64 vcc, exec, s[10:11]
	v_mov_b32_e32 v1, s12
	s_cbranch_vccnz .LBB127_1441
; %bb.1440:
	s_lshr_b32 s10, s14, 24
	s_and_b32 s10, s10, 0x80
	v_or_b32_e32 v1, s10, v0
.LBB127_1441:
	global_store_byte v[10:11], v1, off
.LBB127_1442:
	s_mov_b64 s[10:11], -1
.LBB127_1443:
	s_mov_b64 s[12:13], 0
.LBB127_1444:
	s_and_b64 vcc, exec, s[12:13]
	s_cbranch_vccz .LBB127_1512
; %bb.1445:
	v_mov_b32_e32 v0, 22
	v_cmp_gt_i16_sdwa s[12:13], s16, v0 src0_sel:BYTE_1 src1_sel:DWORD
	s_mov_b64 s[8:9], -1
	s_and_b64 vcc, exec, s[12:13]
	s_cbranch_vccz .LBB127_1495
; %bb.1446:
	v_mov_b32_e32 v0, 24
	v_cmp_lt_i16_sdwa s[10:11], s16, v0 src0_sel:BYTE_1 src1_sel:DWORD
	s_and_b64 vcc, exec, s[10:11]
	s_cbranch_vccnz .LBB127_1472
; %bb.1447:
	v_cmp_gt_i16_sdwa s[10:11], s16, v0 src0_sel:BYTE_1 src1_sel:DWORD
	s_and_b64 vcc, exec, s[10:11]
	s_cbranch_vccz .LBB127_1449
; %bb.1448:
	v_mov_b32_e32 v0, s16
	global_store_byte v[10:11], v0, off
	s_mov_b64 s[8:9], 0
.LBB127_1449:
	s_andn2_b64 vcc, exec, s[8:9]
	s_cbranch_vccnz .LBB127_1471
; %bb.1450:
	v_mov_b32_e32 v0, 0x80
	v_cmp_lt_i16_sdwa s[8:9], s16, v0 src0_sel:BYTE_0 src1_sel:DWORD
	s_and_b64 vcc, exec, s[8:9]
	s_cbranch_vccnz .LBB127_1453
; %bb.1451:
	v_cmp_eq_u16_sdwa s[8:9], s16, v0 src0_sel:BYTE_0 src1_sel:DWORD
	s_and_b64 vcc, exec, s[8:9]
	s_cbranch_vccz .LBB127_1454
; %bb.1452:
	s_mov_b64 s[8:9], 0
	s_mov_b32 s12, 0x7f800001
	s_branch .LBB127_1455
.LBB127_1453:
	s_mov_b64 s[10:11], -1
	s_mov_b64 s[8:9], 0
                                        ; implicit-def: $sgpr12
	s_branch .LBB127_1456
.LBB127_1454:
	s_mov_b64 s[8:9], -1
                                        ; implicit-def: $sgpr12
.LBB127_1455:
	s_mov_b64 s[10:11], 0
.LBB127_1456:
	s_and_b64 vcc, exec, s[10:11]
	s_cbranch_vccz .LBB127_1461
; %bb.1457:
	v_mov_b32_e32 v0, 0
	s_mov_b32 s12, 0
	v_cmp_ne_u16_sdwa s[8:9], s16, v0 src0_sel:BYTE_0 src1_sel:DWORD
	s_andn2_b64 vcc, exec, s[8:9]
	s_cbranch_vccz .LBB127_1462
.LBB127_1458:
	s_and_b32 s10, s12, 0x7fffffff
	s_cmp_lt_u32 s10, 0x43f00000
	s_cbranch_scc0 .LBB127_1463
.LBB127_1459:
	s_cmp_gt_u32 s10, 0x3c7fffff
	s_cbranch_scc0 .LBB127_1464
; %bb.1460:
	s_bfe_u32 s8, s12, 0x10014
	s_add_i32 s8, s12, s8
	s_add_i32 s8, s8, 0x407ffff
	s_lshr_b32 s9, s8, 20
	s_and_b32 s8, s8, 0xff00000
	s_cmp_lg_u32 s8, 0x7f00000
	s_cselect_b32 s11, s9, 0x7e
	s_mov_b64 s[8:9], 0
	s_branch .LBB127_1465
.LBB127_1461:
	s_andn2_b64 vcc, exec, s[8:9]
	s_cbranch_vccnz .LBB127_1458
.LBB127_1462:
	s_and_b32 s9, s16, 3
	s_flbit_i32_b32 s11, s9
	s_min_u32 s11, s11, 32
	v_lshrrev_b16_e64 v0, 2, s16
	s_sub_i32 s12, s11, 29
	v_readfirstlane_b32 s10, v0
	s_lshl_b32 s12, s16, s12
	s_lshl_b32 s8, s16, 24
	s_and_b32 s10, s10, 31
	s_sub_i32 s11, 30, s11
	s_and_b32 s12, s12, 3
	s_cmp_eq_u32 s10, 0
	s_cselect_b32 s10, s11, s10
	s_cselect_b32 s9, s12, s9
	s_lshl_b32 s10, s10, 23
	s_and_b32 s8, s8, 0x80000000
	s_add_i32 s10, s10, 0x37800000
	s_lshl_b32 s9, s9, 21
	s_or_b32 s8, s8, s10
	s_or_b32 s12, s8, s9
	s_and_b32 s10, s12, 0x7fffffff
	s_cmp_lt_u32 s10, 0x43f00000
	s_cbranch_scc1 .LBB127_1459
.LBB127_1463:
	s_mov_b64 s[8:9], -1
                                        ; implicit-def: $vgpr0
	s_branch .LBB127_1468
.LBB127_1464:
	s_mov_b64 s[8:9], -1
                                        ; implicit-def: $sgpr11
.LBB127_1465:
	s_andn2_b64 vcc, exec, s[8:9]
	v_mov_b32_e32 v0, s11
	s_cbranch_vccnz .LBB127_1467
; %bb.1466:
	v_mov_b32_e32 v0, 0x46800000
	v_add_f32_e64 v0, |s12|, v0
.LBB127_1467:
	s_mov_b64 s[8:9], 0
.LBB127_1468:
	s_andn2_b64 vcc, exec, s[8:9]
	s_cbranch_vccnz .LBB127_1470
; %bb.1469:
	s_cmp_gt_u32 s10, 0x7f800000
	s_movk_i32 s8, 0x7f
	s_cselect_b32 s8, s8, 0x7e
	v_mov_b32_e32 v0, s8
.LBB127_1470:
	s_lshr_b32 s8, s12, 24
	s_and_b32 s8, s8, 0x80
	v_or_b32_e32 v0, s8, v0
	global_store_byte v[10:11], v0, off
.LBB127_1471:
	s_mov_b64 s[8:9], 0
.LBB127_1472:
	s_andn2_b64 vcc, exec, s[8:9]
	s_cbranch_vccnz .LBB127_1494
; %bb.1473:
	v_mov_b32_e32 v0, 0x80
	v_cmp_lt_i16_sdwa s[8:9], s16, v0 src0_sel:BYTE_0 src1_sel:DWORD
	s_and_b64 vcc, exec, s[8:9]
	s_cbranch_vccnz .LBB127_1476
; %bb.1474:
	v_cmp_eq_u16_sdwa s[8:9], s16, v0 src0_sel:BYTE_0 src1_sel:DWORD
	s_and_b64 vcc, exec, s[8:9]
	s_cbranch_vccz .LBB127_1477
; %bb.1475:
	s_mov_b64 s[8:9], 0
	s_mov_b32 s12, 0x7f800001
	s_branch .LBB127_1478
.LBB127_1476:
	s_mov_b64 s[10:11], -1
	s_mov_b64 s[8:9], 0
                                        ; implicit-def: $sgpr12
	s_branch .LBB127_1479
.LBB127_1477:
	s_mov_b64 s[8:9], -1
                                        ; implicit-def: $sgpr12
.LBB127_1478:
	s_mov_b64 s[10:11], 0
.LBB127_1479:
	s_and_b64 vcc, exec, s[10:11]
	s_cbranch_vccz .LBB127_1484
; %bb.1480:
	v_mov_b32_e32 v0, 0
	s_mov_b32 s12, 0
	v_cmp_ne_u16_sdwa s[8:9], s16, v0 src0_sel:BYTE_0 src1_sel:DWORD
	s_andn2_b64 vcc, exec, s[8:9]
	s_cbranch_vccz .LBB127_1485
.LBB127_1481:
	s_and_b32 s10, s12, 0x7fffffff
	s_cmp_lt_u32 s10, 0x47800000
	s_cbranch_scc0 .LBB127_1486
.LBB127_1482:
	s_cmp_gt_u32 s10, 0x387fffff
	s_cbranch_scc0 .LBB127_1487
; %bb.1483:
	s_bfe_u32 s8, s12, 0x10015
	s_add_i32 s8, s12, s8
	s_add_i32 s8, s8, 0x80fffff
	s_lshr_b32 s11, s8, 21
	s_mov_b64 s[8:9], 0
	s_branch .LBB127_1488
.LBB127_1484:
	s_andn2_b64 vcc, exec, s[8:9]
	s_cbranch_vccnz .LBB127_1481
.LBB127_1485:
	s_and_b32 s9, s16, 3
	s_flbit_i32_b32 s11, s9
	s_min_u32 s11, s11, 32
	v_lshrrev_b16_e64 v0, 2, s16
	s_sub_i32 s12, s11, 29
	v_readfirstlane_b32 s10, v0
	s_lshl_b32 s12, s16, s12
	s_lshl_b32 s8, s16, 24
	s_and_b32 s10, s10, 31
	s_sub_i32 s11, 30, s11
	s_and_b32 s12, s12, 3
	s_cmp_eq_u32 s10, 0
	s_cselect_b32 s10, s11, s10
	s_cselect_b32 s9, s12, s9
	s_lshl_b32 s10, s10, 23
	s_and_b32 s8, s8, 0x80000000
	s_add_i32 s10, s10, 0x37800000
	s_lshl_b32 s9, s9, 21
	s_or_b32 s8, s8, s10
	s_or_b32 s12, s8, s9
	s_and_b32 s10, s12, 0x7fffffff
	s_cmp_lt_u32 s10, 0x47800000
	s_cbranch_scc1 .LBB127_1482
.LBB127_1486:
	s_mov_b64 s[8:9], -1
                                        ; implicit-def: $vgpr0
	s_branch .LBB127_1491
.LBB127_1487:
	s_mov_b64 s[8:9], -1
                                        ; implicit-def: $sgpr11
.LBB127_1488:
	s_andn2_b64 vcc, exec, s[8:9]
	v_mov_b32_e32 v0, s11
	s_cbranch_vccnz .LBB127_1490
; %bb.1489:
	v_mov_b32_e32 v0, 0x43000000
	v_add_f32_e64 v0, |s12|, v0
.LBB127_1490:
	s_mov_b64 s[8:9], 0
.LBB127_1491:
	s_andn2_b64 vcc, exec, s[8:9]
	s_cbranch_vccnz .LBB127_1493
; %bb.1492:
	s_cmp_gt_u32 s10, 0x7f800000
	s_movk_i32 s8, 0x7f
	s_cselect_b32 s8, s8, 0x7c
	v_mov_b32_e32 v0, s8
.LBB127_1493:
	s_lshr_b32 s8, s12, 24
	s_and_b32 s8, s8, 0x80
	v_or_b32_e32 v0, s8, v0
	global_store_byte v[10:11], v0, off
.LBB127_1494:
	s_mov_b64 s[8:9], 0
	s_mov_b64 s[10:11], -1
.LBB127_1495:
	s_andn2_b64 vcc, exec, s[8:9]
	s_mov_b64 s[8:9], 0
	s_cbranch_vccnz .LBB127_1512
; %bb.1496:
	v_mov_b32_e32 v0, 14
	v_cmp_gt_i16_sdwa s[8:9], s16, v0 src0_sel:BYTE_1 src1_sel:DWORD
	s_mov_b64 s[12:13], -1
	s_and_b64 vcc, exec, s[8:9]
	s_cbranch_vccz .LBB127_1510
; %bb.1497:
	v_mov_b32_e32 v0, 15
	v_cmp_eq_u16_sdwa s[8:9], s16, v0 src0_sel:BYTE_1 src1_sel:DWORD
	s_mov_b64 s[0:1], -1
	s_and_b64 vcc, exec, s[8:9]
	s_cbranch_vccz .LBB127_1509
; %bb.1498:
	v_mov_b32_e32 v0, 0x80
	v_cmp_lt_i16_sdwa s[0:1], s16, v0 src0_sel:BYTE_0 src1_sel:DWORD
	s_and_b64 vcc, exec, s[0:1]
	s_cbranch_vccnz .LBB127_1501
; %bb.1499:
	v_cmp_eq_u16_sdwa s[0:1], s16, v0 src0_sel:BYTE_0 src1_sel:DWORD
	s_and_b64 vcc, exec, s[0:1]
	s_cbranch_vccz .LBB127_1502
; %bb.1500:
	s_mov_b64 s[0:1], 0
	s_mov_b32 s10, 0x7f800001
	s_branch .LBB127_1503
.LBB127_1501:
	s_mov_b64 s[8:9], -1
	s_mov_b64 s[0:1], 0
                                        ; implicit-def: $sgpr10
	s_branch .LBB127_1504
.LBB127_1502:
	s_mov_b64 s[0:1], -1
                                        ; implicit-def: $sgpr10
.LBB127_1503:
	s_mov_b64 s[8:9], 0
.LBB127_1504:
	s_and_b64 vcc, exec, s[8:9]
	s_cbranch_vccz .LBB127_1506
; %bb.1505:
	v_mov_b32_e32 v0, 0
	s_mov_b32 s10, 0
	v_cmp_ne_u16_sdwa s[0:1], s16, v0 src0_sel:BYTE_0 src1_sel:DWORD
.LBB127_1506:
	s_andn2_b64 vcc, exec, s[0:1]
	s_cbranch_vccnz .LBB127_1508
; %bb.1507:
	s_and_b32 s1, s16, 3
	s_flbit_i32_b32 s9, s1
	s_min_u32 s9, s9, 32
	v_lshrrev_b16_e64 v0, 2, s16
	s_sub_i32 s10, s9, 29
	v_readfirstlane_b32 s8, v0
	s_lshl_b32 s10, s16, s10
	s_lshl_b32 s0, s16, 24
	s_and_b32 s8, s8, 31
	s_sub_i32 s9, 30, s9
	s_and_b32 s10, s10, 3
	s_cmp_eq_u32 s8, 0
	s_cselect_b32 s8, s9, s8
	s_cselect_b32 s1, s10, s1
	s_lshl_b32 s8, s8, 23
	s_and_b32 s0, s0, 0x80000000
	s_add_i32 s8, s8, 0x37800000
	s_lshl_b32 s1, s1, 21
	s_or_b32 s0, s0, s8
	s_or_b32 s10, s0, s1
.LBB127_1508:
	s_bfe_u32 s0, s10, 0x10010
	s_add_i32 s0, s10, s0
	s_addk_i32 s0, 0x7fff
	s_lshr_b32 s8, s0, 16
	v_cmp_o_f32_e64 s[0:1], s10, s10
	s_and_b64 s[0:1], s[0:1], exec
	s_cselect_b32 s0, s8, 0x7fc0
	v_mov_b32_e32 v0, s0
	global_store_short v[10:11], v0, off
	s_mov_b64 s[0:1], 0
	s_mov_b64 s[10:11], -1
.LBB127_1509:
	s_mov_b64 s[12:13], 0
.LBB127_1510:
	s_mov_b64 s[8:9], 0
	s_and_b64 vcc, exec, s[12:13]
	s_cbranch_vccz .LBB127_1512
; %bb.1511:
	v_mov_b32_e32 v0, 11
	v_cmp_ne_u16_sdwa s[0:1], s16, v0 src0_sel:BYTE_1 src1_sel:DWORD
	s_mov_b64 s[8:9], -1
.LBB127_1512:
	s_and_b64 vcc, exec, s[0:1]
	s_mov_b64 s[0:1], s[6:7]
	s_cbranch_vccnz .LBB127_1532
; %bb.1513:
	s_andn2_b64 vcc, exec, s[8:9]
	s_cbranch_vccnz .LBB127_1524
.LBB127_1514:
	v_mov_b32_e32 v0, 0x80
	v_cmp_lt_i16_sdwa s[8:9], s16, v0 src0_sel:BYTE_0 src1_sel:DWORD
	s_and_b64 vcc, exec, s[8:9]
	s_cbranch_vccnz .LBB127_1517
; %bb.1515:
	v_cmp_eq_u16_sdwa s[8:9], s16, v0 src0_sel:BYTE_0 src1_sel:DWORD
	s_and_b64 vcc, exec, s[8:9]
	s_cbranch_vccz .LBB127_1518
; %bb.1516:
	s_mov_b64 s[10:11], 0
	s_mov_b64 s[8:9], -1
	s_branch .LBB127_1519
.LBB127_1517:
	s_mov_b64 s[10:11], 0
                                        ; implicit-def: $sgpr8_sgpr9
	s_cbranch_execnz .LBB127_1520
	s_branch .LBB127_1521
.LBB127_1518:
	s_mov_b64 s[10:11], -1
                                        ; implicit-def: $sgpr8_sgpr9
.LBB127_1519:
	s_branch .LBB127_1521
.LBB127_1520:
	v_mov_b32_e32 v0, 0
	v_cmp_ne_u16_sdwa s[10:11], s16, v0 src0_sel:BYTE_0 src1_sel:DWORD
	s_mov_b64 s[8:9], 0
.LBB127_1521:
	s_andn2_b64 vcc, exec, s[10:11]
	s_cbranch_vccnz .LBB127_1523
; %bb.1522:
	s_and_b32 s8, s16, 3
	s_flbit_i32_b32 s10, s8
	s_min_u32 s10, s10, 32
	v_lshrrev_b16_e64 v0, 2, s16
	s_sub_i32 s11, s10, 29
	v_readfirstlane_b32 s9, v0
	s_lshl_b32 s11, s16, s11
	s_and_b32 s9, s9, 31
	s_sub_i32 s10, 30, s10
	s_and_b32 s11, s11, 3
	s_cmp_eq_u32 s9, 0
	s_cselect_b32 s9, s10, s9
	s_cselect_b32 s8, s11, s8
	s_lshl_b32 s9, s9, 23
	s_add_i32 s9, s9, 0x37800000
	s_lshl_b32 s8, s8, 21
	s_and_b32 s9, s9, 0x7f800000
	s_or_b32 s8, s9, s8
	s_cmp_lg_u32 s8, 0
	s_cselect_b64 s[8:9], -1, 0
.LBB127_1523:
	v_cndmask_b32_e64 v0, 0, 1, s[8:9]
	global_store_byte v[10:11], v0, off
	s_mov_b64 s[10:11], -1
.LBB127_1524:
	s_branch .LBB127_1363
.LBB127_1525:
	v_mov_b32_e32 v0, 5
	v_cmp_lt_i16_sdwa s[10:11], s16, v0 src0_sel:BYTE_1 src1_sel:DWORD
	s_mov_b64 s[8:9], -1
	s_and_b64 vcc, exec, s[10:11]
	s_cbranch_vccnz .LBB127_1607
; %bb.1526:
	v_mov_b32_e32 v0, 8
	v_cmp_lt_i16_sdwa s[10:11], s16, v0 src0_sel:BYTE_1 src1_sel:DWORD
	s_and_b64 vcc, exec, s[10:11]
	s_cbranch_vccnz .LBB127_1567
; %bb.1527:
	v_mov_b32_e32 v0, 9
	v_cmp_lt_i16_sdwa s[10:11], s16, v0 src0_sel:BYTE_1 src1_sel:DWORD
	s_and_b64 vcc, exec, s[10:11]
	s_cbranch_vccnz .LBB127_1554
; %bb.1528:
	v_cmp_gt_i16_sdwa s[10:11], s16, v0 src0_sel:BYTE_1 src1_sel:DWORD
	s_and_b64 vcc, exec, s[10:11]
	s_cbranch_vccz .LBB127_1541
; %bb.1529:
	v_mov_b32_e32 v0, 0x80
	v_cmp_lt_i16_sdwa s[8:9], s16, v0 src0_sel:BYTE_0 src1_sel:DWORD
	s_and_b64 vcc, exec, s[8:9]
	s_cbranch_vccnz .LBB127_1533
; %bb.1530:
	v_cmp_eq_u16_sdwa s[8:9], s16, v0 src0_sel:BYTE_0 src1_sel:DWORD
	s_and_b64 vcc, exec, s[8:9]
	s_cbranch_vccz .LBB127_1534
; %bb.1531:
	s_mov_b64 s[8:9], 0
	s_mov_b32 s11, 0x7ff80000
	s_brev_b32 s10, 4
	s_branch .LBB127_1535
.LBB127_1532:
	s_or_b64 s[0:1], s[6:7], exec
	s_trap 2
	s_cbranch_execz .LBB127_1514
	s_branch .LBB127_1524
.LBB127_1533:
	s_mov_b64 s[12:13], -1
	s_mov_b64 s[8:9], 0
                                        ; implicit-def: $sgpr10_sgpr11
	s_branch .LBB127_1536
.LBB127_1534:
	s_mov_b64 s[8:9], -1
                                        ; implicit-def: $sgpr10_sgpr11
.LBB127_1535:
	s_mov_b64 s[12:13], 0
.LBB127_1536:
	s_and_b64 vcc, exec, s[12:13]
	s_cbranch_vccz .LBB127_1538
; %bb.1537:
	v_mov_b32_e32 v0, 0
	v_cmp_ne_u16_sdwa s[8:9], s16, v0 src0_sel:BYTE_0 src1_sel:DWORD
	s_mov_b64 s[10:11], 0
.LBB127_1538:
	s_andn2_b64 vcc, exec, s[8:9]
	v_pk_mov_b32 v[0:1], s[10:11], s[10:11] op_sel:[0,1]
	s_cbranch_vccnz .LBB127_1540
; %bb.1539:
	s_and_b32 s9, s16, 3
	s_flbit_i32_b32 s11, s9
	s_min_u32 s11, s11, 32
	v_lshrrev_b16_e64 v0, 2, s16
	s_sub_i32 s12, s11, 29
	v_readfirstlane_b32 s10, v0
	s_lshl_b32 s12, s16, s12
	s_lshl_b32 s8, s16, 24
	s_and_b32 s10, s10, 31
	s_sub_i32 s11, 30, s11
	s_and_b32 s12, s12, 3
	s_cmp_eq_u32 s10, 0
	s_cselect_b32 s10, s11, s10
	s_cselect_b32 s9, s12, s9
	s_lshl_b32 s10, s10, 23
	s_and_b32 s8, s8, 0x80000000
	s_add_i32 s10, s10, 0x37800000
	s_lshl_b32 s9, s9, 21
	s_or_b32 s8, s8, s10
	s_or_b32 s8, s8, s9
	v_cvt_f64_f32_e32 v[0:1], s8
.LBB127_1540:
	v_mov_b32_e32 v2, 0
	v_mov_b32_e32 v3, v2
	s_mov_b64 s[8:9], 0
	global_store_dwordx4 v[10:11], v[0:3], off
.LBB127_1541:
	s_and_b64 vcc, exec, s[8:9]
	s_cbranch_vccz .LBB127_1553
; %bb.1542:
	v_mov_b32_e32 v0, 0x80
	v_cmp_lt_i16_sdwa s[8:9], s16, v0 src0_sel:BYTE_0 src1_sel:DWORD
	s_and_b64 vcc, exec, s[8:9]
	s_cbranch_vccnz .LBB127_1545
; %bb.1543:
	v_cmp_eq_u16_sdwa s[8:9], s16, v0 src0_sel:BYTE_0 src1_sel:DWORD
	s_and_b64 vcc, exec, s[8:9]
	s_cbranch_vccz .LBB127_1546
; %bb.1544:
	s_mov_b64 s[8:9], 0
	s_mov_b32 s12, 0x7f800001
	s_branch .LBB127_1547
.LBB127_1545:
	s_mov_b64 s[10:11], -1
	s_mov_b64 s[8:9], 0
                                        ; implicit-def: $sgpr12
	s_branch .LBB127_1548
.LBB127_1546:
	s_mov_b64 s[8:9], -1
                                        ; implicit-def: $sgpr12
.LBB127_1547:
	s_mov_b64 s[10:11], 0
.LBB127_1548:
	s_and_b64 vcc, exec, s[10:11]
	v_mov_b32_e32 v0, s12
	s_cbranch_vccz .LBB127_1550
; %bb.1549:
	s_mov_b32 s8, 0xffff
	v_mov_b32_e32 v0, s16
	v_mov_b32_e32 v1, 0
	v_and_b32_sdwa v0, s8, v0 dst_sel:DWORD dst_unused:UNUSED_PAD src0_sel:DWORD src1_sel:BYTE_0
	v_cmp_ne_u16_sdwa s[8:9], s16, v1 src0_sel:BYTE_0 src1_sel:DWORD
.LBB127_1550:
	s_andn2_b64 vcc, exec, s[8:9]
	s_cbranch_vccnz .LBB127_1552
; %bb.1551:
	s_and_b32 s9, s16, 3
	s_flbit_i32_b32 s11, s9
	s_min_u32 s11, s11, 32
	v_lshrrev_b16_e64 v0, 2, s16
	s_sub_i32 s12, s11, 29
	v_readfirstlane_b32 s10, v0
	s_lshl_b32 s12, s16, s12
	s_lshl_b32 s8, s16, 24
	s_and_b32 s10, s10, 31
	s_sub_i32 s11, 30, s11
	s_and_b32 s12, s12, 3
	s_cmp_eq_u32 s10, 0
	s_cselect_b32 s10, s11, s10
	s_cselect_b32 s9, s12, s9
	s_lshl_b32 s10, s10, 23
	s_and_b32 s8, s8, 0x80000000
	s_add_i32 s10, s10, 0x37800000
	s_lshl_b32 s9, s9, 21
	s_or_b32 s8, s8, s10
	s_or_b32 s8, s8, s9
	v_mov_b32_e32 v0, s8
.LBB127_1552:
	v_mov_b32_e32 v1, 0
	global_store_dwordx2 v[10:11], v[0:1], off
.LBB127_1553:
	s_mov_b64 s[8:9], 0
.LBB127_1554:
	s_andn2_b64 vcc, exec, s[8:9]
	s_cbranch_vccnz .LBB127_1566
; %bb.1555:
	v_mov_b32_e32 v0, 0x80
	v_cmp_lt_i16_sdwa s[8:9], s16, v0 src0_sel:BYTE_0 src1_sel:DWORD
	s_and_b64 vcc, exec, s[8:9]
	s_cbranch_vccnz .LBB127_1558
; %bb.1556:
	v_cmp_eq_u16_sdwa s[8:9], s16, v0 src0_sel:BYTE_0 src1_sel:DWORD
	s_and_b64 vcc, exec, s[8:9]
	s_cbranch_vccz .LBB127_1559
; %bb.1557:
	s_mov_b64 s[8:9], 0
	s_movk_i32 s12, 0x7e00
	s_branch .LBB127_1560
.LBB127_1558:
	s_mov_b64 s[10:11], -1
	s_mov_b64 s[8:9], 0
                                        ; implicit-def: $sgpr12
	s_branch .LBB127_1561
.LBB127_1559:
	s_mov_b64 s[8:9], -1
                                        ; implicit-def: $sgpr12
.LBB127_1560:
	s_mov_b64 s[10:11], 0
.LBB127_1561:
	s_and_b64 vcc, exec, s[10:11]
	v_mov_b32_e32 v0, s12
	s_cbranch_vccz .LBB127_1563
; %bb.1562:
	s_mov_b32 s8, 0xffff
	v_mov_b32_e32 v0, s16
	v_mov_b32_e32 v1, 0
	v_and_b32_sdwa v0, s8, v0 dst_sel:DWORD dst_unused:UNUSED_PAD src0_sel:DWORD src1_sel:BYTE_0
	v_cmp_ne_u16_sdwa s[8:9], s16, v1 src0_sel:BYTE_0 src1_sel:DWORD
.LBB127_1563:
	s_andn2_b64 vcc, exec, s[8:9]
	s_cbranch_vccnz .LBB127_1565
; %bb.1564:
	s_and_b32 s9, s16, 3
	s_flbit_i32_b32 s11, s9
	s_min_u32 s11, s11, 32
	v_lshrrev_b16_e64 v0, 2, s16
	s_sub_i32 s12, s11, 29
	v_readfirstlane_b32 s10, v0
	s_lshl_b32 s12, s16, s12
	s_lshl_b32 s8, s16, 24
	s_and_b32 s10, s10, 31
	s_sub_i32 s11, 30, s11
	s_and_b32 s12, s12, 3
	s_cmp_eq_u32 s10, 0
	s_cselect_b32 s10, s11, s10
	s_cselect_b32 s9, s12, s9
	s_lshl_b32 s10, s10, 23
	s_and_b32 s8, s8, 0x80000000
	s_add_i32 s10, s10, 0x37800000
	s_lshl_b32 s9, s9, 21
	s_or_b32 s8, s8, s10
	s_or_b32 s8, s8, s9
	v_cvt_f16_f32_e32 v0, s8
.LBB127_1565:
	global_store_dword v[10:11], v0, off
.LBB127_1566:
	s_mov_b64 s[8:9], 0
.LBB127_1567:
	s_andn2_b64 vcc, exec, s[8:9]
	s_cbranch_vccnz .LBB127_1606
; %bb.1568:
	v_mov_b32_e32 v0, 6
	v_cmp_lt_i16_sdwa s[10:11], s16, v0 src0_sel:BYTE_1 src1_sel:DWORD
	s_mov_b64 s[8:9], -1
	s_and_b64 vcc, exec, s[10:11]
	s_cbranch_vccnz .LBB127_1594
; %bb.1569:
	v_cmp_gt_i16_sdwa s[10:11], s16, v0 src0_sel:BYTE_1 src1_sel:DWORD
	s_and_b64 vcc, exec, s[10:11]
	s_cbranch_vccz .LBB127_1581
; %bb.1570:
	v_mov_b32_e32 v0, 0x80
	v_cmp_lt_i16_sdwa s[8:9], s16, v0 src0_sel:BYTE_0 src1_sel:DWORD
	s_and_b64 vcc, exec, s[8:9]
	s_cbranch_vccnz .LBB127_1573
; %bb.1571:
	v_cmp_eq_u16_sdwa s[8:9], s16, v0 src0_sel:BYTE_0 src1_sel:DWORD
	s_and_b64 vcc, exec, s[8:9]
	s_cbranch_vccz .LBB127_1574
; %bb.1572:
	s_mov_b64 s[8:9], 0
	s_mov_b32 s11, 0x7ff80000
	s_brev_b32 s10, 4
	s_branch .LBB127_1575
.LBB127_1573:
	s_mov_b64 s[12:13], -1
	s_mov_b64 s[8:9], 0
                                        ; implicit-def: $sgpr10_sgpr11
	s_branch .LBB127_1576
.LBB127_1574:
	s_mov_b64 s[8:9], -1
                                        ; implicit-def: $sgpr10_sgpr11
.LBB127_1575:
	s_mov_b64 s[12:13], 0
.LBB127_1576:
	s_and_b64 vcc, exec, s[12:13]
	s_cbranch_vccz .LBB127_1578
; %bb.1577:
	v_mov_b32_e32 v0, 0
	v_cmp_ne_u16_sdwa s[8:9], s16, v0 src0_sel:BYTE_0 src1_sel:DWORD
	s_mov_b64 s[10:11], 0
.LBB127_1578:
	s_andn2_b64 vcc, exec, s[8:9]
	v_pk_mov_b32 v[0:1], s[10:11], s[10:11] op_sel:[0,1]
	s_cbranch_vccnz .LBB127_1580
; %bb.1579:
	s_and_b32 s9, s16, 3
	s_flbit_i32_b32 s11, s9
	s_min_u32 s11, s11, 32
	v_lshrrev_b16_e64 v0, 2, s16
	s_sub_i32 s12, s11, 29
	v_readfirstlane_b32 s10, v0
	s_lshl_b32 s12, s16, s12
	s_lshl_b32 s8, s16, 24
	s_and_b32 s10, s10, 31
	s_sub_i32 s11, 30, s11
	s_and_b32 s12, s12, 3
	s_cmp_eq_u32 s10, 0
	s_cselect_b32 s10, s11, s10
	s_cselect_b32 s9, s12, s9
	s_lshl_b32 s10, s10, 23
	s_and_b32 s8, s8, 0x80000000
	s_add_i32 s10, s10, 0x37800000
	s_lshl_b32 s9, s9, 21
	s_or_b32 s8, s8, s10
	s_or_b32 s8, s8, s9
	v_cvt_f64_f32_e32 v[0:1], s8
.LBB127_1580:
	global_store_dwordx2 v[10:11], v[0:1], off
	s_mov_b64 s[8:9], 0
.LBB127_1581:
	s_and_b64 vcc, exec, s[8:9]
	s_cbranch_vccz .LBB127_1593
; %bb.1582:
	v_mov_b32_e32 v0, 0x80
	v_cmp_lt_i16_sdwa s[8:9], s16, v0 src0_sel:BYTE_0 src1_sel:DWORD
	s_and_b64 vcc, exec, s[8:9]
	s_cbranch_vccnz .LBB127_1585
; %bb.1583:
	v_cmp_eq_u16_sdwa s[8:9], s16, v0 src0_sel:BYTE_0 src1_sel:DWORD
	s_and_b64 vcc, exec, s[8:9]
	s_cbranch_vccz .LBB127_1586
; %bb.1584:
	s_mov_b64 s[8:9], 0
	s_mov_b32 s12, 0x7f800001
	s_branch .LBB127_1587
.LBB127_1585:
	s_mov_b64 s[10:11], -1
	s_mov_b64 s[8:9], 0
                                        ; implicit-def: $sgpr12
	s_branch .LBB127_1588
.LBB127_1586:
	s_mov_b64 s[8:9], -1
                                        ; implicit-def: $sgpr12
.LBB127_1587:
	s_mov_b64 s[10:11], 0
.LBB127_1588:
	s_and_b64 vcc, exec, s[10:11]
	v_mov_b32_e32 v0, s12
	s_cbranch_vccz .LBB127_1590
; %bb.1589:
	s_mov_b32 s8, 0xffff
	v_mov_b32_e32 v0, s16
	v_mov_b32_e32 v1, 0
	v_and_b32_sdwa v0, s8, v0 dst_sel:DWORD dst_unused:UNUSED_PAD src0_sel:DWORD src1_sel:BYTE_0
	v_cmp_ne_u16_sdwa s[8:9], s16, v1 src0_sel:BYTE_0 src1_sel:DWORD
.LBB127_1590:
	s_andn2_b64 vcc, exec, s[8:9]
	s_cbranch_vccnz .LBB127_1592
; %bb.1591:
	s_and_b32 s9, s16, 3
	s_flbit_i32_b32 s11, s9
	s_min_u32 s11, s11, 32
	v_lshrrev_b16_e64 v0, 2, s16
	s_sub_i32 s12, s11, 29
	v_readfirstlane_b32 s10, v0
	s_lshl_b32 s12, s16, s12
	s_lshl_b32 s8, s16, 24
	s_and_b32 s10, s10, 31
	s_sub_i32 s11, 30, s11
	s_and_b32 s12, s12, 3
	s_cmp_eq_u32 s10, 0
	s_cselect_b32 s10, s11, s10
	s_cselect_b32 s9, s12, s9
	s_lshl_b32 s10, s10, 23
	s_and_b32 s8, s8, 0x80000000
	s_add_i32 s10, s10, 0x37800000
	s_lshl_b32 s9, s9, 21
	s_or_b32 s8, s8, s10
	s_or_b32 s8, s8, s9
	v_mov_b32_e32 v0, s8
.LBB127_1592:
	global_store_dword v[10:11], v0, off
.LBB127_1593:
	s_mov_b64 s[8:9], 0
.LBB127_1594:
	s_andn2_b64 vcc, exec, s[8:9]
	s_cbranch_vccnz .LBB127_1606
; %bb.1595:
	v_mov_b32_e32 v0, 0xff
	v_and_b32_e32 v0, s16, v0
	s_movk_i32 s8, 0x80
	v_cmp_gt_i16_e32 vcc, s8, v0
	s_cbranch_vccnz .LBB127_1598
; %bb.1596:
	v_cmp_eq_u16_e32 vcc, s8, v0
	s_cbranch_vccz .LBB127_1599
; %bb.1597:
	s_mov_b64 s[8:9], 0
	s_movk_i32 s12, 0x7e00
	s_branch .LBB127_1600
.LBB127_1598:
	s_mov_b64 s[10:11], -1
	s_mov_b64 s[8:9], 0
                                        ; implicit-def: $sgpr12
	s_branch .LBB127_1601
.LBB127_1599:
	s_mov_b64 s[8:9], -1
                                        ; implicit-def: $sgpr12
.LBB127_1600:
	s_mov_b64 s[10:11], 0
.LBB127_1601:
	s_and_b64 vcc, exec, s[10:11]
	v_mov_b32_e32 v1, s12
	s_cbranch_vccz .LBB127_1603
; %bb.1602:
	v_cmp_ne_u16_e64 s[8:9], 0, v0
	v_mov_b32_e32 v1, v0
.LBB127_1603:
	s_andn2_b64 vcc, exec, s[8:9]
	s_cbranch_vccnz .LBB127_1605
; %bb.1604:
	s_and_b32 s9, s16, 3
	s_flbit_i32_b32 s11, s9
	s_min_u32 s11, s11, 32
	v_lshrrev_b16_e64 v0, 2, s16
	s_sub_i32 s12, s11, 29
	v_readfirstlane_b32 s10, v0
	s_lshl_b32 s12, s16, s12
	s_lshl_b32 s8, s16, 24
	s_and_b32 s10, s10, 31
	s_sub_i32 s11, 30, s11
	s_and_b32 s12, s12, 3
	s_cmp_eq_u32 s10, 0
	s_cselect_b32 s10, s11, s10
	s_cselect_b32 s9, s12, s9
	s_lshl_b32 s10, s10, 23
	s_and_b32 s8, s8, 0x80000000
	s_add_i32 s10, s10, 0x37800000
	s_lshl_b32 s9, s9, 21
	s_or_b32 s8, s8, s10
	s_or_b32 s8, s8, s9
	v_cvt_f16_f32_e32 v1, s8
.LBB127_1605:
	global_store_short v[10:11], v1, off
.LBB127_1606:
	s_mov_b64 s[8:9], 0
.LBB127_1607:
	s_andn2_b64 vcc, exec, s[8:9]
	s_cbranch_vccnz .LBB127_1658
; %bb.1608:
	v_mov_b32_e32 v0, 2
	v_cmp_lt_i16_sdwa s[10:11], s16, v0 src0_sel:BYTE_1 src1_sel:DWORD
	s_mov_b64 s[8:9], -1
	s_and_b64 vcc, exec, s[10:11]
	s_cbranch_vccnz .LBB127_1639
; %bb.1609:
	v_mov_b32_e32 v0, 3
	v_cmp_lt_i16_sdwa s[10:11], s16, v0 src0_sel:BYTE_1 src1_sel:DWORD
	s_and_b64 vcc, exec, s[10:11]
	s_cbranch_vccnz .LBB127_1629
; %bb.1610:
	v_cmp_gt_i16_sdwa s[10:11], s16, v0 src0_sel:BYTE_1 src1_sel:DWORD
	s_and_b64 vcc, exec, s[10:11]
	s_cbranch_vccz .LBB127_1619
; %bb.1611:
	v_mov_b32_e32 v0, 0x80
	v_cmp_lt_i16_sdwa s[8:9], s16, v0 src0_sel:BYTE_0 src1_sel:DWORD
	s_and_b64 vcc, exec, s[8:9]
	s_cbranch_vccnz .LBB127_1613
; %bb.1612:
	v_cmp_ne_u16_sdwa s[8:9], s16, v0 src0_sel:BYTE_0 src1_sel:DWORD
	s_mov_b64 s[12:13], 0
	s_mov_b64 s[10:11], 0
	s_branch .LBB127_1614
.LBB127_1613:
	s_mov_b64 s[12:13], -1
	s_mov_b64 s[8:9], 0
                                        ; implicit-def: $sgpr10_sgpr11
.LBB127_1614:
	s_andn2_b64 vcc, exec, s[12:13]
	s_cbranch_vccnz .LBB127_1616
; %bb.1615:
	v_mov_b32_e32 v0, 0
	v_cmp_ne_u16_sdwa s[8:9], s16, v0 src0_sel:BYTE_0 src1_sel:DWORD
	s_mov_b64 s[10:11], 0
.LBB127_1616:
	s_andn2_b64 vcc, exec, s[8:9]
	v_pk_mov_b32 v[0:1], s[10:11], s[10:11] op_sel:[0,1]
	s_cbranch_vccnz .LBB127_1618
; %bb.1617:
	s_and_b32 s9, s16, 3
	s_flbit_i32_b32 s11, s9
	s_min_u32 s11, s11, 32
	v_lshrrev_b16_e64 v0, 2, s16
	s_sub_i32 s12, s11, 29
	v_readfirstlane_b32 s10, v0
	s_lshl_b32 s12, s16, s12
	s_lshl_b32 s8, s16, 24
	s_and_b32 s10, s10, 31
	s_sub_i32 s11, 30, s11
	s_and_b32 s12, s12, 3
	s_cmp_eq_u32 s10, 0
	s_cselect_b32 s10, s11, s10
	s_cselect_b32 s9, s12, s9
	s_lshl_b32 s10, s10, 23
	s_and_b32 s8, s8, 0x80000000
	s_add_i32 s10, s10, 0x37800000
	s_lshl_b32 s9, s9, 21
	s_or_b32 s8, s8, s10
	s_or_b32 s8, s8, s9
	v_trunc_f32_e32 v0, s8
	s_mov_b32 s8, 0x2f800000
	v_mul_f32_e64 v1, |v0|, s8
	v_floor_f32_e32 v1, v1
	s_mov_b32 s8, 0xcf800000
	v_fma_f32 v2, v1, s8, |v0|
	v_cvt_u32_f32_e32 v2, v2
	v_cvt_u32_f32_e32 v1, v1
	v_ashrrev_i32_e32 v3, 31, v0
	v_xor_b32_e32 v0, v2, v3
	v_xor_b32_e32 v1, v1, v3
	v_sub_co_u32_e32 v0, vcc, v0, v3
	v_subb_co_u32_e32 v1, vcc, v1, v3, vcc
.LBB127_1618:
	global_store_dwordx2 v[10:11], v[0:1], off
	s_mov_b64 s[8:9], 0
.LBB127_1619:
	s_and_b64 vcc, exec, s[8:9]
	s_cbranch_vccz .LBB127_1628
; %bb.1620:
	v_mov_b32_e32 v0, 0x80
	v_cmp_lt_i16_sdwa s[8:9], s16, v0 src0_sel:BYTE_0 src1_sel:DWORD
	s_and_b64 vcc, exec, s[8:9]
	s_cbranch_vccnz .LBB127_1622
; %bb.1621:
	v_cmp_ne_u16_sdwa s[8:9], s16, v0 src0_sel:BYTE_0 src1_sel:DWORD
	s_mov_b64 s[10:11], 0
	s_mov_b32 s12, 0
	s_branch .LBB127_1623
.LBB127_1622:
	s_mov_b64 s[10:11], -1
	s_mov_b64 s[8:9], 0
                                        ; implicit-def: $sgpr12
.LBB127_1623:
	s_andn2_b64 vcc, exec, s[10:11]
	s_cbranch_vccnz .LBB127_1625
; %bb.1624:
	v_mov_b32_e32 v0, 0
	s_mov_b32 s12, 0
	v_cmp_ne_u16_sdwa s[8:9], s16, v0 src0_sel:BYTE_0 src1_sel:DWORD
.LBB127_1625:
	s_andn2_b64 vcc, exec, s[8:9]
	v_mov_b32_e32 v0, s12
	s_cbranch_vccnz .LBB127_1627
; %bb.1626:
	s_and_b32 s9, s16, 3
	s_flbit_i32_b32 s11, s9
	s_min_u32 s11, s11, 32
	v_lshrrev_b16_e64 v0, 2, s16
	s_sub_i32 s12, s11, 29
	v_readfirstlane_b32 s10, v0
	s_lshl_b32 s12, s16, s12
	s_lshl_b32 s8, s16, 24
	s_and_b32 s10, s10, 31
	s_sub_i32 s11, 30, s11
	s_and_b32 s12, s12, 3
	s_cmp_eq_u32 s10, 0
	s_cselect_b32 s10, s11, s10
	s_cselect_b32 s9, s12, s9
	s_lshl_b32 s10, s10, 23
	s_and_b32 s8, s8, 0x80000000
	s_add_i32 s10, s10, 0x37800000
	s_lshl_b32 s9, s9, 21
	s_or_b32 s8, s8, s10
	s_or_b32 s8, s8, s9
	v_cvt_i32_f32_e32 v0, s8
.LBB127_1627:
	global_store_dword v[10:11], v0, off
.LBB127_1628:
	s_mov_b64 s[8:9], 0
.LBB127_1629:
	s_andn2_b64 vcc, exec, s[8:9]
	s_cbranch_vccnz .LBB127_1638
; %bb.1630:
	v_mov_b32_e32 v0, 0x80
	v_cmp_lt_i16_sdwa s[8:9], s16, v0 src0_sel:BYTE_0 src1_sel:DWORD
	s_and_b64 vcc, exec, s[8:9]
	s_cbranch_vccnz .LBB127_1632
; %bb.1631:
	v_cmp_ne_u16_sdwa s[8:9], s16, v0 src0_sel:BYTE_0 src1_sel:DWORD
	s_mov_b64 s[10:11], 0
	s_mov_b32 s12, 0
	s_branch .LBB127_1633
.LBB127_1632:
	s_mov_b64 s[10:11], -1
	s_mov_b64 s[8:9], 0
                                        ; implicit-def: $sgpr12
.LBB127_1633:
	s_andn2_b64 vcc, exec, s[10:11]
	s_cbranch_vccnz .LBB127_1635
; %bb.1634:
	v_mov_b32_e32 v0, 0
	s_mov_b32 s12, 0
	v_cmp_ne_u16_sdwa s[8:9], s16, v0 src0_sel:BYTE_0 src1_sel:DWORD
.LBB127_1635:
	s_andn2_b64 vcc, exec, s[8:9]
	v_mov_b32_e32 v0, s12
	s_cbranch_vccnz .LBB127_1637
; %bb.1636:
	s_and_b32 s9, s16, 3
	s_flbit_i32_b32 s11, s9
	s_min_u32 s11, s11, 32
	v_lshrrev_b16_e64 v0, 2, s16
	s_sub_i32 s12, s11, 29
	v_readfirstlane_b32 s10, v0
	s_lshl_b32 s12, s16, s12
	s_lshl_b32 s8, s16, 24
	s_and_b32 s10, s10, 31
	s_sub_i32 s11, 30, s11
	s_and_b32 s12, s12, 3
	s_cmp_eq_u32 s10, 0
	s_cselect_b32 s10, s11, s10
	s_cselect_b32 s9, s12, s9
	s_lshl_b32 s10, s10, 23
	s_and_b32 s8, s8, 0x80000000
	s_add_i32 s10, s10, 0x37800000
	s_lshl_b32 s9, s9, 21
	s_or_b32 s8, s8, s10
	s_or_b32 s8, s8, s9
	v_cvt_i32_f32_e32 v0, s8
.LBB127_1637:
	global_store_short v[10:11], v0, off
.LBB127_1638:
	s_mov_b64 s[8:9], 0
.LBB127_1639:
	s_andn2_b64 vcc, exec, s[8:9]
	s_cbranch_vccnz .LBB127_1658
; %bb.1640:
	v_mov_b32_e32 v0, 0
	v_cmp_gt_i16_sdwa s[10:11], s16, v0 src0_sel:BYTE_1 src1_sel:DWORD
	s_mov_b64 s[8:9], -1
	s_and_b64 vcc, exec, s[10:11]
	s_cbranch_vccz .LBB127_1649
; %bb.1641:
	v_mov_b32_e32 v0, 0x80
	v_cmp_lt_i16_sdwa s[8:9], s16, v0 src0_sel:BYTE_0 src1_sel:DWORD
	s_and_b64 vcc, exec, s[8:9]
	s_cbranch_vccnz .LBB127_1643
; %bb.1642:
	v_cmp_ne_u16_sdwa s[8:9], s16, v0 src0_sel:BYTE_0 src1_sel:DWORD
	s_mov_b64 s[10:11], 0
	s_mov_b32 s12, 0
	s_branch .LBB127_1644
.LBB127_1643:
	s_mov_b64 s[10:11], -1
	s_mov_b64 s[8:9], 0
                                        ; implicit-def: $sgpr12
.LBB127_1644:
	s_andn2_b64 vcc, exec, s[10:11]
	s_cbranch_vccnz .LBB127_1646
; %bb.1645:
	v_mov_b32_e32 v0, 0
	s_mov_b32 s12, 0
	v_cmp_ne_u16_sdwa s[8:9], s16, v0 src0_sel:BYTE_0 src1_sel:DWORD
.LBB127_1646:
	s_andn2_b64 vcc, exec, s[8:9]
	v_mov_b32_e32 v0, s12
	s_cbranch_vccnz .LBB127_1648
; %bb.1647:
	s_and_b32 s9, s16, 3
	s_flbit_i32_b32 s11, s9
	s_min_u32 s11, s11, 32
	v_lshrrev_b16_e64 v0, 2, s16
	s_sub_i32 s12, s11, 29
	v_readfirstlane_b32 s10, v0
	s_lshl_b32 s12, s16, s12
	s_lshl_b32 s8, s16, 24
	s_and_b32 s10, s10, 31
	s_sub_i32 s11, 30, s11
	s_and_b32 s12, s12, 3
	s_cmp_eq_u32 s10, 0
	s_cselect_b32 s10, s11, s10
	s_cselect_b32 s9, s12, s9
	s_lshl_b32 s10, s10, 23
	s_and_b32 s8, s8, 0x80000000
	s_add_i32 s10, s10, 0x37800000
	s_lshl_b32 s9, s9, 21
	s_or_b32 s8, s8, s10
	s_or_b32 s8, s8, s9
	v_cvt_i32_f32_e32 v0, s8
.LBB127_1648:
	global_store_byte v[10:11], v0, off
	s_mov_b64 s[8:9], 0
.LBB127_1649:
	s_and_b64 vcc, exec, s[8:9]
	s_cbranch_vccz .LBB127_1658
; %bb.1650:
	v_mov_b32_e32 v0, 0x80
	v_cmp_lt_i16_sdwa s[8:9], s16, v0 src0_sel:BYTE_0 src1_sel:DWORD
	s_and_b64 vcc, exec, s[8:9]
	s_cbranch_vccnz .LBB127_1652
; %bb.1651:
	v_cmp_ne_u16_sdwa s[8:9], s16, v0 src0_sel:BYTE_0 src1_sel:DWORD
	s_mov_b64 s[10:11], 0
	s_mov_b32 s12, 0
	s_branch .LBB127_1653
.LBB127_1652:
	s_mov_b64 s[10:11], -1
	s_mov_b64 s[8:9], 0
                                        ; implicit-def: $sgpr12
.LBB127_1653:
	s_andn2_b64 vcc, exec, s[10:11]
	s_cbranch_vccnz .LBB127_1655
; %bb.1654:
	v_mov_b32_e32 v0, 0
	s_mov_b32 s12, 0
	v_cmp_ne_u16_sdwa s[8:9], s16, v0 src0_sel:BYTE_0 src1_sel:DWORD
.LBB127_1655:
	s_andn2_b64 vcc, exec, s[8:9]
	v_mov_b32_e32 v0, s12
	s_cbranch_vccnz .LBB127_1657
; %bb.1656:
	s_and_b32 s9, s16, 3
	s_flbit_i32_b32 s11, s9
	s_min_u32 s11, s11, 32
	v_lshrrev_b16_e64 v0, 2, s16
	s_sub_i32 s12, s11, 29
	v_readfirstlane_b32 s10, v0
	s_lshl_b32 s12, s16, s12
	s_lshl_b32 s8, s16, 24
	s_and_b32 s10, s10, 31
	s_sub_i32 s11, 30, s11
	s_and_b32 s12, s12, 3
	s_cmp_eq_u32 s10, 0
	s_cselect_b32 s10, s11, s10
	s_cselect_b32 s9, s12, s9
	s_lshl_b32 s10, s10, 23
	s_and_b32 s8, s8, 0x80000000
	s_add_i32 s10, s10, 0x37800000
	s_lshl_b32 s9, s9, 21
	s_or_b32 s8, s8, s10
	s_or_b32 s8, s8, s9
	v_trunc_f32_e32 v0, s8
	s_mov_b32 s8, 0x2f800000
	v_mul_f32_e64 v1, |v0|, s8
	v_floor_f32_e32 v1, v1
	s_mov_b32 s8, 0xcf800000
	v_fma_f32 v1, v1, s8, |v0|
	v_cvt_u32_f32_e32 v1, v1
	v_ashrrev_i32_e32 v0, 31, v0
	v_xor_b32_e32 v1, v1, v0
	v_sub_u32_e32 v0, v1, v0
.LBB127_1657:
	global_store_byte v[10:11], v0, off
.LBB127_1658:
.LBB127_1659:
	v_mov_b32_e32 v0, s3
	v_add_co_u32_e32 v8, vcc, s2, v8
	v_addc_co_u32_e32 v9, vcc, 0, v0, vcc
	v_mov_b32_e32 v0, 11
	v_cmp_lt_i16_sdwa s[8:9], s16, v0 src0_sel:BYTE_1 src1_sel:DWORD
	s_and_b64 vcc, exec, s[8:9]
	s_cbranch_vccnz .LBB127_1668
; %bb.1660:
	v_mov_b32_e32 v0, 25
	v_cmp_gt_i16_sdwa s[8:9], s16, v0 src0_sel:BYTE_1 src1_sel:DWORD
	s_mov_b64 s[14:15], -1
	s_mov_b64 s[10:11], 0
	s_and_b64 vcc, exec, s[8:9]
	s_mov_b64 s[12:13], 0
	s_mov_b64 s[8:9], 0
	s_cbranch_vccz .LBB127_1883
; %bb.1661:
	v_mov_b32_e32 v0, 28
	v_cmp_gt_i16_sdwa s[8:9], s16, v0 src0_sel:BYTE_1 src1_sel:DWORD
	s_and_b64 vcc, exec, s[8:9]
	s_cbranch_vccz .LBB127_1676
; %bb.1662:
	v_mov_b32_e32 v0, 43
	v_cmp_gt_i16_sdwa s[8:9], s16, v0 src0_sel:BYTE_1 src1_sel:DWORD
	s_and_b64 vcc, exec, s[8:9]
	;; [unrolled: 5-line block ×3, first 2 shown]
	s_cbranch_vccz .LBB127_1678
; %bb.1664:
	v_mov_b32_e32 v0, 46
	v_cmp_eq_u16_sdwa s[12:13], s16, v0 src0_sel:BYTE_1 src1_sel:DWORD
	s_mov_b64 s[8:9], -1
	s_mov_b64 s[14:15], 0
	s_and_b64 vcc, exec, s[12:13]
	s_mov_b64 s[12:13], 0
	s_cbranch_vccz .LBB127_1813
; %bb.1665:
	v_mov_b32_e32 v0, 0x80
	v_cmp_lt_i16_sdwa s[8:9], s16, v0 src0_sel:BYTE_0 src1_sel:DWORD
	s_and_b64 vcc, exec, s[8:9]
	s_cbranch_vccnz .LBB127_1680
; %bb.1666:
	v_cmp_eq_u16_sdwa s[8:9], s16, v0 src0_sel:BYTE_0 src1_sel:DWORD
	s_and_b64 vcc, exec, s[8:9]
	s_cbranch_vccz .LBB127_1806
; %bb.1667:
	s_mov_b64 s[8:9], 0
	s_mov_b32 s17, 0x7f800001
	s_branch .LBB127_1808
.LBB127_1668:
	s_mov_b64 s[12:13], 0
	s_cbranch_execz .LBB127_1966
; %bb.1669:
	v_mov_b32_e32 v0, 5
	v_cmp_lt_i16_sdwa s[10:11], s16, v0 src0_sel:BYTE_1 src1_sel:DWORD
	s_mov_b64 s[8:9], -1
	s_and_b64 vcc, exec, s[10:11]
	s_cbranch_vccnz .LBB127_1754
; %bb.1670:
	v_mov_b32_e32 v0, 8
	v_cmp_lt_i16_sdwa s[10:11], s16, v0 src0_sel:BYTE_1 src1_sel:DWORD
	s_and_b64 vcc, exec, s[10:11]
	s_cbranch_vccnz .LBB127_1714
; %bb.1671:
	v_mov_b32_e32 v0, 9
	v_cmp_lt_i16_sdwa s[10:11], s16, v0 src0_sel:BYTE_1 src1_sel:DWORD
	s_and_b64 vcc, exec, s[10:11]
	s_cbranch_vccnz .LBB127_1701
; %bb.1672:
	v_cmp_gt_i16_sdwa s[10:11], s16, v0 src0_sel:BYTE_1 src1_sel:DWORD
	s_and_b64 vcc, exec, s[10:11]
	s_cbranch_vccz .LBB127_1688
; %bb.1673:
	v_mov_b32_e32 v0, 0x80
	v_cmp_lt_i16_sdwa s[8:9], s16, v0 src0_sel:BYTE_0 src1_sel:DWORD
	s_and_b64 vcc, exec, s[8:9]
	s_cbranch_vccnz .LBB127_1679
; %bb.1674:
	v_cmp_eq_u16_sdwa s[8:9], s16, v0 src0_sel:BYTE_0 src1_sel:DWORD
	s_and_b64 vcc, exec, s[8:9]
	s_cbranch_vccz .LBB127_1681
; %bb.1675:
	s_mov_b64 s[8:9], 0
	s_mov_b32 s11, 0x7ff80000
	s_brev_b32 s10, 4
	s_branch .LBB127_1682
.LBB127_1676:
	s_mov_b64 s[8:9], 0
	s_branch .LBB127_1840
.LBB127_1677:
	s_mov_b64 s[8:9], 0
	s_branch .LBB127_1827
.LBB127_1678:
	s_mov_b64 s[8:9], 0
	s_branch .LBB127_1813
.LBB127_1679:
	s_mov_b64 s[12:13], -1
	s_mov_b64 s[8:9], 0
                                        ; implicit-def: $sgpr10_sgpr11
	s_branch .LBB127_1683
.LBB127_1680:
	s_mov_b64 s[12:13], -1
	s_mov_b64 s[8:9], 0
	s_branch .LBB127_1807
.LBB127_1681:
	s_mov_b64 s[8:9], -1
                                        ; implicit-def: $sgpr10_sgpr11
.LBB127_1682:
	s_mov_b64 s[12:13], 0
.LBB127_1683:
	s_and_b64 vcc, exec, s[12:13]
	s_cbranch_vccz .LBB127_1685
; %bb.1684:
	v_mov_b32_e32 v0, 0
	v_cmp_ne_u16_sdwa s[8:9], s16, v0 src0_sel:BYTE_0 src1_sel:DWORD
	s_mov_b64 s[10:11], 0
.LBB127_1685:
	s_andn2_b64 vcc, exec, s[8:9]
	v_pk_mov_b32 v[0:1], s[10:11], s[10:11] op_sel:[0,1]
	s_cbranch_vccnz .LBB127_1687
; %bb.1686:
	s_and_b32 s9, s16, 3
	s_flbit_i32_b32 s11, s9
	s_min_u32 s11, s11, 32
	v_lshrrev_b16_e64 v0, 2, s16
	s_sub_i32 s12, s11, 29
	v_readfirstlane_b32 s10, v0
	s_lshl_b32 s12, s16, s12
	s_lshl_b32 s8, s16, 24
	s_and_b32 s10, s10, 31
	s_sub_i32 s11, 30, s11
	s_and_b32 s12, s12, 3
	s_cmp_eq_u32 s10, 0
	s_cselect_b32 s10, s11, s10
	s_cselect_b32 s9, s12, s9
	s_lshl_b32 s10, s10, 23
	s_and_b32 s8, s8, 0x80000000
	s_add_i32 s10, s10, 0x37800000
	s_lshl_b32 s9, s9, 21
	s_or_b32 s8, s8, s10
	s_or_b32 s8, s8, s9
	v_cvt_f64_f32_e32 v[0:1], s8
.LBB127_1687:
	v_mov_b32_e32 v2, 0
	v_mov_b32_e32 v3, v2
	global_store_dwordx4 v[8:9], v[0:3], off
	s_mov_b64 s[8:9], 0
.LBB127_1688:
	s_and_b64 vcc, exec, s[8:9]
	s_cbranch_vccz .LBB127_1700
; %bb.1689:
	v_mov_b32_e32 v0, 0x80
	v_cmp_lt_i16_sdwa s[8:9], s16, v0 src0_sel:BYTE_0 src1_sel:DWORD
	s_and_b64 vcc, exec, s[8:9]
	s_cbranch_vccnz .LBB127_1692
; %bb.1690:
	v_cmp_eq_u16_sdwa s[8:9], s16, v0 src0_sel:BYTE_0 src1_sel:DWORD
	s_and_b64 vcc, exec, s[8:9]
	s_cbranch_vccz .LBB127_1693
; %bb.1691:
	s_mov_b64 s[8:9], 0
	s_mov_b32 s12, 0x7f800001
	s_branch .LBB127_1694
.LBB127_1692:
	s_mov_b64 s[10:11], -1
	s_mov_b64 s[8:9], 0
                                        ; implicit-def: $sgpr12
	s_branch .LBB127_1695
.LBB127_1693:
	s_mov_b64 s[8:9], -1
                                        ; implicit-def: $sgpr12
.LBB127_1694:
	s_mov_b64 s[10:11], 0
.LBB127_1695:
	s_and_b64 vcc, exec, s[10:11]
	v_mov_b32_e32 v0, s12
	s_cbranch_vccz .LBB127_1697
; %bb.1696:
	s_mov_b32 s8, 0xffff
	v_mov_b32_e32 v0, s16
	v_mov_b32_e32 v1, 0
	v_and_b32_sdwa v0, s8, v0 dst_sel:DWORD dst_unused:UNUSED_PAD src0_sel:DWORD src1_sel:BYTE_0
	v_cmp_ne_u16_sdwa s[8:9], s16, v1 src0_sel:BYTE_0 src1_sel:DWORD
.LBB127_1697:
	s_andn2_b64 vcc, exec, s[8:9]
	s_cbranch_vccnz .LBB127_1699
; %bb.1698:
	s_and_b32 s9, s16, 3
	s_flbit_i32_b32 s11, s9
	s_min_u32 s11, s11, 32
	v_lshrrev_b16_e64 v0, 2, s16
	s_sub_i32 s12, s11, 29
	v_readfirstlane_b32 s10, v0
	s_lshl_b32 s12, s16, s12
	s_lshl_b32 s8, s16, 24
	s_and_b32 s10, s10, 31
	s_sub_i32 s11, 30, s11
	s_and_b32 s12, s12, 3
	s_cmp_eq_u32 s10, 0
	s_cselect_b32 s10, s11, s10
	s_cselect_b32 s9, s12, s9
	s_lshl_b32 s10, s10, 23
	s_and_b32 s8, s8, 0x80000000
	s_add_i32 s10, s10, 0x37800000
	s_lshl_b32 s9, s9, 21
	s_or_b32 s8, s8, s10
	s_or_b32 s8, s8, s9
	v_mov_b32_e32 v0, s8
.LBB127_1699:
	v_mov_b32_e32 v1, 0
	global_store_dwordx2 v[8:9], v[0:1], off
.LBB127_1700:
	s_mov_b64 s[8:9], 0
.LBB127_1701:
	s_andn2_b64 vcc, exec, s[8:9]
	s_cbranch_vccnz .LBB127_1713
; %bb.1702:
	v_mov_b32_e32 v0, 0x80
	v_cmp_lt_i16_sdwa s[8:9], s16, v0 src0_sel:BYTE_0 src1_sel:DWORD
	s_and_b64 vcc, exec, s[8:9]
	s_cbranch_vccnz .LBB127_1705
; %bb.1703:
	v_cmp_eq_u16_sdwa s[8:9], s16, v0 src0_sel:BYTE_0 src1_sel:DWORD
	s_and_b64 vcc, exec, s[8:9]
	s_cbranch_vccz .LBB127_1706
; %bb.1704:
	s_mov_b64 s[8:9], 0
	s_movk_i32 s12, 0x7e00
	s_branch .LBB127_1707
.LBB127_1705:
	s_mov_b64 s[10:11], -1
	s_mov_b64 s[8:9], 0
                                        ; implicit-def: $sgpr12
	s_branch .LBB127_1708
.LBB127_1706:
	s_mov_b64 s[8:9], -1
                                        ; implicit-def: $sgpr12
.LBB127_1707:
	s_mov_b64 s[10:11], 0
.LBB127_1708:
	s_and_b64 vcc, exec, s[10:11]
	v_mov_b32_e32 v0, s12
	s_cbranch_vccz .LBB127_1710
; %bb.1709:
	s_mov_b32 s8, 0xffff
	v_mov_b32_e32 v0, s16
	v_mov_b32_e32 v1, 0
	v_and_b32_sdwa v0, s8, v0 dst_sel:DWORD dst_unused:UNUSED_PAD src0_sel:DWORD src1_sel:BYTE_0
	v_cmp_ne_u16_sdwa s[8:9], s16, v1 src0_sel:BYTE_0 src1_sel:DWORD
.LBB127_1710:
	s_andn2_b64 vcc, exec, s[8:9]
	s_cbranch_vccnz .LBB127_1712
; %bb.1711:
	s_and_b32 s9, s16, 3
	s_flbit_i32_b32 s11, s9
	s_min_u32 s11, s11, 32
	v_lshrrev_b16_e64 v0, 2, s16
	s_sub_i32 s12, s11, 29
	v_readfirstlane_b32 s10, v0
	s_lshl_b32 s12, s16, s12
	s_lshl_b32 s8, s16, 24
	s_and_b32 s10, s10, 31
	s_sub_i32 s11, 30, s11
	s_and_b32 s12, s12, 3
	s_cmp_eq_u32 s10, 0
	s_cselect_b32 s10, s11, s10
	s_cselect_b32 s9, s12, s9
	s_lshl_b32 s10, s10, 23
	s_and_b32 s8, s8, 0x80000000
	s_add_i32 s10, s10, 0x37800000
	s_lshl_b32 s9, s9, 21
	s_or_b32 s8, s8, s10
	s_or_b32 s8, s8, s9
	v_cvt_f16_f32_e32 v0, s8
.LBB127_1712:
	global_store_dword v[8:9], v0, off
.LBB127_1713:
	s_mov_b64 s[8:9], 0
.LBB127_1714:
	s_andn2_b64 vcc, exec, s[8:9]
	s_cbranch_vccnz .LBB127_1753
; %bb.1715:
	v_mov_b32_e32 v0, 6
	v_cmp_lt_i16_sdwa s[10:11], s16, v0 src0_sel:BYTE_1 src1_sel:DWORD
	s_mov_b64 s[8:9], -1
	s_and_b64 vcc, exec, s[10:11]
	s_cbranch_vccnz .LBB127_1741
; %bb.1716:
	v_cmp_gt_i16_sdwa s[10:11], s16, v0 src0_sel:BYTE_1 src1_sel:DWORD
	s_and_b64 vcc, exec, s[10:11]
	s_cbranch_vccz .LBB127_1728
; %bb.1717:
	v_mov_b32_e32 v0, 0x80
	v_cmp_lt_i16_sdwa s[8:9], s16, v0 src0_sel:BYTE_0 src1_sel:DWORD
	s_and_b64 vcc, exec, s[8:9]
	s_cbranch_vccnz .LBB127_1720
; %bb.1718:
	v_cmp_eq_u16_sdwa s[8:9], s16, v0 src0_sel:BYTE_0 src1_sel:DWORD
	s_and_b64 vcc, exec, s[8:9]
	s_cbranch_vccz .LBB127_1721
; %bb.1719:
	s_mov_b64 s[8:9], 0
	s_mov_b32 s11, 0x7ff80000
	s_brev_b32 s10, 4
	s_branch .LBB127_1722
.LBB127_1720:
	s_mov_b64 s[12:13], -1
	s_mov_b64 s[8:9], 0
                                        ; implicit-def: $sgpr10_sgpr11
	s_branch .LBB127_1723
.LBB127_1721:
	s_mov_b64 s[8:9], -1
                                        ; implicit-def: $sgpr10_sgpr11
.LBB127_1722:
	s_mov_b64 s[12:13], 0
.LBB127_1723:
	s_and_b64 vcc, exec, s[12:13]
	s_cbranch_vccz .LBB127_1725
; %bb.1724:
	v_mov_b32_e32 v0, 0
	v_cmp_ne_u16_sdwa s[8:9], s16, v0 src0_sel:BYTE_0 src1_sel:DWORD
	s_mov_b64 s[10:11], 0
.LBB127_1725:
	s_andn2_b64 vcc, exec, s[8:9]
	v_pk_mov_b32 v[0:1], s[10:11], s[10:11] op_sel:[0,1]
	s_cbranch_vccnz .LBB127_1727
; %bb.1726:
	s_and_b32 s9, s16, 3
	s_flbit_i32_b32 s11, s9
	s_min_u32 s11, s11, 32
	v_lshrrev_b16_e64 v0, 2, s16
	s_sub_i32 s12, s11, 29
	v_readfirstlane_b32 s10, v0
	s_lshl_b32 s12, s16, s12
	s_lshl_b32 s8, s16, 24
	s_and_b32 s10, s10, 31
	s_sub_i32 s11, 30, s11
	s_and_b32 s12, s12, 3
	s_cmp_eq_u32 s10, 0
	s_cselect_b32 s10, s11, s10
	s_cselect_b32 s9, s12, s9
	s_lshl_b32 s10, s10, 23
	s_and_b32 s8, s8, 0x80000000
	s_add_i32 s10, s10, 0x37800000
	s_lshl_b32 s9, s9, 21
	s_or_b32 s8, s8, s10
	s_or_b32 s8, s8, s9
	v_cvt_f64_f32_e32 v[0:1], s8
.LBB127_1727:
	global_store_dwordx2 v[8:9], v[0:1], off
	s_mov_b64 s[8:9], 0
.LBB127_1728:
	s_and_b64 vcc, exec, s[8:9]
	s_cbranch_vccz .LBB127_1740
; %bb.1729:
	v_mov_b32_e32 v0, 0x80
	v_cmp_lt_i16_sdwa s[8:9], s16, v0 src0_sel:BYTE_0 src1_sel:DWORD
	s_and_b64 vcc, exec, s[8:9]
	s_cbranch_vccnz .LBB127_1732
; %bb.1730:
	v_cmp_eq_u16_sdwa s[8:9], s16, v0 src0_sel:BYTE_0 src1_sel:DWORD
	s_and_b64 vcc, exec, s[8:9]
	s_cbranch_vccz .LBB127_1733
; %bb.1731:
	s_mov_b64 s[8:9], 0
	s_mov_b32 s12, 0x7f800001
	s_branch .LBB127_1734
.LBB127_1732:
	s_mov_b64 s[10:11], -1
	s_mov_b64 s[8:9], 0
                                        ; implicit-def: $sgpr12
	s_branch .LBB127_1735
.LBB127_1733:
	s_mov_b64 s[8:9], -1
                                        ; implicit-def: $sgpr12
.LBB127_1734:
	s_mov_b64 s[10:11], 0
.LBB127_1735:
	s_and_b64 vcc, exec, s[10:11]
	v_mov_b32_e32 v0, s12
	s_cbranch_vccz .LBB127_1737
; %bb.1736:
	s_mov_b32 s8, 0xffff
	v_mov_b32_e32 v0, s16
	v_mov_b32_e32 v1, 0
	v_and_b32_sdwa v0, s8, v0 dst_sel:DWORD dst_unused:UNUSED_PAD src0_sel:DWORD src1_sel:BYTE_0
	v_cmp_ne_u16_sdwa s[8:9], s16, v1 src0_sel:BYTE_0 src1_sel:DWORD
.LBB127_1737:
	s_andn2_b64 vcc, exec, s[8:9]
	s_cbranch_vccnz .LBB127_1739
; %bb.1738:
	s_and_b32 s9, s16, 3
	s_flbit_i32_b32 s11, s9
	s_min_u32 s11, s11, 32
	v_lshrrev_b16_e64 v0, 2, s16
	s_sub_i32 s12, s11, 29
	v_readfirstlane_b32 s10, v0
	s_lshl_b32 s12, s16, s12
	s_lshl_b32 s8, s16, 24
	s_and_b32 s10, s10, 31
	s_sub_i32 s11, 30, s11
	s_and_b32 s12, s12, 3
	s_cmp_eq_u32 s10, 0
	s_cselect_b32 s10, s11, s10
	s_cselect_b32 s9, s12, s9
	s_lshl_b32 s10, s10, 23
	s_and_b32 s8, s8, 0x80000000
	s_add_i32 s10, s10, 0x37800000
	s_lshl_b32 s9, s9, 21
	s_or_b32 s8, s8, s10
	s_or_b32 s8, s8, s9
	v_mov_b32_e32 v0, s8
.LBB127_1739:
	global_store_dword v[8:9], v0, off
.LBB127_1740:
	s_mov_b64 s[8:9], 0
.LBB127_1741:
	s_andn2_b64 vcc, exec, s[8:9]
	s_cbranch_vccnz .LBB127_1753
; %bb.1742:
	v_mov_b32_e32 v0, 0xff
	v_and_b32_e32 v0, s16, v0
	s_movk_i32 s8, 0x80
	v_cmp_gt_i16_e32 vcc, s8, v0
	s_cbranch_vccnz .LBB127_1745
; %bb.1743:
	v_cmp_eq_u16_e32 vcc, s8, v0
	s_cbranch_vccz .LBB127_1746
; %bb.1744:
	s_mov_b64 s[8:9], 0
	s_movk_i32 s12, 0x7e00
	s_branch .LBB127_1747
.LBB127_1745:
	s_mov_b64 s[10:11], -1
	s_mov_b64 s[8:9], 0
                                        ; implicit-def: $sgpr12
	s_branch .LBB127_1748
.LBB127_1746:
	s_mov_b64 s[8:9], -1
                                        ; implicit-def: $sgpr12
.LBB127_1747:
	s_mov_b64 s[10:11], 0
.LBB127_1748:
	s_and_b64 vcc, exec, s[10:11]
	v_mov_b32_e32 v1, s12
	s_cbranch_vccz .LBB127_1750
; %bb.1749:
	v_cmp_ne_u16_e64 s[8:9], 0, v0
	v_mov_b32_e32 v1, v0
.LBB127_1750:
	s_andn2_b64 vcc, exec, s[8:9]
	s_cbranch_vccnz .LBB127_1752
; %bb.1751:
	s_and_b32 s9, s16, 3
	s_flbit_i32_b32 s11, s9
	s_min_u32 s11, s11, 32
	v_lshrrev_b16_e64 v0, 2, s16
	s_sub_i32 s12, s11, 29
	v_readfirstlane_b32 s10, v0
	s_lshl_b32 s12, s16, s12
	s_lshl_b32 s8, s16, 24
	s_and_b32 s10, s10, 31
	s_sub_i32 s11, 30, s11
	s_and_b32 s12, s12, 3
	s_cmp_eq_u32 s10, 0
	s_cselect_b32 s10, s11, s10
	s_cselect_b32 s9, s12, s9
	s_lshl_b32 s10, s10, 23
	s_and_b32 s8, s8, 0x80000000
	s_add_i32 s10, s10, 0x37800000
	s_lshl_b32 s9, s9, 21
	s_or_b32 s8, s8, s10
	s_or_b32 s8, s8, s9
	v_cvt_f16_f32_e32 v1, s8
.LBB127_1752:
	global_store_short v[8:9], v1, off
.LBB127_1753:
	s_mov_b64 s[8:9], 0
.LBB127_1754:
	s_andn2_b64 vcc, exec, s[8:9]
	s_cbranch_vccnz .LBB127_1805
; %bb.1755:
	v_mov_b32_e32 v0, 2
	v_cmp_lt_i16_sdwa s[10:11], s16, v0 src0_sel:BYTE_1 src1_sel:DWORD
	s_mov_b64 s[8:9], -1
	s_and_b64 vcc, exec, s[10:11]
	s_cbranch_vccnz .LBB127_1786
; %bb.1756:
	v_mov_b32_e32 v0, 3
	v_cmp_lt_i16_sdwa s[10:11], s16, v0 src0_sel:BYTE_1 src1_sel:DWORD
	s_and_b64 vcc, exec, s[10:11]
	s_cbranch_vccnz .LBB127_1776
; %bb.1757:
	v_cmp_gt_i16_sdwa s[10:11], s16, v0 src0_sel:BYTE_1 src1_sel:DWORD
	s_and_b64 vcc, exec, s[10:11]
	s_cbranch_vccz .LBB127_1766
; %bb.1758:
	v_mov_b32_e32 v0, 0x80
	v_cmp_lt_i16_sdwa s[8:9], s16, v0 src0_sel:BYTE_0 src1_sel:DWORD
	s_and_b64 vcc, exec, s[8:9]
	s_cbranch_vccnz .LBB127_1760
; %bb.1759:
	v_cmp_ne_u16_sdwa s[8:9], s16, v0 src0_sel:BYTE_0 src1_sel:DWORD
	s_mov_b64 s[12:13], 0
	s_mov_b64 s[10:11], 0
	s_branch .LBB127_1761
.LBB127_1760:
	s_mov_b64 s[12:13], -1
	s_mov_b64 s[8:9], 0
                                        ; implicit-def: $sgpr10_sgpr11
.LBB127_1761:
	s_andn2_b64 vcc, exec, s[12:13]
	s_cbranch_vccnz .LBB127_1763
; %bb.1762:
	v_mov_b32_e32 v0, 0
	v_cmp_ne_u16_sdwa s[8:9], s16, v0 src0_sel:BYTE_0 src1_sel:DWORD
	s_mov_b64 s[10:11], 0
.LBB127_1763:
	s_andn2_b64 vcc, exec, s[8:9]
	v_pk_mov_b32 v[0:1], s[10:11], s[10:11] op_sel:[0,1]
	s_cbranch_vccnz .LBB127_1765
; %bb.1764:
	s_and_b32 s9, s16, 3
	s_flbit_i32_b32 s11, s9
	s_min_u32 s11, s11, 32
	v_lshrrev_b16_e64 v0, 2, s16
	s_sub_i32 s12, s11, 29
	v_readfirstlane_b32 s10, v0
	s_lshl_b32 s12, s16, s12
	s_lshl_b32 s8, s16, 24
	s_and_b32 s10, s10, 31
	s_sub_i32 s11, 30, s11
	s_and_b32 s12, s12, 3
	s_cmp_eq_u32 s10, 0
	s_cselect_b32 s10, s11, s10
	s_cselect_b32 s9, s12, s9
	s_lshl_b32 s10, s10, 23
	s_and_b32 s8, s8, 0x80000000
	s_add_i32 s10, s10, 0x37800000
	s_lshl_b32 s9, s9, 21
	s_or_b32 s8, s8, s10
	s_or_b32 s8, s8, s9
	v_trunc_f32_e32 v0, s8
	s_mov_b32 s8, 0x2f800000
	v_mul_f32_e64 v1, |v0|, s8
	v_floor_f32_e32 v1, v1
	s_mov_b32 s8, 0xcf800000
	v_fma_f32 v2, v1, s8, |v0|
	v_cvt_u32_f32_e32 v2, v2
	v_cvt_u32_f32_e32 v1, v1
	v_ashrrev_i32_e32 v3, 31, v0
	v_xor_b32_e32 v0, v2, v3
	v_xor_b32_e32 v1, v1, v3
	v_sub_co_u32_e32 v0, vcc, v0, v3
	v_subb_co_u32_e32 v1, vcc, v1, v3, vcc
.LBB127_1765:
	global_store_dwordx2 v[8:9], v[0:1], off
	s_mov_b64 s[8:9], 0
.LBB127_1766:
	s_and_b64 vcc, exec, s[8:9]
	s_cbranch_vccz .LBB127_1775
; %bb.1767:
	v_mov_b32_e32 v0, 0x80
	v_cmp_lt_i16_sdwa s[8:9], s16, v0 src0_sel:BYTE_0 src1_sel:DWORD
	s_and_b64 vcc, exec, s[8:9]
	s_cbranch_vccnz .LBB127_1769
; %bb.1768:
	v_cmp_ne_u16_sdwa s[8:9], s16, v0 src0_sel:BYTE_0 src1_sel:DWORD
	s_mov_b64 s[10:11], 0
	s_mov_b32 s12, 0
	s_branch .LBB127_1770
.LBB127_1769:
	s_mov_b64 s[10:11], -1
	s_mov_b64 s[8:9], 0
                                        ; implicit-def: $sgpr12
.LBB127_1770:
	s_andn2_b64 vcc, exec, s[10:11]
	s_cbranch_vccnz .LBB127_1772
; %bb.1771:
	v_mov_b32_e32 v0, 0
	s_mov_b32 s12, 0
	v_cmp_ne_u16_sdwa s[8:9], s16, v0 src0_sel:BYTE_0 src1_sel:DWORD
.LBB127_1772:
	s_andn2_b64 vcc, exec, s[8:9]
	v_mov_b32_e32 v0, s12
	s_cbranch_vccnz .LBB127_1774
; %bb.1773:
	s_and_b32 s9, s16, 3
	s_flbit_i32_b32 s11, s9
	s_min_u32 s11, s11, 32
	v_lshrrev_b16_e64 v0, 2, s16
	s_sub_i32 s12, s11, 29
	v_readfirstlane_b32 s10, v0
	s_lshl_b32 s12, s16, s12
	s_lshl_b32 s8, s16, 24
	s_and_b32 s10, s10, 31
	s_sub_i32 s11, 30, s11
	s_and_b32 s12, s12, 3
	s_cmp_eq_u32 s10, 0
	s_cselect_b32 s10, s11, s10
	s_cselect_b32 s9, s12, s9
	s_lshl_b32 s10, s10, 23
	s_and_b32 s8, s8, 0x80000000
	s_add_i32 s10, s10, 0x37800000
	s_lshl_b32 s9, s9, 21
	s_or_b32 s8, s8, s10
	s_or_b32 s8, s8, s9
	v_cvt_i32_f32_e32 v0, s8
.LBB127_1774:
	global_store_dword v[8:9], v0, off
.LBB127_1775:
	s_mov_b64 s[8:9], 0
.LBB127_1776:
	s_andn2_b64 vcc, exec, s[8:9]
	s_cbranch_vccnz .LBB127_1785
; %bb.1777:
	v_mov_b32_e32 v0, 0x80
	v_cmp_lt_i16_sdwa s[8:9], s16, v0 src0_sel:BYTE_0 src1_sel:DWORD
	s_and_b64 vcc, exec, s[8:9]
	s_cbranch_vccnz .LBB127_1779
; %bb.1778:
	v_cmp_ne_u16_sdwa s[8:9], s16, v0 src0_sel:BYTE_0 src1_sel:DWORD
	s_mov_b64 s[10:11], 0
	s_mov_b32 s12, 0
	s_branch .LBB127_1780
.LBB127_1779:
	s_mov_b64 s[10:11], -1
	s_mov_b64 s[8:9], 0
                                        ; implicit-def: $sgpr12
.LBB127_1780:
	s_andn2_b64 vcc, exec, s[10:11]
	s_cbranch_vccnz .LBB127_1782
; %bb.1781:
	v_mov_b32_e32 v0, 0
	s_mov_b32 s12, 0
	v_cmp_ne_u16_sdwa s[8:9], s16, v0 src0_sel:BYTE_0 src1_sel:DWORD
.LBB127_1782:
	s_andn2_b64 vcc, exec, s[8:9]
	v_mov_b32_e32 v0, s12
	s_cbranch_vccnz .LBB127_1784
; %bb.1783:
	s_and_b32 s9, s16, 3
	s_flbit_i32_b32 s11, s9
	s_min_u32 s11, s11, 32
	v_lshrrev_b16_e64 v0, 2, s16
	s_sub_i32 s12, s11, 29
	v_readfirstlane_b32 s10, v0
	s_lshl_b32 s12, s16, s12
	s_lshl_b32 s8, s16, 24
	s_and_b32 s10, s10, 31
	s_sub_i32 s11, 30, s11
	s_and_b32 s12, s12, 3
	s_cmp_eq_u32 s10, 0
	s_cselect_b32 s10, s11, s10
	s_cselect_b32 s9, s12, s9
	s_lshl_b32 s10, s10, 23
	s_and_b32 s8, s8, 0x80000000
	s_add_i32 s10, s10, 0x37800000
	s_lshl_b32 s9, s9, 21
	s_or_b32 s8, s8, s10
	s_or_b32 s8, s8, s9
	v_cvt_i32_f32_e32 v0, s8
.LBB127_1784:
	global_store_short v[8:9], v0, off
.LBB127_1785:
	s_mov_b64 s[8:9], 0
.LBB127_1786:
	s_andn2_b64 vcc, exec, s[8:9]
	s_cbranch_vccnz .LBB127_1805
; %bb.1787:
	v_mov_b32_e32 v0, 0
	v_cmp_gt_i16_sdwa s[10:11], s16, v0 src0_sel:BYTE_1 src1_sel:DWORD
	s_mov_b64 s[8:9], -1
	s_and_b64 vcc, exec, s[10:11]
	s_cbranch_vccz .LBB127_1796
; %bb.1788:
	v_mov_b32_e32 v0, 0x80
	v_cmp_lt_i16_sdwa s[8:9], s16, v0 src0_sel:BYTE_0 src1_sel:DWORD
	s_and_b64 vcc, exec, s[8:9]
	s_cbranch_vccnz .LBB127_1790
; %bb.1789:
	v_cmp_ne_u16_sdwa s[8:9], s16, v0 src0_sel:BYTE_0 src1_sel:DWORD
	s_mov_b64 s[10:11], 0
	s_mov_b32 s12, 0
	s_branch .LBB127_1791
.LBB127_1790:
	s_mov_b64 s[10:11], -1
	s_mov_b64 s[8:9], 0
                                        ; implicit-def: $sgpr12
.LBB127_1791:
	s_andn2_b64 vcc, exec, s[10:11]
	s_cbranch_vccnz .LBB127_1793
; %bb.1792:
	v_mov_b32_e32 v0, 0
	s_mov_b32 s12, 0
	v_cmp_ne_u16_sdwa s[8:9], s16, v0 src0_sel:BYTE_0 src1_sel:DWORD
.LBB127_1793:
	s_andn2_b64 vcc, exec, s[8:9]
	v_mov_b32_e32 v0, s12
	s_cbranch_vccnz .LBB127_1795
; %bb.1794:
	s_and_b32 s9, s16, 3
	s_flbit_i32_b32 s11, s9
	s_min_u32 s11, s11, 32
	v_lshrrev_b16_e64 v0, 2, s16
	s_sub_i32 s12, s11, 29
	v_readfirstlane_b32 s10, v0
	s_lshl_b32 s12, s16, s12
	s_lshl_b32 s8, s16, 24
	s_and_b32 s10, s10, 31
	s_sub_i32 s11, 30, s11
	s_and_b32 s12, s12, 3
	s_cmp_eq_u32 s10, 0
	s_cselect_b32 s10, s11, s10
	s_cselect_b32 s9, s12, s9
	s_lshl_b32 s10, s10, 23
	s_and_b32 s8, s8, 0x80000000
	s_add_i32 s10, s10, 0x37800000
	s_lshl_b32 s9, s9, 21
	s_or_b32 s8, s8, s10
	s_or_b32 s8, s8, s9
	v_cvt_i32_f32_e32 v0, s8
.LBB127_1795:
	global_store_byte v[8:9], v0, off
	s_mov_b64 s[8:9], 0
.LBB127_1796:
	s_and_b64 vcc, exec, s[8:9]
	s_cbranch_vccz .LBB127_1805
; %bb.1797:
	v_mov_b32_e32 v0, 0x80
	v_cmp_lt_i16_sdwa s[8:9], s16, v0 src0_sel:BYTE_0 src1_sel:DWORD
	s_and_b64 vcc, exec, s[8:9]
	s_cbranch_vccnz .LBB127_1799
; %bb.1798:
	v_cmp_ne_u16_sdwa s[8:9], s16, v0 src0_sel:BYTE_0 src1_sel:DWORD
	s_mov_b64 s[10:11], 0
	s_mov_b32 s12, 0
	s_branch .LBB127_1800
.LBB127_1799:
	s_mov_b64 s[10:11], -1
	s_mov_b64 s[8:9], 0
                                        ; implicit-def: $sgpr12
.LBB127_1800:
	s_andn2_b64 vcc, exec, s[10:11]
	s_cbranch_vccnz .LBB127_1802
; %bb.1801:
	v_mov_b32_e32 v0, 0
	s_mov_b32 s12, 0
	v_cmp_ne_u16_sdwa s[8:9], s16, v0 src0_sel:BYTE_0 src1_sel:DWORD
.LBB127_1802:
	s_andn2_b64 vcc, exec, s[8:9]
	v_mov_b32_e32 v0, s12
	s_cbranch_vccnz .LBB127_1804
; %bb.1803:
	s_and_b32 s9, s16, 3
	s_flbit_i32_b32 s11, s9
	s_min_u32 s11, s11, 32
	v_lshrrev_b16_e64 v0, 2, s16
	s_sub_i32 s12, s11, 29
	v_readfirstlane_b32 s10, v0
	s_lshl_b32 s12, s16, s12
	s_lshl_b32 s8, s16, 24
	s_and_b32 s10, s10, 31
	s_sub_i32 s11, 30, s11
	s_and_b32 s12, s12, 3
	s_cmp_eq_u32 s10, 0
	s_cselect_b32 s10, s11, s10
	s_cselect_b32 s9, s12, s9
	s_lshl_b32 s10, s10, 23
	s_and_b32 s8, s8, 0x80000000
	s_add_i32 s10, s10, 0x37800000
	s_lshl_b32 s9, s9, 21
	s_or_b32 s8, s8, s10
	s_or_b32 s8, s8, s9
	v_trunc_f32_e32 v0, s8
	s_mov_b32 s8, 0x2f800000
	v_mul_f32_e64 v1, |v0|, s8
	v_floor_f32_e32 v1, v1
	s_mov_b32 s8, 0xcf800000
	v_fma_f32 v1, v1, s8, |v0|
	v_cvt_u32_f32_e32 v1, v1
	v_ashrrev_i32_e32 v0, 31, v0
	v_xor_b32_e32 v1, v1, v0
	v_sub_u32_e32 v0, v1, v0
.LBB127_1804:
	global_store_byte v[8:9], v0, off
.LBB127_1805:
	s_branch .LBB127_1967
.LBB127_1806:
	s_mov_b64 s[8:9], -1
.LBB127_1807:
                                        ; implicit-def: $sgpr17
.LBB127_1808:
	s_and_b64 vcc, exec, s[12:13]
	s_cbranch_vccz .LBB127_1810
; %bb.1809:
	v_mov_b32_e32 v0, 0
	s_mov_b32 s17, 0
	v_cmp_ne_u16_sdwa s[8:9], s16, v0 src0_sel:BYTE_0 src1_sel:DWORD
.LBB127_1810:
	s_andn2_b64 vcc, exec, s[8:9]
	s_cbranch_vccnz .LBB127_1812
; %bb.1811:
	s_and_b32 s9, s16, 3
	s_flbit_i32_b32 s13, s9
	s_min_u32 s13, s13, 32
	v_lshrrev_b16_e64 v0, 2, s16
	s_sub_i32 s17, s13, 29
	v_readfirstlane_b32 s12, v0
	s_lshl_b32 s17, s16, s17
	s_lshl_b32 s8, s16, 24
	s_and_b32 s12, s12, 31
	s_sub_i32 s13, 30, s13
	s_and_b32 s17, s17, 3
	s_cmp_eq_u32 s12, 0
	s_cselect_b32 s12, s13, s12
	s_cselect_b32 s9, s17, s9
	s_lshl_b32 s12, s12, 23
	s_and_b32 s8, s8, 0x80000000
	s_add_i32 s12, s12, 0x37800000
	s_lshl_b32 s9, s9, 21
	s_or_b32 s8, s8, s12
	s_or_b32 s17, s8, s9
.LBB127_1812:
	s_bfe_u32 s8, s17, 0x10010
	s_add_i32 s8, s17, s8
	s_addk_i32 s8, 0x7fff
	s_lshr_b32 s12, s8, 16
	v_cmp_o_f32_e64 s[8:9], s17, s17
	s_and_b64 s[8:9], s[8:9], exec
	s_cselect_b32 s8, s12, 0x7fc0
	v_mov_b32_e32 v0, s8
	global_store_dword v[8:9], v0, off
	s_mov_b64 s[8:9], 0
	s_mov_b64 s[12:13], -1
.LBB127_1813:
	s_and_b64 vcc, exec, s[14:15]
	s_cbranch_vccz .LBB127_1826
; %bb.1814:
	v_mov_b32_e32 v0, 44
	v_cmp_eq_u16_sdwa s[14:15], s16, v0 src0_sel:BYTE_1 src1_sel:DWORD
	s_mov_b64 s[8:9], -1
	s_and_b64 vcc, exec, s[14:15]
	s_cbranch_vccz .LBB127_1826
; %bb.1815:
	v_mov_b32_e32 v0, 0xff
	v_and_b32_e32 v0, s16, v0
	s_movk_i32 s8, 0x80
	v_cmp_gt_i16_e32 vcc, s8, v0
	v_readfirstlane_b32 s15, v0
	s_cbranch_vccnz .LBB127_1818
; %bb.1816:
	v_mov_b32_e32 v0, 0x80
	v_cmp_eq_u16_e32 vcc, s15, v0
	s_cbranch_vccz .LBB127_1819
; %bb.1817:
	s_mov_b64 s[8:9], 0
	s_mov_b32 s14, 0x7f800001
	s_branch .LBB127_1820
.LBB127_1818:
	s_mov_b64 s[12:13], -1
	s_mov_b64 s[8:9], 0
                                        ; implicit-def: $sgpr14
	s_branch .LBB127_1821
.LBB127_1819:
	s_mov_b64 s[8:9], -1
                                        ; implicit-def: $sgpr14
.LBB127_1820:
	s_mov_b64 s[12:13], 0
.LBB127_1821:
	s_and_b64 vcc, exec, s[12:13]
	s_cbranch_vccz .LBB127_1831
; %bb.1822:
	s_and_b32 s14, 0xffff, s15
	v_cmp_ne_u16_e64 s[8:9], s15, 0
	s_andn2_b64 vcc, exec, s[8:9]
	s_cbranch_vccz .LBB127_1832
.LBB127_1823:
	s_bfe_u32 s8, s14, 0x80017
	s_cmpk_eq_i32 s8, 0xff
	v_mov_b32_e32 v0, 0xff
	s_cbranch_scc1 .LBB127_1825
.LBB127_1824:
	s_lshr_b32 s15, s14, 23
	s_bitcmp1_b32 s14, 22
	s_cselect_b64 s[12:13], -1, 0
	s_and_b32 s9, s14, 0x3fffff
	s_or_b32 s8, s8, s9
	s_cmp_lg_u32 s8, 0
	s_cselect_b64 s[8:9], -1, 0
	s_and_b64 s[8:9], s[12:13], s[8:9]
	v_cndmask_b32_e64 v0, 0, 1, s[8:9]
	v_add_u32_e32 v0, s15, v0
.LBB127_1825:
	s_mov_b64 s[8:9], 0
	s_mov_b64 s[12:13], -1
	global_store_byte v[8:9], v0, off
.LBB127_1826:
	s_mov_b64 s[14:15], 0
.LBB127_1827:
	s_and_b64 vcc, exec, s[14:15]
	s_cbranch_vccz .LBB127_1839
; %bb.1828:
	v_mov_b32_e32 v0, 29
	v_cmp_eq_u16_sdwa s[14:15], s16, v0 src0_sel:BYTE_1 src1_sel:DWORD
	s_mov_b64 s[8:9], -1
	s_and_b64 vcc, exec, s[14:15]
	s_cbranch_vccz .LBB127_1839
; %bb.1829:
	v_mov_b32_e32 v0, 0x80
	v_cmp_lt_i16_sdwa s[8:9], s16, v0 src0_sel:BYTE_0 src1_sel:DWORD
	s_and_b64 vcc, exec, s[8:9]
	s_cbranch_vccnz .LBB127_1833
; %bb.1830:
	v_cmp_ne_u16_sdwa s[8:9], s16, v0 src0_sel:BYTE_0 src1_sel:DWORD
	s_mov_b64 s[14:15], 0
	s_mov_b64 s[12:13], 0
	s_branch .LBB127_1834
.LBB127_1831:
	s_andn2_b64 vcc, exec, s[8:9]
	s_cbranch_vccnz .LBB127_1823
.LBB127_1832:
	s_and_b32 s8, s16, 3
	s_flbit_i32_b32 s12, s8
	s_min_u32 s12, s12, 32
	v_lshrrev_b16_e64 v0, 2, s16
	s_sub_i32 s13, s12, 29
	v_readfirstlane_b32 s9, v0
	s_lshl_b32 s13, s16, s13
	s_and_b32 s9, s9, 31
	s_sub_i32 s12, 30, s12
	s_and_b32 s13, s13, 3
	s_cmp_eq_u32 s9, 0
	s_cselect_b32 s9, s12, s9
	s_cselect_b32 s8, s13, s8
	s_lshl_b32 s8, s8, 21
	s_lshl_b32 s9, s9, 23
	s_or_b32 s8, s9, s8
	s_add_i32 s14, s8, 0x37800000
	s_bfe_u32 s8, s14, 0x80017
	s_cmpk_eq_i32 s8, 0xff
	v_mov_b32_e32 v0, 0xff
	s_cbranch_scc0 .LBB127_1824
	s_branch .LBB127_1825
.LBB127_1833:
	s_mov_b64 s[14:15], -1
	s_mov_b64 s[8:9], 0
                                        ; implicit-def: $sgpr12_sgpr13
.LBB127_1834:
	s_andn2_b64 vcc, exec, s[14:15]
	s_cbranch_vccnz .LBB127_1836
; %bb.1835:
	v_mov_b32_e32 v0, 0
	v_cmp_ne_u16_sdwa s[8:9], s16, v0 src0_sel:BYTE_0 src1_sel:DWORD
	s_mov_b64 s[12:13], 0
.LBB127_1836:
	s_andn2_b64 vcc, exec, s[8:9]
	v_pk_mov_b32 v[0:1], s[12:13], s[12:13] op_sel:[0,1]
	s_cbranch_vccnz .LBB127_1838
; %bb.1837:
	s_and_b32 s9, s16, 3
	s_flbit_i32_b32 s13, s9
	s_min_u32 s13, s13, 32
	v_lshrrev_b16_e64 v0, 2, s16
	s_sub_i32 s14, s13, 29
	v_readfirstlane_b32 s12, v0
	s_lshl_b32 s14, s16, s14
	s_lshl_b32 s8, s16, 24
	s_and_b32 s12, s12, 31
	s_sub_i32 s13, 30, s13
	s_and_b32 s14, s14, 3
	s_cmp_eq_u32 s12, 0
	s_cselect_b32 s12, s13, s12
	s_cselect_b32 s9, s14, s9
	s_lshl_b32 s12, s12, 23
	s_and_b32 s8, s8, 0x80000000
	s_add_i32 s12, s12, 0x37800000
	s_lshl_b32 s9, s9, 21
	s_or_b32 s8, s8, s12
	s_or_b32 s8, s8, s9
	v_trunc_f32_e32 v0, s8
	v_mul_f32_e32 v1, 0x2f800000, v0
	v_floor_f32_e32 v1, v1
	v_fmac_f32_e32 v0, 0xcf800000, v1
	v_cvt_u32_f32_e32 v0, v0
	v_cvt_u32_f32_e32 v1, v1
.LBB127_1838:
	global_store_dwordx2 v[8:9], v[0:1], off
	s_mov_b64 s[8:9], 0
	s_mov_b64 s[12:13], -1
.LBB127_1839:
	s_mov_b64 s[14:15], 0
.LBB127_1840:
	s_and_b64 vcc, exec, s[14:15]
	s_cbranch_vccz .LBB127_1882
; %bb.1841:
	v_mov_b32_e32 v0, 27
	v_cmp_lt_i16_sdwa s[14:15], s16, v0 src0_sel:BYTE_1 src1_sel:DWORD
	s_mov_b64 s[12:13], -1
	s_and_b64 vcc, exec, s[14:15]
	s_cbranch_vccnz .LBB127_1861
; %bb.1842:
	v_cmp_gt_i16_sdwa s[14:15], s16, v0 src0_sel:BYTE_1 src1_sel:DWORD
	s_and_b64 vcc, exec, s[14:15]
	s_cbranch_vccz .LBB127_1851
; %bb.1843:
	v_mov_b32_e32 v0, 0x80
	v_cmp_lt_i16_sdwa s[12:13], s16, v0 src0_sel:BYTE_0 src1_sel:DWORD
	s_and_b64 vcc, exec, s[12:13]
	s_cbranch_vccnz .LBB127_1845
; %bb.1844:
	v_cmp_ne_u16_sdwa s[12:13], s16, v0 src0_sel:BYTE_0 src1_sel:DWORD
	s_mov_b64 s[14:15], 0
	s_mov_b32 s17, 0
	s_branch .LBB127_1846
.LBB127_1845:
	s_mov_b64 s[14:15], -1
	s_mov_b64 s[12:13], 0
                                        ; implicit-def: $sgpr17
.LBB127_1846:
	s_andn2_b64 vcc, exec, s[14:15]
	s_cbranch_vccnz .LBB127_1848
; %bb.1847:
	v_mov_b32_e32 v0, 0
	s_mov_b32 s17, 0
	v_cmp_ne_u16_sdwa s[12:13], s16, v0 src0_sel:BYTE_0 src1_sel:DWORD
.LBB127_1848:
	s_andn2_b64 vcc, exec, s[12:13]
	v_mov_b32_e32 v0, s17
	s_cbranch_vccnz .LBB127_1850
; %bb.1849:
	s_and_b32 s13, s16, 3
	s_flbit_i32_b32 s15, s13
	s_min_u32 s15, s15, 32
	v_lshrrev_b16_e64 v0, 2, s16
	s_sub_i32 s17, s15, 29
	v_readfirstlane_b32 s14, v0
	s_lshl_b32 s17, s16, s17
	s_lshl_b32 s12, s16, 24
	s_and_b32 s14, s14, 31
	s_sub_i32 s15, 30, s15
	s_and_b32 s17, s17, 3
	s_cmp_eq_u32 s14, 0
	s_cselect_b32 s14, s15, s14
	s_cselect_b32 s13, s17, s13
	s_lshl_b32 s14, s14, 23
	s_and_b32 s12, s12, 0x80000000
	s_add_i32 s14, s14, 0x37800000
	s_lshl_b32 s13, s13, 21
	s_or_b32 s12, s12, s14
	s_or_b32 s12, s12, s13
	v_cvt_u32_f32_e32 v0, s12
.LBB127_1850:
	global_store_dword v[8:9], v0, off
	s_mov_b64 s[12:13], 0
.LBB127_1851:
	s_and_b64 vcc, exec, s[12:13]
	s_cbranch_vccz .LBB127_1860
; %bb.1852:
	v_mov_b32_e32 v0, 0x80
	v_cmp_lt_i16_sdwa s[12:13], s16, v0 src0_sel:BYTE_0 src1_sel:DWORD
	s_and_b64 vcc, exec, s[12:13]
	s_cbranch_vccnz .LBB127_1854
; %bb.1853:
	v_cmp_ne_u16_sdwa s[12:13], s16, v0 src0_sel:BYTE_0 src1_sel:DWORD
	s_mov_b64 s[14:15], 0
	s_mov_b32 s17, 0
	s_branch .LBB127_1855
.LBB127_1854:
	s_mov_b64 s[14:15], -1
	s_mov_b64 s[12:13], 0
                                        ; implicit-def: $sgpr17
.LBB127_1855:
	s_andn2_b64 vcc, exec, s[14:15]
	s_cbranch_vccnz .LBB127_1857
; %bb.1856:
	v_mov_b32_e32 v0, 0
	s_mov_b32 s17, 0
	v_cmp_ne_u16_sdwa s[12:13], s16, v0 src0_sel:BYTE_0 src1_sel:DWORD
.LBB127_1857:
	s_andn2_b64 vcc, exec, s[12:13]
	v_mov_b32_e32 v0, s17
	s_cbranch_vccnz .LBB127_1859
; %bb.1858:
	s_and_b32 s13, s16, 3
	s_flbit_i32_b32 s15, s13
	s_min_u32 s15, s15, 32
	v_lshrrev_b16_e64 v0, 2, s16
	s_sub_i32 s17, s15, 29
	v_readfirstlane_b32 s14, v0
	s_lshl_b32 s17, s16, s17
	s_lshl_b32 s12, s16, 24
	s_and_b32 s14, s14, 31
	s_sub_i32 s15, 30, s15
	s_and_b32 s17, s17, 3
	s_cmp_eq_u32 s14, 0
	s_cselect_b32 s14, s15, s14
	s_cselect_b32 s13, s17, s13
	s_lshl_b32 s14, s14, 23
	s_and_b32 s12, s12, 0x80000000
	s_add_i32 s14, s14, 0x37800000
	s_lshl_b32 s13, s13, 21
	s_or_b32 s12, s12, s14
	s_or_b32 s12, s12, s13
	v_cvt_u32_f32_e32 v0, s12
.LBB127_1859:
	global_store_short v[8:9], v0, off
.LBB127_1860:
	s_mov_b64 s[12:13], 0
.LBB127_1861:
	s_andn2_b64 vcc, exec, s[12:13]
	s_cbranch_vccnz .LBB127_1881
; %bb.1862:
	v_mov_b32_e32 v0, 0x80
	v_cmp_lt_i16_sdwa s[12:13], s16, v0 src0_sel:BYTE_0 src1_sel:DWORD
	s_and_b64 vcc, exec, s[12:13]
	s_cbranch_vccnz .LBB127_1865
; %bb.1863:
	v_cmp_eq_u16_sdwa s[12:13], s16, v0 src0_sel:BYTE_0 src1_sel:DWORD
	s_and_b64 vcc, exec, s[12:13]
	s_cbranch_vccz .LBB127_1866
; %bb.1864:
	s_mov_b64 s[12:13], 0
	s_mov_b32 s17, 0x7f800001
	s_branch .LBB127_1867
.LBB127_1865:
	s_mov_b64 s[14:15], -1
	s_mov_b64 s[12:13], 0
                                        ; implicit-def: $sgpr17
	s_branch .LBB127_1868
.LBB127_1866:
	s_mov_b64 s[12:13], -1
                                        ; implicit-def: $sgpr17
.LBB127_1867:
	s_mov_b64 s[14:15], 0
.LBB127_1868:
	s_and_b64 vcc, exec, s[14:15]
	s_cbranch_vccz .LBB127_1871
; %bb.1869:
	v_mov_b32_e32 v0, 0
	s_mov_b32 s17, 0
	v_cmp_ne_u16_sdwa s[12:13], s16, v0 src0_sel:BYTE_0 src1_sel:DWORD
	s_andn2_b64 vcc, exec, s[12:13]
	s_cbranch_vccz .LBB127_1872
.LBB127_1870:
	s_and_b32 s12, s17, 0x7fffffff
	s_cmp_gt_u32 s12, 0x437fffff
	v_mov_b32_e32 v1, 0x80
	s_cbranch_scc0 .LBB127_1873
	s_branch .LBB127_1880
.LBB127_1871:
	s_andn2_b64 vcc, exec, s[12:13]
	s_cbranch_vccnz .LBB127_1870
.LBB127_1872:
	s_and_b32 s13, s16, 3
	s_flbit_i32_b32 s15, s13
	s_min_u32 s15, s15, 32
	v_lshrrev_b16_e64 v0, 2, s16
	s_sub_i32 s17, s15, 29
	v_readfirstlane_b32 s14, v0
	s_lshl_b32 s17, s16, s17
	s_lshl_b32 s12, s16, 24
	s_and_b32 s14, s14, 31
	s_sub_i32 s15, 30, s15
	s_and_b32 s17, s17, 3
	s_cmp_eq_u32 s14, 0
	s_cselect_b32 s14, s15, s14
	s_cselect_b32 s13, s17, s13
	s_lshl_b32 s14, s14, 23
	s_and_b32 s12, s12, 0x80000000
	s_add_i32 s14, s14, 0x37800000
	s_lshl_b32 s13, s13, 21
	s_or_b32 s12, s12, s14
	s_or_b32 s17, s12, s13
	s_and_b32 s12, s17, 0x7fffffff
	s_cmp_gt_u32 s12, 0x437fffff
	v_mov_b32_e32 v1, 0x80
	s_cbranch_scc1 .LBB127_1880
.LBB127_1873:
	s_cmp_gt_u32 s12, 0x3bffffff
	s_cbranch_scc0 .LBB127_1875
; %bb.1874:
	s_bfe_u32 s12, s17, 0x10014
	s_add_i32 s12, s17, s12
	s_add_i32 s12, s12, 0x487ffff
	s_lshr_b32 s18, s12, 20
	s_mov_b64 s[14:15], 0
	s_mov_b64 s[12:13], -1
	s_branch .LBB127_1876
.LBB127_1875:
	s_mov_b64 s[14:15], -1
	s_mov_b64 s[12:13], 0
                                        ; implicit-def: $sgpr18
.LBB127_1876:
	s_andn2_b64 vcc, exec, s[14:15]
	v_mov_b32_e32 v0, s18
                                        ; implicit-def: $sgpr14
	s_cbranch_vccnz .LBB127_1878
; %bb.1877:
	v_mov_b32_e32 v0, 0x46000000
	v_add_f32_e64 v0, |s17|, v0
	v_and_b32_e32 v0, 0xff, v0
	s_mov_b32 s14, 0
	v_cmp_ne_u32_e64 s[12:13], 0, v0
.LBB127_1878:
	s_andn2_b64 vcc, exec, s[12:13]
	v_mov_b32_e32 v1, s14
	s_cbranch_vccnz .LBB127_1880
; %bb.1879:
	s_lshr_b32 s12, s17, 24
	s_and_b32 s12, s12, 0x80
	v_or_b32_e32 v1, s12, v0
.LBB127_1880:
	global_store_byte v[8:9], v1, off
.LBB127_1881:
	s_mov_b64 s[12:13], -1
.LBB127_1882:
	s_mov_b64 s[14:15], 0
.LBB127_1883:
	s_and_b64 vcc, exec, s[14:15]
	s_cbranch_vccz .LBB127_1951
; %bb.1884:
	v_mov_b32_e32 v0, 22
	v_cmp_gt_i16_sdwa s[14:15], s16, v0 src0_sel:BYTE_1 src1_sel:DWORD
	s_mov_b64 s[10:11], -1
	s_and_b64 vcc, exec, s[14:15]
	s_cbranch_vccz .LBB127_1934
; %bb.1885:
	v_mov_b32_e32 v0, 24
	v_cmp_lt_i16_sdwa s[12:13], s16, v0 src0_sel:BYTE_1 src1_sel:DWORD
	s_and_b64 vcc, exec, s[12:13]
	s_cbranch_vccnz .LBB127_1911
; %bb.1886:
	v_cmp_gt_i16_sdwa s[12:13], s16, v0 src0_sel:BYTE_1 src1_sel:DWORD
	s_and_b64 vcc, exec, s[12:13]
	s_cbranch_vccz .LBB127_1888
; %bb.1887:
	v_mov_b32_e32 v0, s16
	global_store_byte v[8:9], v0, off
	s_mov_b64 s[10:11], 0
.LBB127_1888:
	s_andn2_b64 vcc, exec, s[10:11]
	s_cbranch_vccnz .LBB127_1910
; %bb.1889:
	v_mov_b32_e32 v0, 0x80
	v_cmp_lt_i16_sdwa s[10:11], s16, v0 src0_sel:BYTE_0 src1_sel:DWORD
	s_and_b64 vcc, exec, s[10:11]
	s_cbranch_vccnz .LBB127_1892
; %bb.1890:
	v_cmp_eq_u16_sdwa s[10:11], s16, v0 src0_sel:BYTE_0 src1_sel:DWORD
	s_and_b64 vcc, exec, s[10:11]
	s_cbranch_vccz .LBB127_1893
; %bb.1891:
	s_mov_b64 s[10:11], 0
	s_mov_b32 s14, 0x7f800001
	s_branch .LBB127_1894
.LBB127_1892:
	s_mov_b64 s[12:13], -1
	s_mov_b64 s[10:11], 0
                                        ; implicit-def: $sgpr14
	s_branch .LBB127_1895
.LBB127_1893:
	s_mov_b64 s[10:11], -1
                                        ; implicit-def: $sgpr14
.LBB127_1894:
	s_mov_b64 s[12:13], 0
.LBB127_1895:
	s_and_b64 vcc, exec, s[12:13]
	s_cbranch_vccz .LBB127_1900
; %bb.1896:
	v_mov_b32_e32 v0, 0
	s_mov_b32 s14, 0
	v_cmp_ne_u16_sdwa s[10:11], s16, v0 src0_sel:BYTE_0 src1_sel:DWORD
	s_andn2_b64 vcc, exec, s[10:11]
	s_cbranch_vccz .LBB127_1901
.LBB127_1897:
	s_and_b32 s12, s14, 0x7fffffff
	s_cmp_lt_u32 s12, 0x43f00000
	s_cbranch_scc0 .LBB127_1902
.LBB127_1898:
	s_cmp_gt_u32 s12, 0x3c7fffff
	s_cbranch_scc0 .LBB127_1903
; %bb.1899:
	s_bfe_u32 s10, s14, 0x10014
	s_add_i32 s10, s14, s10
	s_add_i32 s10, s10, 0x407ffff
	s_lshr_b32 s11, s10, 20
	s_and_b32 s10, s10, 0xff00000
	s_cmp_lg_u32 s10, 0x7f00000
	s_cselect_b32 s13, s11, 0x7e
	s_mov_b64 s[10:11], 0
	s_branch .LBB127_1904
.LBB127_1900:
	s_andn2_b64 vcc, exec, s[10:11]
	s_cbranch_vccnz .LBB127_1897
.LBB127_1901:
	s_and_b32 s11, s16, 3
	s_flbit_i32_b32 s13, s11
	s_min_u32 s13, s13, 32
	v_lshrrev_b16_e64 v0, 2, s16
	s_sub_i32 s14, s13, 29
	v_readfirstlane_b32 s12, v0
	s_lshl_b32 s14, s16, s14
	s_lshl_b32 s10, s16, 24
	s_and_b32 s12, s12, 31
	s_sub_i32 s13, 30, s13
	s_and_b32 s14, s14, 3
	s_cmp_eq_u32 s12, 0
	s_cselect_b32 s12, s13, s12
	s_cselect_b32 s11, s14, s11
	s_lshl_b32 s12, s12, 23
	s_and_b32 s10, s10, 0x80000000
	s_add_i32 s12, s12, 0x37800000
	s_lshl_b32 s11, s11, 21
	s_or_b32 s10, s10, s12
	s_or_b32 s14, s10, s11
	s_and_b32 s12, s14, 0x7fffffff
	s_cmp_lt_u32 s12, 0x43f00000
	s_cbranch_scc1 .LBB127_1898
.LBB127_1902:
	s_mov_b64 s[10:11], -1
                                        ; implicit-def: $vgpr0
	s_branch .LBB127_1907
.LBB127_1903:
	s_mov_b64 s[10:11], -1
                                        ; implicit-def: $sgpr13
.LBB127_1904:
	s_andn2_b64 vcc, exec, s[10:11]
	v_mov_b32_e32 v0, s13
	s_cbranch_vccnz .LBB127_1906
; %bb.1905:
	v_mov_b32_e32 v0, 0x46800000
	v_add_f32_e64 v0, |s14|, v0
.LBB127_1906:
	s_mov_b64 s[10:11], 0
.LBB127_1907:
	s_andn2_b64 vcc, exec, s[10:11]
	s_cbranch_vccnz .LBB127_1909
; %bb.1908:
	s_cmp_gt_u32 s12, 0x7f800000
	s_movk_i32 s10, 0x7f
	s_cselect_b32 s10, s10, 0x7e
	v_mov_b32_e32 v0, s10
.LBB127_1909:
	s_lshr_b32 s10, s14, 24
	s_and_b32 s10, s10, 0x80
	v_or_b32_e32 v0, s10, v0
	global_store_byte v[8:9], v0, off
.LBB127_1910:
	s_mov_b64 s[10:11], 0
.LBB127_1911:
	s_andn2_b64 vcc, exec, s[10:11]
	s_cbranch_vccnz .LBB127_1933
; %bb.1912:
	v_mov_b32_e32 v0, 0x80
	v_cmp_lt_i16_sdwa s[10:11], s16, v0 src0_sel:BYTE_0 src1_sel:DWORD
	s_and_b64 vcc, exec, s[10:11]
	s_cbranch_vccnz .LBB127_1915
; %bb.1913:
	v_cmp_eq_u16_sdwa s[10:11], s16, v0 src0_sel:BYTE_0 src1_sel:DWORD
	s_and_b64 vcc, exec, s[10:11]
	s_cbranch_vccz .LBB127_1916
; %bb.1914:
	s_mov_b64 s[10:11], 0
	s_mov_b32 s14, 0x7f800001
	s_branch .LBB127_1917
.LBB127_1915:
	s_mov_b64 s[12:13], -1
	s_mov_b64 s[10:11], 0
                                        ; implicit-def: $sgpr14
	s_branch .LBB127_1918
.LBB127_1916:
	s_mov_b64 s[10:11], -1
                                        ; implicit-def: $sgpr14
.LBB127_1917:
	s_mov_b64 s[12:13], 0
.LBB127_1918:
	s_and_b64 vcc, exec, s[12:13]
	s_cbranch_vccz .LBB127_1923
; %bb.1919:
	v_mov_b32_e32 v0, 0
	s_mov_b32 s14, 0
	v_cmp_ne_u16_sdwa s[10:11], s16, v0 src0_sel:BYTE_0 src1_sel:DWORD
	s_andn2_b64 vcc, exec, s[10:11]
	s_cbranch_vccz .LBB127_1924
.LBB127_1920:
	s_and_b32 s12, s14, 0x7fffffff
	s_cmp_lt_u32 s12, 0x47800000
	s_cbranch_scc0 .LBB127_1925
.LBB127_1921:
	s_cmp_gt_u32 s12, 0x387fffff
	s_cbranch_scc0 .LBB127_1926
; %bb.1922:
	s_bfe_u32 s10, s14, 0x10015
	s_add_i32 s10, s14, s10
	s_add_i32 s10, s10, 0x80fffff
	s_lshr_b32 s13, s10, 21
	s_mov_b64 s[10:11], 0
	s_branch .LBB127_1927
.LBB127_1923:
	s_andn2_b64 vcc, exec, s[10:11]
	s_cbranch_vccnz .LBB127_1920
.LBB127_1924:
	s_and_b32 s11, s16, 3
	s_flbit_i32_b32 s13, s11
	s_min_u32 s13, s13, 32
	v_lshrrev_b16_e64 v0, 2, s16
	s_sub_i32 s14, s13, 29
	v_readfirstlane_b32 s12, v0
	s_lshl_b32 s14, s16, s14
	s_lshl_b32 s10, s16, 24
	s_and_b32 s12, s12, 31
	s_sub_i32 s13, 30, s13
	s_and_b32 s14, s14, 3
	s_cmp_eq_u32 s12, 0
	s_cselect_b32 s12, s13, s12
	s_cselect_b32 s11, s14, s11
	s_lshl_b32 s12, s12, 23
	s_and_b32 s10, s10, 0x80000000
	s_add_i32 s12, s12, 0x37800000
	s_lshl_b32 s11, s11, 21
	s_or_b32 s10, s10, s12
	s_or_b32 s14, s10, s11
	s_and_b32 s12, s14, 0x7fffffff
	s_cmp_lt_u32 s12, 0x47800000
	s_cbranch_scc1 .LBB127_1921
.LBB127_1925:
	s_mov_b64 s[10:11], -1
                                        ; implicit-def: $vgpr0
	s_branch .LBB127_1930
.LBB127_1926:
	s_mov_b64 s[10:11], -1
                                        ; implicit-def: $sgpr13
.LBB127_1927:
	s_andn2_b64 vcc, exec, s[10:11]
	v_mov_b32_e32 v0, s13
	s_cbranch_vccnz .LBB127_1929
; %bb.1928:
	v_mov_b32_e32 v0, 0x43000000
	v_add_f32_e64 v0, |s14|, v0
.LBB127_1929:
	s_mov_b64 s[10:11], 0
.LBB127_1930:
	s_andn2_b64 vcc, exec, s[10:11]
	s_cbranch_vccnz .LBB127_1932
; %bb.1931:
	s_cmp_gt_u32 s12, 0x7f800000
	s_movk_i32 s10, 0x7f
	s_cselect_b32 s10, s10, 0x7c
	v_mov_b32_e32 v0, s10
.LBB127_1932:
	s_lshr_b32 s10, s14, 24
	s_and_b32 s10, s10, 0x80
	v_or_b32_e32 v0, s10, v0
	global_store_byte v[8:9], v0, off
.LBB127_1933:
	s_mov_b64 s[10:11], 0
	s_mov_b64 s[12:13], -1
.LBB127_1934:
	s_andn2_b64 vcc, exec, s[10:11]
	s_mov_b64 s[10:11], 0
	s_cbranch_vccnz .LBB127_1951
; %bb.1935:
	v_mov_b32_e32 v0, 14
	v_cmp_gt_i16_sdwa s[10:11], s16, v0 src0_sel:BYTE_1 src1_sel:DWORD
	s_mov_b64 s[14:15], -1
	s_and_b64 vcc, exec, s[10:11]
	s_cbranch_vccz .LBB127_1949
; %bb.1936:
	v_mov_b32_e32 v0, 15
	v_cmp_eq_u16_sdwa s[10:11], s16, v0 src0_sel:BYTE_1 src1_sel:DWORD
	s_mov_b64 s[8:9], -1
	s_and_b64 vcc, exec, s[10:11]
	s_cbranch_vccz .LBB127_1948
; %bb.1937:
	v_mov_b32_e32 v0, 0x80
	v_cmp_lt_i16_sdwa s[8:9], s16, v0 src0_sel:BYTE_0 src1_sel:DWORD
	s_and_b64 vcc, exec, s[8:9]
	s_cbranch_vccnz .LBB127_1940
; %bb.1938:
	v_cmp_eq_u16_sdwa s[8:9], s16, v0 src0_sel:BYTE_0 src1_sel:DWORD
	s_and_b64 vcc, exec, s[8:9]
	s_cbranch_vccz .LBB127_1941
; %bb.1939:
	s_mov_b64 s[8:9], 0
	s_mov_b32 s12, 0x7f800001
	s_branch .LBB127_1942
.LBB127_1940:
	s_mov_b64 s[10:11], -1
	s_mov_b64 s[8:9], 0
                                        ; implicit-def: $sgpr12
	s_branch .LBB127_1943
.LBB127_1941:
	s_mov_b64 s[8:9], -1
                                        ; implicit-def: $sgpr12
.LBB127_1942:
	s_mov_b64 s[10:11], 0
.LBB127_1943:
	s_and_b64 vcc, exec, s[10:11]
	s_cbranch_vccz .LBB127_1945
; %bb.1944:
	v_mov_b32_e32 v0, 0
	s_mov_b32 s12, 0
	v_cmp_ne_u16_sdwa s[8:9], s16, v0 src0_sel:BYTE_0 src1_sel:DWORD
.LBB127_1945:
	s_andn2_b64 vcc, exec, s[8:9]
	s_cbranch_vccnz .LBB127_1947
; %bb.1946:
	s_and_b32 s9, s16, 3
	s_flbit_i32_b32 s11, s9
	s_min_u32 s11, s11, 32
	v_lshrrev_b16_e64 v0, 2, s16
	s_sub_i32 s12, s11, 29
	v_readfirstlane_b32 s10, v0
	s_lshl_b32 s12, s16, s12
	s_lshl_b32 s8, s16, 24
	s_and_b32 s10, s10, 31
	s_sub_i32 s11, 30, s11
	s_and_b32 s12, s12, 3
	s_cmp_eq_u32 s10, 0
	s_cselect_b32 s10, s11, s10
	s_cselect_b32 s9, s12, s9
	s_lshl_b32 s10, s10, 23
	s_and_b32 s8, s8, 0x80000000
	s_add_i32 s10, s10, 0x37800000
	s_lshl_b32 s9, s9, 21
	s_or_b32 s8, s8, s10
	s_or_b32 s12, s8, s9
.LBB127_1947:
	s_bfe_u32 s8, s12, 0x10010
	s_add_i32 s8, s12, s8
	s_addk_i32 s8, 0x7fff
	s_lshr_b32 s10, s8, 16
	v_cmp_o_f32_e64 s[8:9], s12, s12
	s_and_b64 s[8:9], s[8:9], exec
	s_cselect_b32 s8, s10, 0x7fc0
	v_mov_b32_e32 v0, s8
	global_store_short v[8:9], v0, off
	s_mov_b64 s[8:9], 0
	s_mov_b64 s[12:13], -1
.LBB127_1948:
	s_mov_b64 s[14:15], 0
.LBB127_1949:
	s_mov_b64 s[10:11], 0
	s_and_b64 vcc, exec, s[14:15]
	s_cbranch_vccz .LBB127_1951
; %bb.1950:
	v_mov_b32_e32 v0, 11
	v_cmp_ne_u16_sdwa s[8:9], s16, v0 src0_sel:BYTE_1 src1_sel:DWORD
	s_mov_b64 s[10:11], -1
.LBB127_1951:
	s_and_b64 vcc, exec, s[8:9]
	s_cbranch_vccnz .LBB127_1964
; %bb.1952:
	s_andn2_b64 vcc, exec, s[10:11]
	s_cbranch_vccnz .LBB127_1965
.LBB127_1953:
	v_mov_b32_e32 v0, 0x80
	v_cmp_lt_i16_sdwa s[8:9], s16, v0 src0_sel:BYTE_0 src1_sel:DWORD
	s_and_b64 vcc, exec, s[8:9]
	s_cbranch_vccnz .LBB127_1956
; %bb.1954:
	v_cmp_eq_u16_sdwa s[8:9], s16, v0 src0_sel:BYTE_0 src1_sel:DWORD
	s_and_b64 vcc, exec, s[8:9]
	s_cbranch_vccz .LBB127_1957
; %bb.1955:
	s_mov_b64 s[10:11], 0
	s_mov_b64 s[8:9], -1
	s_branch .LBB127_1958
.LBB127_1956:
	s_mov_b64 s[12:13], -1
	s_mov_b64 s[10:11], 0
                                        ; implicit-def: $sgpr8_sgpr9
	s_branch .LBB127_1959
.LBB127_1957:
	s_mov_b64 s[10:11], -1
                                        ; implicit-def: $sgpr8_sgpr9
.LBB127_1958:
	s_mov_b64 s[12:13], 0
.LBB127_1959:
	s_and_b64 vcc, exec, s[12:13]
	s_cbranch_vccz .LBB127_1961
; %bb.1960:
	v_mov_b32_e32 v0, 0
	v_cmp_ne_u16_sdwa s[10:11], s16, v0 src0_sel:BYTE_0 src1_sel:DWORD
	s_mov_b64 s[8:9], 0
.LBB127_1961:
	s_andn2_b64 vcc, exec, s[10:11]
	s_cbranch_vccnz .LBB127_1963
; %bb.1962:
	s_and_b32 s8, s16, 3
	s_flbit_i32_b32 s10, s8
	s_min_u32 s10, s10, 32
	v_lshrrev_b16_e64 v0, 2, s16
	s_sub_i32 s11, s10, 29
	v_readfirstlane_b32 s9, v0
	s_lshl_b32 s11, s16, s11
	s_and_b32 s9, s9, 31
	s_sub_i32 s10, 30, s10
	s_and_b32 s11, s11, 3
	s_cmp_eq_u32 s9, 0
	s_cselect_b32 s9, s10, s9
	s_cselect_b32 s8, s11, s8
	s_lshl_b32 s9, s9, 23
	s_add_i32 s9, s9, 0x37800000
	s_lshl_b32 s8, s8, 21
	s_and_b32 s9, s9, 0x7f800000
	s_or_b32 s8, s9, s8
	s_cmp_lg_u32 s8, 0
	s_cselect_b64 s[8:9], -1, 0
.LBB127_1963:
	v_cndmask_b32_e64 v0, 0, 1, s[8:9]
	global_store_byte v[8:9], v0, off
	s_mov_b64 s[12:13], -1
	s_branch .LBB127_1966
.LBB127_1964:
	s_trap 2
	s_or_b64 s[0:1], s[0:1], exec
	s_cbranch_execz .LBB127_1953
.LBB127_1965:
.LBB127_1966:
	s_andn2_b64 vcc, exec, s[12:13]
	s_cbranch_vccnz .LBB127_2286
.LBB127_1967:
	v_mov_b32_e32 v0, s3
	v_add_co_u32_e32 v6, vcc, s2, v6
	v_addc_co_u32_e32 v7, vcc, 0, v0, vcc
	v_mov_b32_e32 v0, 11
	v_cmp_lt_i16_sdwa s[8:9], s16, v0 src0_sel:BYTE_1 src1_sel:DWORD
	s_and_b64 vcc, exec, s[8:9]
	s_cbranch_vccnz .LBB127_1976
; %bb.1968:
	v_mov_b32_e32 v0, 25
	v_cmp_gt_i16_sdwa s[8:9], s16, v0 src0_sel:BYTE_1 src1_sel:DWORD
	s_mov_b64 s[14:15], -1
	s_mov_b64 s[10:11], 0
	s_and_b64 vcc, exec, s[8:9]
	s_mov_b64 s[12:13], 0
	s_mov_b64 s[8:9], 0
	s_cbranch_vccz .LBB127_2070
; %bb.1969:
	v_mov_b32_e32 v0, 28
	v_cmp_gt_i16_sdwa s[8:9], s16, v0 src0_sel:BYTE_1 src1_sel:DWORD
	s_and_b64 vcc, exec, s[8:9]
	s_cbranch_vccz .LBB127_1988
; %bb.1970:
	v_mov_b32_e32 v0, 43
	v_cmp_gt_i16_sdwa s[8:9], s16, v0 src0_sel:BYTE_1 src1_sel:DWORD
	s_and_b64 vcc, exec, s[8:9]
	;; [unrolled: 5-line block ×3, first 2 shown]
	s_cbranch_vccz .LBB127_1990
; %bb.1972:
	v_mov_b32_e32 v0, 46
	v_cmp_eq_u16_sdwa s[12:13], s16, v0 src0_sel:BYTE_1 src1_sel:DWORD
	s_mov_b64 s[8:9], -1
	s_mov_b64 s[14:15], 0
	s_and_b64 vcc, exec, s[12:13]
	s_mov_b64 s[12:13], 0
	s_cbranch_vccz .LBB127_1999
; %bb.1973:
	v_mov_b32_e32 v0, 0x80
	v_cmp_lt_i16_sdwa s[8:9], s16, v0 src0_sel:BYTE_0 src1_sel:DWORD
	s_and_b64 vcc, exec, s[8:9]
	s_cbranch_vccnz .LBB127_1991
; %bb.1974:
	v_cmp_eq_u16_sdwa s[8:9], s16, v0 src0_sel:BYTE_0 src1_sel:DWORD
	s_and_b64 vcc, exec, s[8:9]
	s_cbranch_vccz .LBB127_1992
; %bb.1975:
	s_mov_b64 s[8:9], 0
	s_mov_b32 s17, 0x7f800001
	s_branch .LBB127_1994
.LBB127_1976:
	s_mov_b64 s[12:13], 0
	s_cbranch_execnz .LBB127_2152
.LBB127_1977:
	s_andn2_b64 vcc, exec, s[12:13]
	s_cbranch_vccnz .LBB127_2286
.LBB127_1978:
	s_load_dword s4, s[4:5], 0x118
	v_mov_b32_e32 v0, s3
	v_add_co_u32_e32 v4, vcc, s2, v4
	v_addc_co_u32_e32 v5, vcc, 0, v0, vcc
	s_waitcnt lgkmcnt(0)
	v_lshrrev_b16_e64 v6, 8, s4
	v_cmp_gt_i16_e32 vcc, 11, v6
	s_cbranch_vccnz .LBB127_1987
; %bb.1979:
	v_cmp_lt_i16_e32 vcc, 25, v6
	s_mov_b64 s[8:9], -1
	s_mov_b64 s[4:5], 0
	s_mov_b64 s[2:3], 0
	s_cbranch_vccz .LBB127_2510
; %bb.1980:
	v_cmp_lt_i16_e32 vcc, 28, v6
	s_cbranch_vccz .LBB127_2468
; %bb.1981:
	v_cmp_lt_i16_e32 vcc, 43, v6
	;; [unrolled: 3-line block ×3, first 2 shown]
	s_cbranch_vccz .LBB127_2441
; %bb.1983:
	v_cmp_eq_u16_e32 vcc, 46, v6
	s_mov_b64 s[2:3], -1
	s_cbranch_vccz .LBB127_2440
; %bb.1984:
	v_mov_b32_e32 v0, 0x80
	v_cmp_lt_i16_sdwa s[2:3], s16, v0 src0_sel:BYTE_0 src1_sel:DWORD
	s_and_b64 vcc, exec, s[2:3]
	s_cbranch_vccnz .LBB127_2005
; %bb.1985:
	v_cmp_eq_u16_sdwa s[2:3], s16, v0 src0_sel:BYTE_0 src1_sel:DWORD
	s_and_b64 vcc, exec, s[2:3]
	s_cbranch_vccz .LBB127_2433
; %bb.1986:
	s_mov_b64 s[2:3], 0
	s_mov_b32 s10, 0x7f800001
	s_branch .LBB127_2434
.LBB127_1987:
	s_mov_b64 s[4:5], 0
	s_mov_b64 s[2:3], -1
	s_branch .LBB127_2287
.LBB127_1988:
	s_mov_b64 s[8:9], 0
	s_branch .LBB127_2027
.LBB127_1989:
	s_mov_b64 s[8:9], 0
	s_branch .LBB127_2014
.LBB127_1990:
	s_mov_b64 s[8:9], 0
	s_branch .LBB127_1999
.LBB127_1991:
	s_mov_b64 s[12:13], -1
	s_mov_b64 s[8:9], 0
	s_branch .LBB127_1993
.LBB127_1992:
	s_mov_b64 s[8:9], -1
.LBB127_1993:
                                        ; implicit-def: $sgpr17
.LBB127_1994:
	s_and_b64 vcc, exec, s[12:13]
	s_cbranch_vccz .LBB127_1996
; %bb.1995:
	v_mov_b32_e32 v0, 0
	s_mov_b32 s17, 0
	v_cmp_ne_u16_sdwa s[8:9], s16, v0 src0_sel:BYTE_0 src1_sel:DWORD
.LBB127_1996:
	s_andn2_b64 vcc, exec, s[8:9]
	s_cbranch_vccnz .LBB127_1998
; %bb.1997:
	s_and_b32 s9, s16, 3
	s_flbit_i32_b32 s13, s9
	s_min_u32 s13, s13, 32
	v_lshrrev_b16_e64 v0, 2, s16
	s_sub_i32 s17, s13, 29
	v_readfirstlane_b32 s12, v0
	s_lshl_b32 s17, s16, s17
	s_lshl_b32 s8, s16, 24
	s_and_b32 s12, s12, 31
	s_sub_i32 s13, 30, s13
	s_and_b32 s17, s17, 3
	s_cmp_eq_u32 s12, 0
	s_cselect_b32 s12, s13, s12
	s_cselect_b32 s9, s17, s9
	s_lshl_b32 s12, s12, 23
	s_and_b32 s8, s8, 0x80000000
	s_add_i32 s12, s12, 0x37800000
	s_lshl_b32 s9, s9, 21
	s_or_b32 s8, s8, s12
	s_or_b32 s17, s8, s9
.LBB127_1998:
	s_bfe_u32 s8, s17, 0x10010
	s_add_i32 s8, s17, s8
	s_addk_i32 s8, 0x7fff
	s_lshr_b32 s12, s8, 16
	v_cmp_o_f32_e64 s[8:9], s17, s17
	s_and_b64 s[8:9], s[8:9], exec
	s_cselect_b32 s8, s12, 0x7fc0
	v_mov_b32_e32 v0, s8
	global_store_dword v[6:7], v0, off
	s_mov_b64 s[8:9], 0
	s_mov_b64 s[12:13], -1
.LBB127_1999:
	s_and_b64 vcc, exec, s[14:15]
	s_cbranch_vccz .LBB127_2013
; %bb.2000:
	v_mov_b32_e32 v0, 44
	v_cmp_eq_u16_sdwa s[14:15], s16, v0 src0_sel:BYTE_1 src1_sel:DWORD
	s_mov_b64 s[8:9], -1
	s_and_b64 vcc, exec, s[14:15]
	s_cbranch_vccz .LBB127_2013
; %bb.2001:
	v_mov_b32_e32 v0, 0xff
	v_and_b32_e32 v0, s16, v0
	s_movk_i32 s8, 0x80
	v_cmp_gt_i16_e32 vcc, s8, v0
	v_readfirstlane_b32 s15, v0
	s_cbranch_vccnz .LBB127_2004
; %bb.2002:
	v_mov_b32_e32 v0, 0x80
	v_cmp_eq_u16_e32 vcc, s15, v0
	s_cbranch_vccz .LBB127_2006
; %bb.2003:
	s_mov_b64 s[8:9], 0
	s_mov_b32 s14, 0x7f800001
	s_branch .LBB127_2007
.LBB127_2004:
	s_mov_b64 s[12:13], -1
	s_mov_b64 s[8:9], 0
                                        ; implicit-def: $sgpr14
	s_branch .LBB127_2008
.LBB127_2005:
	s_mov_b64 s[2:3], 0
                                        ; implicit-def: $sgpr10
	s_branch .LBB127_2435
.LBB127_2006:
	s_mov_b64 s[8:9], -1
                                        ; implicit-def: $sgpr14
.LBB127_2007:
	s_mov_b64 s[12:13], 0
.LBB127_2008:
	s_and_b64 vcc, exec, s[12:13]
	s_cbranch_vccz .LBB127_2018
; %bb.2009:
	s_and_b32 s14, 0xffff, s15
	v_cmp_ne_u16_e64 s[8:9], s15, 0
	s_andn2_b64 vcc, exec, s[8:9]
	s_cbranch_vccz .LBB127_2019
.LBB127_2010:
	s_bfe_u32 s8, s14, 0x80017
	s_cmpk_eq_i32 s8, 0xff
	v_mov_b32_e32 v0, 0xff
	s_cbranch_scc1 .LBB127_2012
.LBB127_2011:
	s_lshr_b32 s15, s14, 23
	s_bitcmp1_b32 s14, 22
	s_cselect_b64 s[12:13], -1, 0
	s_and_b32 s9, s14, 0x3fffff
	s_or_b32 s8, s8, s9
	s_cmp_lg_u32 s8, 0
	s_cselect_b64 s[8:9], -1, 0
	s_and_b64 s[8:9], s[12:13], s[8:9]
	v_cndmask_b32_e64 v0, 0, 1, s[8:9]
	v_add_u32_e32 v0, s15, v0
.LBB127_2012:
	s_mov_b64 s[8:9], 0
	s_mov_b64 s[12:13], -1
	global_store_byte v[6:7], v0, off
.LBB127_2013:
	s_mov_b64 s[14:15], 0
.LBB127_2014:
	s_and_b64 vcc, exec, s[14:15]
	s_cbranch_vccz .LBB127_2026
; %bb.2015:
	v_mov_b32_e32 v0, 29
	v_cmp_eq_u16_sdwa s[14:15], s16, v0 src0_sel:BYTE_1 src1_sel:DWORD
	s_mov_b64 s[8:9], -1
	s_and_b64 vcc, exec, s[14:15]
	s_cbranch_vccz .LBB127_2026
; %bb.2016:
	v_mov_b32_e32 v0, 0x80
	v_cmp_lt_i16_sdwa s[8:9], s16, v0 src0_sel:BYTE_0 src1_sel:DWORD
	s_and_b64 vcc, exec, s[8:9]
	s_cbranch_vccnz .LBB127_2020
; %bb.2017:
	v_cmp_ne_u16_sdwa s[8:9], s16, v0 src0_sel:BYTE_0 src1_sel:DWORD
	s_mov_b64 s[14:15], 0
	s_mov_b64 s[12:13], 0
	s_branch .LBB127_2021
.LBB127_2018:
	s_andn2_b64 vcc, exec, s[8:9]
	s_cbranch_vccnz .LBB127_2010
.LBB127_2019:
	s_and_b32 s8, s16, 3
	s_flbit_i32_b32 s12, s8
	s_min_u32 s12, s12, 32
	v_lshrrev_b16_e64 v0, 2, s16
	s_sub_i32 s13, s12, 29
	v_readfirstlane_b32 s9, v0
	s_lshl_b32 s13, s16, s13
	s_and_b32 s9, s9, 31
	s_sub_i32 s12, 30, s12
	s_and_b32 s13, s13, 3
	s_cmp_eq_u32 s9, 0
	s_cselect_b32 s9, s12, s9
	s_cselect_b32 s8, s13, s8
	s_lshl_b32 s8, s8, 21
	s_lshl_b32 s9, s9, 23
	s_or_b32 s8, s9, s8
	s_add_i32 s14, s8, 0x37800000
	s_bfe_u32 s8, s14, 0x80017
	s_cmpk_eq_i32 s8, 0xff
	v_mov_b32_e32 v0, 0xff
	s_cbranch_scc0 .LBB127_2011
	s_branch .LBB127_2012
.LBB127_2020:
	s_mov_b64 s[14:15], -1
	s_mov_b64 s[8:9], 0
                                        ; implicit-def: $sgpr12_sgpr13
.LBB127_2021:
	s_andn2_b64 vcc, exec, s[14:15]
	s_cbranch_vccnz .LBB127_2023
; %bb.2022:
	v_mov_b32_e32 v0, 0
	v_cmp_ne_u16_sdwa s[8:9], s16, v0 src0_sel:BYTE_0 src1_sel:DWORD
	s_mov_b64 s[12:13], 0
.LBB127_2023:
	s_andn2_b64 vcc, exec, s[8:9]
	v_pk_mov_b32 v[0:1], s[12:13], s[12:13] op_sel:[0,1]
	s_cbranch_vccnz .LBB127_2025
; %bb.2024:
	s_and_b32 s9, s16, 3
	s_flbit_i32_b32 s13, s9
	s_min_u32 s13, s13, 32
	v_lshrrev_b16_e64 v0, 2, s16
	s_sub_i32 s14, s13, 29
	v_readfirstlane_b32 s12, v0
	s_lshl_b32 s14, s16, s14
	s_lshl_b32 s8, s16, 24
	s_and_b32 s12, s12, 31
	s_sub_i32 s13, 30, s13
	s_and_b32 s14, s14, 3
	s_cmp_eq_u32 s12, 0
	s_cselect_b32 s12, s13, s12
	s_cselect_b32 s9, s14, s9
	s_lshl_b32 s12, s12, 23
	s_and_b32 s8, s8, 0x80000000
	s_add_i32 s12, s12, 0x37800000
	s_lshl_b32 s9, s9, 21
	s_or_b32 s8, s8, s12
	s_or_b32 s8, s8, s9
	v_trunc_f32_e32 v0, s8
	v_mul_f32_e32 v1, 0x2f800000, v0
	v_floor_f32_e32 v1, v1
	v_fmac_f32_e32 v0, 0xcf800000, v1
	v_cvt_u32_f32_e32 v0, v0
	v_cvt_u32_f32_e32 v1, v1
.LBB127_2025:
	global_store_dwordx2 v[6:7], v[0:1], off
	s_mov_b64 s[8:9], 0
	s_mov_b64 s[12:13], -1
.LBB127_2026:
	s_mov_b64 s[14:15], 0
.LBB127_2027:
	s_and_b64 vcc, exec, s[14:15]
	s_cbranch_vccz .LBB127_2069
; %bb.2028:
	v_mov_b32_e32 v0, 27
	v_cmp_lt_i16_sdwa s[14:15], s16, v0 src0_sel:BYTE_1 src1_sel:DWORD
	s_mov_b64 s[12:13], -1
	s_and_b64 vcc, exec, s[14:15]
	s_cbranch_vccnz .LBB127_2048
; %bb.2029:
	v_cmp_gt_i16_sdwa s[14:15], s16, v0 src0_sel:BYTE_1 src1_sel:DWORD
	s_and_b64 vcc, exec, s[14:15]
	s_cbranch_vccz .LBB127_2038
; %bb.2030:
	v_mov_b32_e32 v0, 0x80
	v_cmp_lt_i16_sdwa s[12:13], s16, v0 src0_sel:BYTE_0 src1_sel:DWORD
	s_and_b64 vcc, exec, s[12:13]
	s_cbranch_vccnz .LBB127_2032
; %bb.2031:
	v_cmp_ne_u16_sdwa s[12:13], s16, v0 src0_sel:BYTE_0 src1_sel:DWORD
	s_mov_b64 s[14:15], 0
	s_mov_b32 s17, 0
	s_branch .LBB127_2033
.LBB127_2032:
	s_mov_b64 s[14:15], -1
	s_mov_b64 s[12:13], 0
                                        ; implicit-def: $sgpr17
.LBB127_2033:
	s_andn2_b64 vcc, exec, s[14:15]
	s_cbranch_vccnz .LBB127_2035
; %bb.2034:
	v_mov_b32_e32 v0, 0
	s_mov_b32 s17, 0
	v_cmp_ne_u16_sdwa s[12:13], s16, v0 src0_sel:BYTE_0 src1_sel:DWORD
.LBB127_2035:
	s_andn2_b64 vcc, exec, s[12:13]
	v_mov_b32_e32 v0, s17
	s_cbranch_vccnz .LBB127_2037
; %bb.2036:
	s_and_b32 s13, s16, 3
	s_flbit_i32_b32 s15, s13
	s_min_u32 s15, s15, 32
	v_lshrrev_b16_e64 v0, 2, s16
	s_sub_i32 s17, s15, 29
	v_readfirstlane_b32 s14, v0
	s_lshl_b32 s17, s16, s17
	s_lshl_b32 s12, s16, 24
	s_and_b32 s14, s14, 31
	s_sub_i32 s15, 30, s15
	s_and_b32 s17, s17, 3
	s_cmp_eq_u32 s14, 0
	s_cselect_b32 s14, s15, s14
	s_cselect_b32 s13, s17, s13
	s_lshl_b32 s14, s14, 23
	s_and_b32 s12, s12, 0x80000000
	s_add_i32 s14, s14, 0x37800000
	s_lshl_b32 s13, s13, 21
	s_or_b32 s12, s12, s14
	s_or_b32 s12, s12, s13
	v_cvt_u32_f32_e32 v0, s12
.LBB127_2037:
	global_store_dword v[6:7], v0, off
	s_mov_b64 s[12:13], 0
.LBB127_2038:
	s_and_b64 vcc, exec, s[12:13]
	s_cbranch_vccz .LBB127_2047
; %bb.2039:
	v_mov_b32_e32 v0, 0x80
	v_cmp_lt_i16_sdwa s[12:13], s16, v0 src0_sel:BYTE_0 src1_sel:DWORD
	s_and_b64 vcc, exec, s[12:13]
	s_cbranch_vccnz .LBB127_2041
; %bb.2040:
	v_cmp_ne_u16_sdwa s[12:13], s16, v0 src0_sel:BYTE_0 src1_sel:DWORD
	s_mov_b64 s[14:15], 0
	s_mov_b32 s17, 0
	s_branch .LBB127_2042
.LBB127_2041:
	s_mov_b64 s[14:15], -1
	s_mov_b64 s[12:13], 0
                                        ; implicit-def: $sgpr17
.LBB127_2042:
	s_andn2_b64 vcc, exec, s[14:15]
	s_cbranch_vccnz .LBB127_2044
; %bb.2043:
	v_mov_b32_e32 v0, 0
	s_mov_b32 s17, 0
	v_cmp_ne_u16_sdwa s[12:13], s16, v0 src0_sel:BYTE_0 src1_sel:DWORD
.LBB127_2044:
	s_andn2_b64 vcc, exec, s[12:13]
	v_mov_b32_e32 v0, s17
	s_cbranch_vccnz .LBB127_2046
; %bb.2045:
	s_and_b32 s13, s16, 3
	s_flbit_i32_b32 s15, s13
	s_min_u32 s15, s15, 32
	v_lshrrev_b16_e64 v0, 2, s16
	s_sub_i32 s17, s15, 29
	v_readfirstlane_b32 s14, v0
	s_lshl_b32 s17, s16, s17
	s_lshl_b32 s12, s16, 24
	s_and_b32 s14, s14, 31
	s_sub_i32 s15, 30, s15
	s_and_b32 s17, s17, 3
	s_cmp_eq_u32 s14, 0
	s_cselect_b32 s14, s15, s14
	s_cselect_b32 s13, s17, s13
	s_lshl_b32 s14, s14, 23
	s_and_b32 s12, s12, 0x80000000
	s_add_i32 s14, s14, 0x37800000
	s_lshl_b32 s13, s13, 21
	s_or_b32 s12, s12, s14
	s_or_b32 s12, s12, s13
	v_cvt_u32_f32_e32 v0, s12
.LBB127_2046:
	global_store_short v[6:7], v0, off
.LBB127_2047:
	s_mov_b64 s[12:13], 0
.LBB127_2048:
	s_andn2_b64 vcc, exec, s[12:13]
	s_cbranch_vccnz .LBB127_2068
; %bb.2049:
	v_mov_b32_e32 v0, 0x80
	v_cmp_lt_i16_sdwa s[12:13], s16, v0 src0_sel:BYTE_0 src1_sel:DWORD
	s_and_b64 vcc, exec, s[12:13]
	s_cbranch_vccnz .LBB127_2052
; %bb.2050:
	v_cmp_eq_u16_sdwa s[12:13], s16, v0 src0_sel:BYTE_0 src1_sel:DWORD
	s_and_b64 vcc, exec, s[12:13]
	s_cbranch_vccz .LBB127_2053
; %bb.2051:
	s_mov_b64 s[12:13], 0
	s_mov_b32 s17, 0x7f800001
	s_branch .LBB127_2054
.LBB127_2052:
	s_mov_b64 s[14:15], -1
	s_mov_b64 s[12:13], 0
                                        ; implicit-def: $sgpr17
	s_branch .LBB127_2055
.LBB127_2053:
	s_mov_b64 s[12:13], -1
                                        ; implicit-def: $sgpr17
.LBB127_2054:
	s_mov_b64 s[14:15], 0
.LBB127_2055:
	s_and_b64 vcc, exec, s[14:15]
	s_cbranch_vccz .LBB127_2058
; %bb.2056:
	v_mov_b32_e32 v0, 0
	s_mov_b32 s17, 0
	v_cmp_ne_u16_sdwa s[12:13], s16, v0 src0_sel:BYTE_0 src1_sel:DWORD
	s_andn2_b64 vcc, exec, s[12:13]
	s_cbranch_vccz .LBB127_2059
.LBB127_2057:
	s_and_b32 s12, s17, 0x7fffffff
	s_cmp_gt_u32 s12, 0x437fffff
	v_mov_b32_e32 v1, 0x80
	s_cbranch_scc0 .LBB127_2060
	s_branch .LBB127_2067
.LBB127_2058:
	s_andn2_b64 vcc, exec, s[12:13]
	s_cbranch_vccnz .LBB127_2057
.LBB127_2059:
	s_and_b32 s13, s16, 3
	s_flbit_i32_b32 s15, s13
	s_min_u32 s15, s15, 32
	v_lshrrev_b16_e64 v0, 2, s16
	s_sub_i32 s17, s15, 29
	v_readfirstlane_b32 s14, v0
	s_lshl_b32 s17, s16, s17
	s_lshl_b32 s12, s16, 24
	s_and_b32 s14, s14, 31
	s_sub_i32 s15, 30, s15
	s_and_b32 s17, s17, 3
	s_cmp_eq_u32 s14, 0
	s_cselect_b32 s14, s15, s14
	s_cselect_b32 s13, s17, s13
	s_lshl_b32 s14, s14, 23
	s_and_b32 s12, s12, 0x80000000
	s_add_i32 s14, s14, 0x37800000
	s_lshl_b32 s13, s13, 21
	s_or_b32 s12, s12, s14
	s_or_b32 s17, s12, s13
	s_and_b32 s12, s17, 0x7fffffff
	s_cmp_gt_u32 s12, 0x437fffff
	v_mov_b32_e32 v1, 0x80
	s_cbranch_scc1 .LBB127_2067
.LBB127_2060:
	s_cmp_gt_u32 s12, 0x3bffffff
	s_cbranch_scc0 .LBB127_2062
; %bb.2061:
	s_bfe_u32 s12, s17, 0x10014
	s_add_i32 s12, s17, s12
	s_add_i32 s12, s12, 0x487ffff
	s_lshr_b32 s18, s12, 20
	s_mov_b64 s[14:15], 0
	s_mov_b64 s[12:13], -1
	s_branch .LBB127_2063
.LBB127_2062:
	s_mov_b64 s[14:15], -1
	s_mov_b64 s[12:13], 0
                                        ; implicit-def: $sgpr18
.LBB127_2063:
	s_andn2_b64 vcc, exec, s[14:15]
	v_mov_b32_e32 v0, s18
                                        ; implicit-def: $sgpr14
	s_cbranch_vccnz .LBB127_2065
; %bb.2064:
	v_mov_b32_e32 v0, 0x46000000
	v_add_f32_e64 v0, |s17|, v0
	v_and_b32_e32 v0, 0xff, v0
	s_mov_b32 s14, 0
	v_cmp_ne_u32_e64 s[12:13], 0, v0
.LBB127_2065:
	s_andn2_b64 vcc, exec, s[12:13]
	v_mov_b32_e32 v1, s14
	s_cbranch_vccnz .LBB127_2067
; %bb.2066:
	s_lshr_b32 s12, s17, 24
	s_and_b32 s12, s12, 0x80
	v_or_b32_e32 v1, s12, v0
.LBB127_2067:
	global_store_byte v[6:7], v1, off
.LBB127_2068:
	s_mov_b64 s[12:13], -1
.LBB127_2069:
	s_mov_b64 s[14:15], 0
.LBB127_2070:
	s_and_b64 vcc, exec, s[14:15]
	s_cbranch_vccz .LBB127_2138
; %bb.2071:
	v_mov_b32_e32 v0, 22
	v_cmp_gt_i16_sdwa s[14:15], s16, v0 src0_sel:BYTE_1 src1_sel:DWORD
	s_mov_b64 s[10:11], -1
	s_and_b64 vcc, exec, s[14:15]
	s_cbranch_vccz .LBB127_2121
; %bb.2072:
	v_mov_b32_e32 v0, 24
	v_cmp_lt_i16_sdwa s[12:13], s16, v0 src0_sel:BYTE_1 src1_sel:DWORD
	s_and_b64 vcc, exec, s[12:13]
	s_cbranch_vccnz .LBB127_2098
; %bb.2073:
	v_cmp_gt_i16_sdwa s[12:13], s16, v0 src0_sel:BYTE_1 src1_sel:DWORD
	s_and_b64 vcc, exec, s[12:13]
	s_cbranch_vccz .LBB127_2075
; %bb.2074:
	v_mov_b32_e32 v0, s16
	global_store_byte v[6:7], v0, off
	s_mov_b64 s[10:11], 0
.LBB127_2075:
	s_andn2_b64 vcc, exec, s[10:11]
	s_cbranch_vccnz .LBB127_2097
; %bb.2076:
	v_mov_b32_e32 v0, 0x80
	v_cmp_lt_i16_sdwa s[10:11], s16, v0 src0_sel:BYTE_0 src1_sel:DWORD
	s_and_b64 vcc, exec, s[10:11]
	s_cbranch_vccnz .LBB127_2079
; %bb.2077:
	v_cmp_eq_u16_sdwa s[10:11], s16, v0 src0_sel:BYTE_0 src1_sel:DWORD
	s_and_b64 vcc, exec, s[10:11]
	s_cbranch_vccz .LBB127_2080
; %bb.2078:
	s_mov_b64 s[10:11], 0
	s_mov_b32 s14, 0x7f800001
	s_branch .LBB127_2081
.LBB127_2079:
	s_mov_b64 s[12:13], -1
	s_mov_b64 s[10:11], 0
                                        ; implicit-def: $sgpr14
	s_branch .LBB127_2082
.LBB127_2080:
	s_mov_b64 s[10:11], -1
                                        ; implicit-def: $sgpr14
.LBB127_2081:
	s_mov_b64 s[12:13], 0
.LBB127_2082:
	s_and_b64 vcc, exec, s[12:13]
	s_cbranch_vccz .LBB127_2087
; %bb.2083:
	v_mov_b32_e32 v0, 0
	s_mov_b32 s14, 0
	v_cmp_ne_u16_sdwa s[10:11], s16, v0 src0_sel:BYTE_0 src1_sel:DWORD
	s_andn2_b64 vcc, exec, s[10:11]
	s_cbranch_vccz .LBB127_2088
.LBB127_2084:
	s_and_b32 s12, s14, 0x7fffffff
	s_cmp_lt_u32 s12, 0x43f00000
	s_cbranch_scc0 .LBB127_2089
.LBB127_2085:
	s_cmp_gt_u32 s12, 0x3c7fffff
	s_cbranch_scc0 .LBB127_2090
; %bb.2086:
	s_bfe_u32 s10, s14, 0x10014
	s_add_i32 s10, s14, s10
	s_add_i32 s10, s10, 0x407ffff
	s_lshr_b32 s11, s10, 20
	s_and_b32 s10, s10, 0xff00000
	s_cmp_lg_u32 s10, 0x7f00000
	s_cselect_b32 s13, s11, 0x7e
	s_mov_b64 s[10:11], 0
	s_branch .LBB127_2091
.LBB127_2087:
	s_andn2_b64 vcc, exec, s[10:11]
	s_cbranch_vccnz .LBB127_2084
.LBB127_2088:
	s_and_b32 s11, s16, 3
	s_flbit_i32_b32 s13, s11
	s_min_u32 s13, s13, 32
	v_lshrrev_b16_e64 v0, 2, s16
	s_sub_i32 s14, s13, 29
	v_readfirstlane_b32 s12, v0
	s_lshl_b32 s14, s16, s14
	s_lshl_b32 s10, s16, 24
	s_and_b32 s12, s12, 31
	s_sub_i32 s13, 30, s13
	s_and_b32 s14, s14, 3
	s_cmp_eq_u32 s12, 0
	s_cselect_b32 s12, s13, s12
	s_cselect_b32 s11, s14, s11
	s_lshl_b32 s12, s12, 23
	s_and_b32 s10, s10, 0x80000000
	s_add_i32 s12, s12, 0x37800000
	s_lshl_b32 s11, s11, 21
	s_or_b32 s10, s10, s12
	s_or_b32 s14, s10, s11
	s_and_b32 s12, s14, 0x7fffffff
	s_cmp_lt_u32 s12, 0x43f00000
	s_cbranch_scc1 .LBB127_2085
.LBB127_2089:
	s_mov_b64 s[10:11], -1
                                        ; implicit-def: $vgpr0
	s_branch .LBB127_2094
.LBB127_2090:
	s_mov_b64 s[10:11], -1
                                        ; implicit-def: $sgpr13
.LBB127_2091:
	s_andn2_b64 vcc, exec, s[10:11]
	v_mov_b32_e32 v0, s13
	s_cbranch_vccnz .LBB127_2093
; %bb.2092:
	v_mov_b32_e32 v0, 0x46800000
	v_add_f32_e64 v0, |s14|, v0
.LBB127_2093:
	s_mov_b64 s[10:11], 0
.LBB127_2094:
	s_andn2_b64 vcc, exec, s[10:11]
	s_cbranch_vccnz .LBB127_2096
; %bb.2095:
	s_cmp_gt_u32 s12, 0x7f800000
	s_movk_i32 s10, 0x7f
	s_cselect_b32 s10, s10, 0x7e
	v_mov_b32_e32 v0, s10
.LBB127_2096:
	s_lshr_b32 s10, s14, 24
	s_and_b32 s10, s10, 0x80
	v_or_b32_e32 v0, s10, v0
	global_store_byte v[6:7], v0, off
.LBB127_2097:
	s_mov_b64 s[10:11], 0
.LBB127_2098:
	s_andn2_b64 vcc, exec, s[10:11]
	s_cbranch_vccnz .LBB127_2120
; %bb.2099:
	v_mov_b32_e32 v0, 0x80
	v_cmp_lt_i16_sdwa s[10:11], s16, v0 src0_sel:BYTE_0 src1_sel:DWORD
	s_and_b64 vcc, exec, s[10:11]
	s_cbranch_vccnz .LBB127_2102
; %bb.2100:
	v_cmp_eq_u16_sdwa s[10:11], s16, v0 src0_sel:BYTE_0 src1_sel:DWORD
	s_and_b64 vcc, exec, s[10:11]
	s_cbranch_vccz .LBB127_2103
; %bb.2101:
	s_mov_b64 s[10:11], 0
	s_mov_b32 s14, 0x7f800001
	s_branch .LBB127_2104
.LBB127_2102:
	s_mov_b64 s[12:13], -1
	s_mov_b64 s[10:11], 0
                                        ; implicit-def: $sgpr14
	s_branch .LBB127_2105
.LBB127_2103:
	s_mov_b64 s[10:11], -1
                                        ; implicit-def: $sgpr14
.LBB127_2104:
	s_mov_b64 s[12:13], 0
.LBB127_2105:
	s_and_b64 vcc, exec, s[12:13]
	s_cbranch_vccz .LBB127_2110
; %bb.2106:
	v_mov_b32_e32 v0, 0
	s_mov_b32 s14, 0
	v_cmp_ne_u16_sdwa s[10:11], s16, v0 src0_sel:BYTE_0 src1_sel:DWORD
	s_andn2_b64 vcc, exec, s[10:11]
	s_cbranch_vccz .LBB127_2111
.LBB127_2107:
	s_and_b32 s12, s14, 0x7fffffff
	s_cmp_lt_u32 s12, 0x47800000
	s_cbranch_scc0 .LBB127_2112
.LBB127_2108:
	s_cmp_gt_u32 s12, 0x387fffff
	s_cbranch_scc0 .LBB127_2113
; %bb.2109:
	s_bfe_u32 s10, s14, 0x10015
	s_add_i32 s10, s14, s10
	s_add_i32 s10, s10, 0x80fffff
	s_lshr_b32 s13, s10, 21
	s_mov_b64 s[10:11], 0
	s_branch .LBB127_2114
.LBB127_2110:
	s_andn2_b64 vcc, exec, s[10:11]
	s_cbranch_vccnz .LBB127_2107
.LBB127_2111:
	s_and_b32 s11, s16, 3
	s_flbit_i32_b32 s13, s11
	s_min_u32 s13, s13, 32
	v_lshrrev_b16_e64 v0, 2, s16
	s_sub_i32 s14, s13, 29
	v_readfirstlane_b32 s12, v0
	s_lshl_b32 s14, s16, s14
	s_lshl_b32 s10, s16, 24
	s_and_b32 s12, s12, 31
	s_sub_i32 s13, 30, s13
	s_and_b32 s14, s14, 3
	s_cmp_eq_u32 s12, 0
	s_cselect_b32 s12, s13, s12
	s_cselect_b32 s11, s14, s11
	s_lshl_b32 s12, s12, 23
	s_and_b32 s10, s10, 0x80000000
	s_add_i32 s12, s12, 0x37800000
	s_lshl_b32 s11, s11, 21
	s_or_b32 s10, s10, s12
	s_or_b32 s14, s10, s11
	s_and_b32 s12, s14, 0x7fffffff
	s_cmp_lt_u32 s12, 0x47800000
	s_cbranch_scc1 .LBB127_2108
.LBB127_2112:
	s_mov_b64 s[10:11], -1
                                        ; implicit-def: $vgpr0
	s_branch .LBB127_2117
.LBB127_2113:
	s_mov_b64 s[10:11], -1
                                        ; implicit-def: $sgpr13
.LBB127_2114:
	s_andn2_b64 vcc, exec, s[10:11]
	v_mov_b32_e32 v0, s13
	s_cbranch_vccnz .LBB127_2116
; %bb.2115:
	v_mov_b32_e32 v0, 0x43000000
	v_add_f32_e64 v0, |s14|, v0
.LBB127_2116:
	s_mov_b64 s[10:11], 0
.LBB127_2117:
	s_andn2_b64 vcc, exec, s[10:11]
	s_cbranch_vccnz .LBB127_2119
; %bb.2118:
	s_cmp_gt_u32 s12, 0x7f800000
	s_movk_i32 s10, 0x7f
	s_cselect_b32 s10, s10, 0x7c
	v_mov_b32_e32 v0, s10
.LBB127_2119:
	s_lshr_b32 s10, s14, 24
	s_and_b32 s10, s10, 0x80
	v_or_b32_e32 v0, s10, v0
	global_store_byte v[6:7], v0, off
.LBB127_2120:
	s_mov_b64 s[10:11], 0
	s_mov_b64 s[12:13], -1
.LBB127_2121:
	s_andn2_b64 vcc, exec, s[10:11]
	s_mov_b64 s[10:11], 0
	s_cbranch_vccnz .LBB127_2138
; %bb.2122:
	v_mov_b32_e32 v0, 14
	v_cmp_gt_i16_sdwa s[10:11], s16, v0 src0_sel:BYTE_1 src1_sel:DWORD
	s_mov_b64 s[14:15], -1
	s_and_b64 vcc, exec, s[10:11]
	s_cbranch_vccz .LBB127_2136
; %bb.2123:
	v_mov_b32_e32 v0, 15
	v_cmp_eq_u16_sdwa s[10:11], s16, v0 src0_sel:BYTE_1 src1_sel:DWORD
	s_mov_b64 s[8:9], -1
	s_and_b64 vcc, exec, s[10:11]
	s_cbranch_vccz .LBB127_2135
; %bb.2124:
	v_mov_b32_e32 v0, 0x80
	v_cmp_lt_i16_sdwa s[8:9], s16, v0 src0_sel:BYTE_0 src1_sel:DWORD
	s_and_b64 vcc, exec, s[8:9]
	s_cbranch_vccnz .LBB127_2127
; %bb.2125:
	v_cmp_eq_u16_sdwa s[8:9], s16, v0 src0_sel:BYTE_0 src1_sel:DWORD
	s_and_b64 vcc, exec, s[8:9]
	s_cbranch_vccz .LBB127_2128
; %bb.2126:
	s_mov_b64 s[8:9], 0
	s_mov_b32 s12, 0x7f800001
	s_branch .LBB127_2129
.LBB127_2127:
	s_mov_b64 s[10:11], -1
	s_mov_b64 s[8:9], 0
                                        ; implicit-def: $sgpr12
	s_branch .LBB127_2130
.LBB127_2128:
	s_mov_b64 s[8:9], -1
                                        ; implicit-def: $sgpr12
.LBB127_2129:
	s_mov_b64 s[10:11], 0
.LBB127_2130:
	s_and_b64 vcc, exec, s[10:11]
	s_cbranch_vccz .LBB127_2132
; %bb.2131:
	v_mov_b32_e32 v0, 0
	s_mov_b32 s12, 0
	v_cmp_ne_u16_sdwa s[8:9], s16, v0 src0_sel:BYTE_0 src1_sel:DWORD
.LBB127_2132:
	s_andn2_b64 vcc, exec, s[8:9]
	s_cbranch_vccnz .LBB127_2134
; %bb.2133:
	s_and_b32 s9, s16, 3
	s_flbit_i32_b32 s11, s9
	s_min_u32 s11, s11, 32
	v_lshrrev_b16_e64 v0, 2, s16
	s_sub_i32 s12, s11, 29
	v_readfirstlane_b32 s10, v0
	s_lshl_b32 s12, s16, s12
	s_lshl_b32 s8, s16, 24
	s_and_b32 s10, s10, 31
	s_sub_i32 s11, 30, s11
	s_and_b32 s12, s12, 3
	s_cmp_eq_u32 s10, 0
	s_cselect_b32 s10, s11, s10
	s_cselect_b32 s9, s12, s9
	s_lshl_b32 s10, s10, 23
	s_and_b32 s8, s8, 0x80000000
	s_add_i32 s10, s10, 0x37800000
	s_lshl_b32 s9, s9, 21
	s_or_b32 s8, s8, s10
	s_or_b32 s12, s8, s9
.LBB127_2134:
	s_bfe_u32 s8, s12, 0x10010
	s_add_i32 s8, s12, s8
	s_addk_i32 s8, 0x7fff
	s_lshr_b32 s10, s8, 16
	v_cmp_o_f32_e64 s[8:9], s12, s12
	s_and_b64 s[8:9], s[8:9], exec
	s_cselect_b32 s8, s10, 0x7fc0
	v_mov_b32_e32 v0, s8
	global_store_short v[6:7], v0, off
	s_mov_b64 s[8:9], 0
	s_mov_b64 s[12:13], -1
.LBB127_2135:
	s_mov_b64 s[14:15], 0
.LBB127_2136:
	s_mov_b64 s[10:11], 0
	s_and_b64 vcc, exec, s[14:15]
	s_cbranch_vccz .LBB127_2138
; %bb.2137:
	v_mov_b32_e32 v0, 11
	v_cmp_ne_u16_sdwa s[8:9], s16, v0 src0_sel:BYTE_1 src1_sel:DWORD
	s_mov_b64 s[10:11], -1
.LBB127_2138:
	s_and_b64 vcc, exec, s[8:9]
	s_cbranch_vccnz .LBB127_2159
; %bb.2139:
	s_andn2_b64 vcc, exec, s[10:11]
	s_cbranch_vccnz .LBB127_2151
.LBB127_2140:
	v_mov_b32_e32 v0, 0x80
	v_cmp_lt_i16_sdwa s[8:9], s16, v0 src0_sel:BYTE_0 src1_sel:DWORD
	s_and_b64 vcc, exec, s[8:9]
	s_cbranch_vccnz .LBB127_2143
; %bb.2141:
	v_cmp_eq_u16_sdwa s[8:9], s16, v0 src0_sel:BYTE_0 src1_sel:DWORD
	s_and_b64 vcc, exec, s[8:9]
	s_cbranch_vccz .LBB127_2144
; %bb.2142:
	s_mov_b64 s[10:11], 0
	s_mov_b64 s[8:9], -1
	s_branch .LBB127_2145
.LBB127_2143:
	s_mov_b64 s[12:13], -1
	s_mov_b64 s[10:11], 0
                                        ; implicit-def: $sgpr8_sgpr9
	s_branch .LBB127_2146
.LBB127_2144:
	s_mov_b64 s[10:11], -1
                                        ; implicit-def: $sgpr8_sgpr9
.LBB127_2145:
	s_mov_b64 s[12:13], 0
.LBB127_2146:
	s_and_b64 vcc, exec, s[12:13]
	s_cbranch_vccz .LBB127_2148
; %bb.2147:
	v_mov_b32_e32 v0, 0
	v_cmp_ne_u16_sdwa s[10:11], s16, v0 src0_sel:BYTE_0 src1_sel:DWORD
	s_mov_b64 s[8:9], 0
.LBB127_2148:
	s_andn2_b64 vcc, exec, s[10:11]
	s_cbranch_vccnz .LBB127_2150
; %bb.2149:
	s_and_b32 s8, s16, 3
	s_flbit_i32_b32 s10, s8
	s_min_u32 s10, s10, 32
	v_lshrrev_b16_e64 v0, 2, s16
	s_sub_i32 s11, s10, 29
	v_readfirstlane_b32 s9, v0
	s_lshl_b32 s11, s16, s11
	s_and_b32 s9, s9, 31
	s_sub_i32 s10, 30, s10
	s_and_b32 s11, s11, 3
	s_cmp_eq_u32 s9, 0
	s_cselect_b32 s9, s10, s9
	s_cselect_b32 s8, s11, s8
	s_lshl_b32 s9, s9, 23
	s_add_i32 s9, s9, 0x37800000
	s_lshl_b32 s8, s8, 21
	s_and_b32 s9, s9, 0x7f800000
	s_or_b32 s8, s9, s8
	s_cmp_lg_u32 s8, 0
	s_cselect_b64 s[8:9], -1, 0
.LBB127_2150:
	v_cndmask_b32_e64 v0, 0, 1, s[8:9]
	global_store_byte v[6:7], v0, off
	s_mov_b64 s[12:13], -1
.LBB127_2151:
	s_branch .LBB127_1977
.LBB127_2152:
	v_mov_b32_e32 v0, 5
	v_cmp_lt_i16_sdwa s[10:11], s16, v0 src0_sel:BYTE_1 src1_sel:DWORD
	s_mov_b64 s[8:9], -1
	s_and_b64 vcc, exec, s[10:11]
	s_cbranch_vccnz .LBB127_2234
; %bb.2153:
	v_mov_b32_e32 v0, 8
	v_cmp_lt_i16_sdwa s[10:11], s16, v0 src0_sel:BYTE_1 src1_sel:DWORD
	s_and_b64 vcc, exec, s[10:11]
	s_cbranch_vccnz .LBB127_2194
; %bb.2154:
	v_mov_b32_e32 v0, 9
	v_cmp_lt_i16_sdwa s[10:11], s16, v0 src0_sel:BYTE_1 src1_sel:DWORD
	s_and_b64 vcc, exec, s[10:11]
	s_cbranch_vccnz .LBB127_2181
; %bb.2155:
	v_cmp_gt_i16_sdwa s[10:11], s16, v0 src0_sel:BYTE_1 src1_sel:DWORD
	s_and_b64 vcc, exec, s[10:11]
	s_cbranch_vccz .LBB127_2168
; %bb.2156:
	v_mov_b32_e32 v0, 0x80
	v_cmp_lt_i16_sdwa s[8:9], s16, v0 src0_sel:BYTE_0 src1_sel:DWORD
	s_and_b64 vcc, exec, s[8:9]
	s_cbranch_vccnz .LBB127_2160
; %bb.2157:
	v_cmp_eq_u16_sdwa s[8:9], s16, v0 src0_sel:BYTE_0 src1_sel:DWORD
	s_and_b64 vcc, exec, s[8:9]
	s_cbranch_vccz .LBB127_2161
; %bb.2158:
	s_mov_b64 s[8:9], 0
	s_mov_b32 s11, 0x7ff80000
	s_brev_b32 s10, 4
	s_branch .LBB127_2162
.LBB127_2159:
	s_trap 2
	s_or_b64 s[0:1], s[0:1], exec
	s_cbranch_execz .LBB127_2140
	s_branch .LBB127_2151
.LBB127_2160:
	s_mov_b64 s[12:13], -1
	s_mov_b64 s[8:9], 0
                                        ; implicit-def: $sgpr10_sgpr11
	s_branch .LBB127_2163
.LBB127_2161:
	s_mov_b64 s[8:9], -1
                                        ; implicit-def: $sgpr10_sgpr11
.LBB127_2162:
	s_mov_b64 s[12:13], 0
.LBB127_2163:
	s_and_b64 vcc, exec, s[12:13]
	s_cbranch_vccz .LBB127_2165
; %bb.2164:
	v_mov_b32_e32 v0, 0
	v_cmp_ne_u16_sdwa s[8:9], s16, v0 src0_sel:BYTE_0 src1_sel:DWORD
	s_mov_b64 s[10:11], 0
.LBB127_2165:
	s_andn2_b64 vcc, exec, s[8:9]
	v_pk_mov_b32 v[0:1], s[10:11], s[10:11] op_sel:[0,1]
	s_cbranch_vccnz .LBB127_2167
; %bb.2166:
	s_and_b32 s9, s16, 3
	s_flbit_i32_b32 s11, s9
	s_min_u32 s11, s11, 32
	v_lshrrev_b16_e64 v0, 2, s16
	s_sub_i32 s12, s11, 29
	v_readfirstlane_b32 s10, v0
	s_lshl_b32 s12, s16, s12
	s_lshl_b32 s8, s16, 24
	s_and_b32 s10, s10, 31
	s_sub_i32 s11, 30, s11
	s_and_b32 s12, s12, 3
	s_cmp_eq_u32 s10, 0
	s_cselect_b32 s10, s11, s10
	s_cselect_b32 s9, s12, s9
	s_lshl_b32 s10, s10, 23
	s_and_b32 s8, s8, 0x80000000
	s_add_i32 s10, s10, 0x37800000
	s_lshl_b32 s9, s9, 21
	s_or_b32 s8, s8, s10
	s_or_b32 s8, s8, s9
	v_cvt_f64_f32_e32 v[0:1], s8
.LBB127_2167:
	v_mov_b32_e32 v2, 0
	v_mov_b32_e32 v3, v2
	global_store_dwordx4 v[6:7], v[0:3], off
	s_mov_b64 s[8:9], 0
.LBB127_2168:
	s_and_b64 vcc, exec, s[8:9]
	s_cbranch_vccz .LBB127_2180
; %bb.2169:
	v_mov_b32_e32 v0, 0x80
	v_cmp_lt_i16_sdwa s[8:9], s16, v0 src0_sel:BYTE_0 src1_sel:DWORD
	s_and_b64 vcc, exec, s[8:9]
	s_cbranch_vccnz .LBB127_2172
; %bb.2170:
	v_cmp_eq_u16_sdwa s[8:9], s16, v0 src0_sel:BYTE_0 src1_sel:DWORD
	s_and_b64 vcc, exec, s[8:9]
	s_cbranch_vccz .LBB127_2173
; %bb.2171:
	s_mov_b64 s[8:9], 0
	s_mov_b32 s12, 0x7f800001
	s_branch .LBB127_2174
.LBB127_2172:
	s_mov_b64 s[10:11], -1
	s_mov_b64 s[8:9], 0
                                        ; implicit-def: $sgpr12
	s_branch .LBB127_2175
.LBB127_2173:
	s_mov_b64 s[8:9], -1
                                        ; implicit-def: $sgpr12
.LBB127_2174:
	s_mov_b64 s[10:11], 0
.LBB127_2175:
	s_and_b64 vcc, exec, s[10:11]
	v_mov_b32_e32 v0, s12
	s_cbranch_vccz .LBB127_2177
; %bb.2176:
	s_mov_b32 s8, 0xffff
	v_mov_b32_e32 v0, s16
	v_mov_b32_e32 v1, 0
	v_and_b32_sdwa v0, s8, v0 dst_sel:DWORD dst_unused:UNUSED_PAD src0_sel:DWORD src1_sel:BYTE_0
	v_cmp_ne_u16_sdwa s[8:9], s16, v1 src0_sel:BYTE_0 src1_sel:DWORD
.LBB127_2177:
	s_andn2_b64 vcc, exec, s[8:9]
	s_cbranch_vccnz .LBB127_2179
; %bb.2178:
	s_and_b32 s9, s16, 3
	s_flbit_i32_b32 s11, s9
	s_min_u32 s11, s11, 32
	v_lshrrev_b16_e64 v0, 2, s16
	s_sub_i32 s12, s11, 29
	v_readfirstlane_b32 s10, v0
	s_lshl_b32 s12, s16, s12
	s_lshl_b32 s8, s16, 24
	s_and_b32 s10, s10, 31
	s_sub_i32 s11, 30, s11
	s_and_b32 s12, s12, 3
	s_cmp_eq_u32 s10, 0
	s_cselect_b32 s10, s11, s10
	s_cselect_b32 s9, s12, s9
	s_lshl_b32 s10, s10, 23
	s_and_b32 s8, s8, 0x80000000
	s_add_i32 s10, s10, 0x37800000
	s_lshl_b32 s9, s9, 21
	s_or_b32 s8, s8, s10
	s_or_b32 s8, s8, s9
	v_mov_b32_e32 v0, s8
.LBB127_2179:
	v_mov_b32_e32 v1, 0
	global_store_dwordx2 v[6:7], v[0:1], off
.LBB127_2180:
	s_mov_b64 s[8:9], 0
.LBB127_2181:
	s_andn2_b64 vcc, exec, s[8:9]
	s_cbranch_vccnz .LBB127_2193
; %bb.2182:
	v_mov_b32_e32 v0, 0x80
	v_cmp_lt_i16_sdwa s[8:9], s16, v0 src0_sel:BYTE_0 src1_sel:DWORD
	s_and_b64 vcc, exec, s[8:9]
	s_cbranch_vccnz .LBB127_2185
; %bb.2183:
	v_cmp_eq_u16_sdwa s[8:9], s16, v0 src0_sel:BYTE_0 src1_sel:DWORD
	s_and_b64 vcc, exec, s[8:9]
	s_cbranch_vccz .LBB127_2186
; %bb.2184:
	s_mov_b64 s[8:9], 0
	s_movk_i32 s12, 0x7e00
	s_branch .LBB127_2187
.LBB127_2185:
	s_mov_b64 s[10:11], -1
	s_mov_b64 s[8:9], 0
                                        ; implicit-def: $sgpr12
	s_branch .LBB127_2188
.LBB127_2186:
	s_mov_b64 s[8:9], -1
                                        ; implicit-def: $sgpr12
.LBB127_2187:
	s_mov_b64 s[10:11], 0
.LBB127_2188:
	s_and_b64 vcc, exec, s[10:11]
	v_mov_b32_e32 v0, s12
	s_cbranch_vccz .LBB127_2190
; %bb.2189:
	s_mov_b32 s8, 0xffff
	v_mov_b32_e32 v0, s16
	v_mov_b32_e32 v1, 0
	v_and_b32_sdwa v0, s8, v0 dst_sel:DWORD dst_unused:UNUSED_PAD src0_sel:DWORD src1_sel:BYTE_0
	v_cmp_ne_u16_sdwa s[8:9], s16, v1 src0_sel:BYTE_0 src1_sel:DWORD
.LBB127_2190:
	s_andn2_b64 vcc, exec, s[8:9]
	s_cbranch_vccnz .LBB127_2192
; %bb.2191:
	s_and_b32 s9, s16, 3
	s_flbit_i32_b32 s11, s9
	s_min_u32 s11, s11, 32
	v_lshrrev_b16_e64 v0, 2, s16
	s_sub_i32 s12, s11, 29
	v_readfirstlane_b32 s10, v0
	s_lshl_b32 s12, s16, s12
	s_lshl_b32 s8, s16, 24
	s_and_b32 s10, s10, 31
	s_sub_i32 s11, 30, s11
	s_and_b32 s12, s12, 3
	s_cmp_eq_u32 s10, 0
	s_cselect_b32 s10, s11, s10
	s_cselect_b32 s9, s12, s9
	s_lshl_b32 s10, s10, 23
	s_and_b32 s8, s8, 0x80000000
	s_add_i32 s10, s10, 0x37800000
	s_lshl_b32 s9, s9, 21
	s_or_b32 s8, s8, s10
	s_or_b32 s8, s8, s9
	v_cvt_f16_f32_e32 v0, s8
.LBB127_2192:
	global_store_dword v[6:7], v0, off
.LBB127_2193:
	s_mov_b64 s[8:9], 0
.LBB127_2194:
	s_andn2_b64 vcc, exec, s[8:9]
	s_cbranch_vccnz .LBB127_2233
; %bb.2195:
	v_mov_b32_e32 v0, 6
	v_cmp_lt_i16_sdwa s[10:11], s16, v0 src0_sel:BYTE_1 src1_sel:DWORD
	s_mov_b64 s[8:9], -1
	s_and_b64 vcc, exec, s[10:11]
	s_cbranch_vccnz .LBB127_2221
; %bb.2196:
	v_cmp_gt_i16_sdwa s[10:11], s16, v0 src0_sel:BYTE_1 src1_sel:DWORD
	s_and_b64 vcc, exec, s[10:11]
	s_cbranch_vccz .LBB127_2208
; %bb.2197:
	v_mov_b32_e32 v0, 0x80
	v_cmp_lt_i16_sdwa s[8:9], s16, v0 src0_sel:BYTE_0 src1_sel:DWORD
	s_and_b64 vcc, exec, s[8:9]
	s_cbranch_vccnz .LBB127_2200
; %bb.2198:
	v_cmp_eq_u16_sdwa s[8:9], s16, v0 src0_sel:BYTE_0 src1_sel:DWORD
	s_and_b64 vcc, exec, s[8:9]
	s_cbranch_vccz .LBB127_2201
; %bb.2199:
	s_mov_b64 s[8:9], 0
	s_mov_b32 s11, 0x7ff80000
	s_brev_b32 s10, 4
	s_branch .LBB127_2202
.LBB127_2200:
	s_mov_b64 s[12:13], -1
	s_mov_b64 s[8:9], 0
                                        ; implicit-def: $sgpr10_sgpr11
	s_branch .LBB127_2203
.LBB127_2201:
	s_mov_b64 s[8:9], -1
                                        ; implicit-def: $sgpr10_sgpr11
.LBB127_2202:
	s_mov_b64 s[12:13], 0
.LBB127_2203:
	s_and_b64 vcc, exec, s[12:13]
	s_cbranch_vccz .LBB127_2205
; %bb.2204:
	v_mov_b32_e32 v0, 0
	v_cmp_ne_u16_sdwa s[8:9], s16, v0 src0_sel:BYTE_0 src1_sel:DWORD
	s_mov_b64 s[10:11], 0
.LBB127_2205:
	s_andn2_b64 vcc, exec, s[8:9]
	v_pk_mov_b32 v[0:1], s[10:11], s[10:11] op_sel:[0,1]
	s_cbranch_vccnz .LBB127_2207
; %bb.2206:
	s_and_b32 s9, s16, 3
	s_flbit_i32_b32 s11, s9
	s_min_u32 s11, s11, 32
	v_lshrrev_b16_e64 v0, 2, s16
	s_sub_i32 s12, s11, 29
	v_readfirstlane_b32 s10, v0
	s_lshl_b32 s12, s16, s12
	s_lshl_b32 s8, s16, 24
	s_and_b32 s10, s10, 31
	s_sub_i32 s11, 30, s11
	s_and_b32 s12, s12, 3
	s_cmp_eq_u32 s10, 0
	s_cselect_b32 s10, s11, s10
	s_cselect_b32 s9, s12, s9
	s_lshl_b32 s10, s10, 23
	s_and_b32 s8, s8, 0x80000000
	s_add_i32 s10, s10, 0x37800000
	s_lshl_b32 s9, s9, 21
	s_or_b32 s8, s8, s10
	s_or_b32 s8, s8, s9
	v_cvt_f64_f32_e32 v[0:1], s8
.LBB127_2207:
	global_store_dwordx2 v[6:7], v[0:1], off
	s_mov_b64 s[8:9], 0
.LBB127_2208:
	s_and_b64 vcc, exec, s[8:9]
	s_cbranch_vccz .LBB127_2220
; %bb.2209:
	v_mov_b32_e32 v0, 0x80
	v_cmp_lt_i16_sdwa s[8:9], s16, v0 src0_sel:BYTE_0 src1_sel:DWORD
	s_and_b64 vcc, exec, s[8:9]
	s_cbranch_vccnz .LBB127_2212
; %bb.2210:
	v_cmp_eq_u16_sdwa s[8:9], s16, v0 src0_sel:BYTE_0 src1_sel:DWORD
	s_and_b64 vcc, exec, s[8:9]
	s_cbranch_vccz .LBB127_2213
; %bb.2211:
	s_mov_b64 s[8:9], 0
	s_mov_b32 s12, 0x7f800001
	s_branch .LBB127_2214
.LBB127_2212:
	s_mov_b64 s[10:11], -1
	s_mov_b64 s[8:9], 0
                                        ; implicit-def: $sgpr12
	s_branch .LBB127_2215
.LBB127_2213:
	s_mov_b64 s[8:9], -1
                                        ; implicit-def: $sgpr12
.LBB127_2214:
	s_mov_b64 s[10:11], 0
.LBB127_2215:
	s_and_b64 vcc, exec, s[10:11]
	v_mov_b32_e32 v0, s12
	s_cbranch_vccz .LBB127_2217
; %bb.2216:
	s_mov_b32 s8, 0xffff
	v_mov_b32_e32 v0, s16
	v_mov_b32_e32 v1, 0
	v_and_b32_sdwa v0, s8, v0 dst_sel:DWORD dst_unused:UNUSED_PAD src0_sel:DWORD src1_sel:BYTE_0
	v_cmp_ne_u16_sdwa s[8:9], s16, v1 src0_sel:BYTE_0 src1_sel:DWORD
.LBB127_2217:
	s_andn2_b64 vcc, exec, s[8:9]
	s_cbranch_vccnz .LBB127_2219
; %bb.2218:
	s_and_b32 s9, s16, 3
	s_flbit_i32_b32 s11, s9
	s_min_u32 s11, s11, 32
	v_lshrrev_b16_e64 v0, 2, s16
	s_sub_i32 s12, s11, 29
	v_readfirstlane_b32 s10, v0
	s_lshl_b32 s12, s16, s12
	s_lshl_b32 s8, s16, 24
	s_and_b32 s10, s10, 31
	s_sub_i32 s11, 30, s11
	s_and_b32 s12, s12, 3
	s_cmp_eq_u32 s10, 0
	s_cselect_b32 s10, s11, s10
	s_cselect_b32 s9, s12, s9
	s_lshl_b32 s10, s10, 23
	s_and_b32 s8, s8, 0x80000000
	s_add_i32 s10, s10, 0x37800000
	s_lshl_b32 s9, s9, 21
	s_or_b32 s8, s8, s10
	s_or_b32 s8, s8, s9
	v_mov_b32_e32 v0, s8
.LBB127_2219:
	global_store_dword v[6:7], v0, off
.LBB127_2220:
	s_mov_b64 s[8:9], 0
.LBB127_2221:
	s_andn2_b64 vcc, exec, s[8:9]
	s_cbranch_vccnz .LBB127_2233
; %bb.2222:
	v_mov_b32_e32 v0, 0xff
	v_and_b32_e32 v0, s16, v0
	s_movk_i32 s8, 0x80
	v_cmp_gt_i16_e32 vcc, s8, v0
	s_cbranch_vccnz .LBB127_2225
; %bb.2223:
	v_cmp_eq_u16_e32 vcc, s8, v0
	s_cbranch_vccz .LBB127_2226
; %bb.2224:
	s_mov_b64 s[8:9], 0
	s_movk_i32 s12, 0x7e00
	s_branch .LBB127_2227
.LBB127_2225:
	s_mov_b64 s[10:11], -1
	s_mov_b64 s[8:9], 0
                                        ; implicit-def: $sgpr12
	s_branch .LBB127_2228
.LBB127_2226:
	s_mov_b64 s[8:9], -1
                                        ; implicit-def: $sgpr12
.LBB127_2227:
	s_mov_b64 s[10:11], 0
.LBB127_2228:
	s_and_b64 vcc, exec, s[10:11]
	v_mov_b32_e32 v1, s12
	s_cbranch_vccz .LBB127_2230
; %bb.2229:
	v_cmp_ne_u16_e64 s[8:9], 0, v0
	v_mov_b32_e32 v1, v0
.LBB127_2230:
	s_andn2_b64 vcc, exec, s[8:9]
	s_cbranch_vccnz .LBB127_2232
; %bb.2231:
	s_and_b32 s9, s16, 3
	s_flbit_i32_b32 s11, s9
	s_min_u32 s11, s11, 32
	v_lshrrev_b16_e64 v0, 2, s16
	s_sub_i32 s12, s11, 29
	v_readfirstlane_b32 s10, v0
	s_lshl_b32 s12, s16, s12
	s_lshl_b32 s8, s16, 24
	s_and_b32 s10, s10, 31
	s_sub_i32 s11, 30, s11
	s_and_b32 s12, s12, 3
	s_cmp_eq_u32 s10, 0
	s_cselect_b32 s10, s11, s10
	s_cselect_b32 s9, s12, s9
	s_lshl_b32 s10, s10, 23
	s_and_b32 s8, s8, 0x80000000
	s_add_i32 s10, s10, 0x37800000
	s_lshl_b32 s9, s9, 21
	s_or_b32 s8, s8, s10
	s_or_b32 s8, s8, s9
	v_cvt_f16_f32_e32 v1, s8
.LBB127_2232:
	global_store_short v[6:7], v1, off
.LBB127_2233:
	s_mov_b64 s[8:9], 0
.LBB127_2234:
	s_andn2_b64 vcc, exec, s[8:9]
	s_cbranch_vccnz .LBB127_2285
; %bb.2235:
	v_mov_b32_e32 v0, 2
	v_cmp_lt_i16_sdwa s[10:11], s16, v0 src0_sel:BYTE_1 src1_sel:DWORD
	s_mov_b64 s[8:9], -1
	s_and_b64 vcc, exec, s[10:11]
	s_cbranch_vccnz .LBB127_2266
; %bb.2236:
	v_mov_b32_e32 v0, 3
	v_cmp_lt_i16_sdwa s[10:11], s16, v0 src0_sel:BYTE_1 src1_sel:DWORD
	s_and_b64 vcc, exec, s[10:11]
	s_cbranch_vccnz .LBB127_2256
; %bb.2237:
	v_cmp_gt_i16_sdwa s[10:11], s16, v0 src0_sel:BYTE_1 src1_sel:DWORD
	s_and_b64 vcc, exec, s[10:11]
	s_cbranch_vccz .LBB127_2246
; %bb.2238:
	v_mov_b32_e32 v0, 0x80
	v_cmp_lt_i16_sdwa s[8:9], s16, v0 src0_sel:BYTE_0 src1_sel:DWORD
	s_and_b64 vcc, exec, s[8:9]
	s_cbranch_vccnz .LBB127_2240
; %bb.2239:
	v_cmp_ne_u16_sdwa s[8:9], s16, v0 src0_sel:BYTE_0 src1_sel:DWORD
	s_mov_b64 s[12:13], 0
	s_mov_b64 s[10:11], 0
	s_branch .LBB127_2241
.LBB127_2240:
	s_mov_b64 s[12:13], -1
	s_mov_b64 s[8:9], 0
                                        ; implicit-def: $sgpr10_sgpr11
.LBB127_2241:
	s_andn2_b64 vcc, exec, s[12:13]
	s_cbranch_vccnz .LBB127_2243
; %bb.2242:
	v_mov_b32_e32 v0, 0
	v_cmp_ne_u16_sdwa s[8:9], s16, v0 src0_sel:BYTE_0 src1_sel:DWORD
	s_mov_b64 s[10:11], 0
.LBB127_2243:
	s_andn2_b64 vcc, exec, s[8:9]
	v_pk_mov_b32 v[0:1], s[10:11], s[10:11] op_sel:[0,1]
	s_cbranch_vccnz .LBB127_2245
; %bb.2244:
	s_and_b32 s9, s16, 3
	s_flbit_i32_b32 s11, s9
	s_min_u32 s11, s11, 32
	v_lshrrev_b16_e64 v0, 2, s16
	s_sub_i32 s12, s11, 29
	v_readfirstlane_b32 s10, v0
	s_lshl_b32 s12, s16, s12
	s_lshl_b32 s8, s16, 24
	s_and_b32 s10, s10, 31
	s_sub_i32 s11, 30, s11
	s_and_b32 s12, s12, 3
	s_cmp_eq_u32 s10, 0
	s_cselect_b32 s10, s11, s10
	s_cselect_b32 s9, s12, s9
	s_lshl_b32 s10, s10, 23
	s_and_b32 s8, s8, 0x80000000
	s_add_i32 s10, s10, 0x37800000
	s_lshl_b32 s9, s9, 21
	s_or_b32 s8, s8, s10
	s_or_b32 s8, s8, s9
	v_trunc_f32_e32 v0, s8
	s_mov_b32 s8, 0x2f800000
	v_mul_f32_e64 v1, |v0|, s8
	v_floor_f32_e32 v1, v1
	s_mov_b32 s8, 0xcf800000
	v_fma_f32 v2, v1, s8, |v0|
	v_cvt_u32_f32_e32 v2, v2
	v_cvt_u32_f32_e32 v1, v1
	v_ashrrev_i32_e32 v3, 31, v0
	v_xor_b32_e32 v0, v2, v3
	v_xor_b32_e32 v1, v1, v3
	v_sub_co_u32_e32 v0, vcc, v0, v3
	v_subb_co_u32_e32 v1, vcc, v1, v3, vcc
.LBB127_2245:
	global_store_dwordx2 v[6:7], v[0:1], off
	s_mov_b64 s[8:9], 0
.LBB127_2246:
	s_and_b64 vcc, exec, s[8:9]
	s_cbranch_vccz .LBB127_2255
; %bb.2247:
	v_mov_b32_e32 v0, 0x80
	v_cmp_lt_i16_sdwa s[8:9], s16, v0 src0_sel:BYTE_0 src1_sel:DWORD
	s_and_b64 vcc, exec, s[8:9]
	s_cbranch_vccnz .LBB127_2249
; %bb.2248:
	v_cmp_ne_u16_sdwa s[8:9], s16, v0 src0_sel:BYTE_0 src1_sel:DWORD
	s_mov_b64 s[10:11], 0
	s_mov_b32 s12, 0
	s_branch .LBB127_2250
.LBB127_2249:
	s_mov_b64 s[10:11], -1
	s_mov_b64 s[8:9], 0
                                        ; implicit-def: $sgpr12
.LBB127_2250:
	s_andn2_b64 vcc, exec, s[10:11]
	s_cbranch_vccnz .LBB127_2252
; %bb.2251:
	v_mov_b32_e32 v0, 0
	s_mov_b32 s12, 0
	v_cmp_ne_u16_sdwa s[8:9], s16, v0 src0_sel:BYTE_0 src1_sel:DWORD
.LBB127_2252:
	s_andn2_b64 vcc, exec, s[8:9]
	v_mov_b32_e32 v0, s12
	s_cbranch_vccnz .LBB127_2254
; %bb.2253:
	s_and_b32 s9, s16, 3
	s_flbit_i32_b32 s11, s9
	s_min_u32 s11, s11, 32
	v_lshrrev_b16_e64 v0, 2, s16
	s_sub_i32 s12, s11, 29
	v_readfirstlane_b32 s10, v0
	s_lshl_b32 s12, s16, s12
	s_lshl_b32 s8, s16, 24
	s_and_b32 s10, s10, 31
	s_sub_i32 s11, 30, s11
	s_and_b32 s12, s12, 3
	s_cmp_eq_u32 s10, 0
	s_cselect_b32 s10, s11, s10
	s_cselect_b32 s9, s12, s9
	s_lshl_b32 s10, s10, 23
	s_and_b32 s8, s8, 0x80000000
	s_add_i32 s10, s10, 0x37800000
	s_lshl_b32 s9, s9, 21
	s_or_b32 s8, s8, s10
	s_or_b32 s8, s8, s9
	v_cvt_i32_f32_e32 v0, s8
.LBB127_2254:
	global_store_dword v[6:7], v0, off
.LBB127_2255:
	s_mov_b64 s[8:9], 0
.LBB127_2256:
	s_andn2_b64 vcc, exec, s[8:9]
	s_cbranch_vccnz .LBB127_2265
; %bb.2257:
	v_mov_b32_e32 v0, 0x80
	v_cmp_lt_i16_sdwa s[8:9], s16, v0 src0_sel:BYTE_0 src1_sel:DWORD
	s_and_b64 vcc, exec, s[8:9]
	s_cbranch_vccnz .LBB127_2259
; %bb.2258:
	v_cmp_ne_u16_sdwa s[8:9], s16, v0 src0_sel:BYTE_0 src1_sel:DWORD
	s_mov_b64 s[10:11], 0
	s_mov_b32 s12, 0
	s_branch .LBB127_2260
.LBB127_2259:
	s_mov_b64 s[10:11], -1
	s_mov_b64 s[8:9], 0
                                        ; implicit-def: $sgpr12
.LBB127_2260:
	s_andn2_b64 vcc, exec, s[10:11]
	s_cbranch_vccnz .LBB127_2262
; %bb.2261:
	v_mov_b32_e32 v0, 0
	s_mov_b32 s12, 0
	v_cmp_ne_u16_sdwa s[8:9], s16, v0 src0_sel:BYTE_0 src1_sel:DWORD
.LBB127_2262:
	s_andn2_b64 vcc, exec, s[8:9]
	v_mov_b32_e32 v0, s12
	s_cbranch_vccnz .LBB127_2264
; %bb.2263:
	s_and_b32 s9, s16, 3
	s_flbit_i32_b32 s11, s9
	s_min_u32 s11, s11, 32
	v_lshrrev_b16_e64 v0, 2, s16
	s_sub_i32 s12, s11, 29
	v_readfirstlane_b32 s10, v0
	s_lshl_b32 s12, s16, s12
	s_lshl_b32 s8, s16, 24
	s_and_b32 s10, s10, 31
	s_sub_i32 s11, 30, s11
	s_and_b32 s12, s12, 3
	s_cmp_eq_u32 s10, 0
	s_cselect_b32 s10, s11, s10
	s_cselect_b32 s9, s12, s9
	s_lshl_b32 s10, s10, 23
	s_and_b32 s8, s8, 0x80000000
	s_add_i32 s10, s10, 0x37800000
	s_lshl_b32 s9, s9, 21
	s_or_b32 s8, s8, s10
	s_or_b32 s8, s8, s9
	v_cvt_i32_f32_e32 v0, s8
.LBB127_2264:
	global_store_short v[6:7], v0, off
.LBB127_2265:
	s_mov_b64 s[8:9], 0
.LBB127_2266:
	s_andn2_b64 vcc, exec, s[8:9]
	s_cbranch_vccnz .LBB127_2285
; %bb.2267:
	v_mov_b32_e32 v0, 0
	v_cmp_gt_i16_sdwa s[10:11], s16, v0 src0_sel:BYTE_1 src1_sel:DWORD
	s_mov_b64 s[8:9], -1
	s_and_b64 vcc, exec, s[10:11]
	s_cbranch_vccz .LBB127_2276
; %bb.2268:
	v_mov_b32_e32 v0, 0x80
	v_cmp_lt_i16_sdwa s[8:9], s16, v0 src0_sel:BYTE_0 src1_sel:DWORD
	s_and_b64 vcc, exec, s[8:9]
	s_cbranch_vccnz .LBB127_2270
; %bb.2269:
	v_cmp_ne_u16_sdwa s[8:9], s16, v0 src0_sel:BYTE_0 src1_sel:DWORD
	s_mov_b64 s[10:11], 0
	s_mov_b32 s12, 0
	s_branch .LBB127_2271
.LBB127_2270:
	s_mov_b64 s[10:11], -1
	s_mov_b64 s[8:9], 0
                                        ; implicit-def: $sgpr12
.LBB127_2271:
	s_andn2_b64 vcc, exec, s[10:11]
	s_cbranch_vccnz .LBB127_2273
; %bb.2272:
	v_mov_b32_e32 v0, 0
	s_mov_b32 s12, 0
	v_cmp_ne_u16_sdwa s[8:9], s16, v0 src0_sel:BYTE_0 src1_sel:DWORD
.LBB127_2273:
	s_andn2_b64 vcc, exec, s[8:9]
	v_mov_b32_e32 v0, s12
	s_cbranch_vccnz .LBB127_2275
; %bb.2274:
	s_and_b32 s9, s16, 3
	s_flbit_i32_b32 s11, s9
	s_min_u32 s11, s11, 32
	v_lshrrev_b16_e64 v0, 2, s16
	s_sub_i32 s12, s11, 29
	v_readfirstlane_b32 s10, v0
	s_lshl_b32 s12, s16, s12
	s_lshl_b32 s8, s16, 24
	s_and_b32 s10, s10, 31
	s_sub_i32 s11, 30, s11
	s_and_b32 s12, s12, 3
	s_cmp_eq_u32 s10, 0
	s_cselect_b32 s10, s11, s10
	s_cselect_b32 s9, s12, s9
	s_lshl_b32 s10, s10, 23
	s_and_b32 s8, s8, 0x80000000
	s_add_i32 s10, s10, 0x37800000
	s_lshl_b32 s9, s9, 21
	s_or_b32 s8, s8, s10
	s_or_b32 s8, s8, s9
	v_cvt_i32_f32_e32 v0, s8
.LBB127_2275:
	global_store_byte v[6:7], v0, off
	s_mov_b64 s[8:9], 0
.LBB127_2276:
	s_and_b64 vcc, exec, s[8:9]
	s_cbranch_vccz .LBB127_2285
; %bb.2277:
	v_mov_b32_e32 v0, 0x80
	v_cmp_lt_i16_sdwa s[8:9], s16, v0 src0_sel:BYTE_0 src1_sel:DWORD
	s_and_b64 vcc, exec, s[8:9]
	s_cbranch_vccnz .LBB127_2279
; %bb.2278:
	v_cmp_ne_u16_sdwa s[8:9], s16, v0 src0_sel:BYTE_0 src1_sel:DWORD
	s_mov_b64 s[10:11], 0
	s_mov_b32 s12, 0
	s_branch .LBB127_2280
.LBB127_2279:
	s_mov_b64 s[10:11], -1
	s_mov_b64 s[8:9], 0
                                        ; implicit-def: $sgpr12
.LBB127_2280:
	s_andn2_b64 vcc, exec, s[10:11]
	s_cbranch_vccnz .LBB127_2282
; %bb.2281:
	v_mov_b32_e32 v0, 0
	s_mov_b32 s12, 0
	v_cmp_ne_u16_sdwa s[8:9], s16, v0 src0_sel:BYTE_0 src1_sel:DWORD
.LBB127_2282:
	s_andn2_b64 vcc, exec, s[8:9]
	v_mov_b32_e32 v0, s12
	s_cbranch_vccnz .LBB127_2284
; %bb.2283:
	s_and_b32 s9, s16, 3
	s_flbit_i32_b32 s11, s9
	s_min_u32 s11, s11, 32
	v_lshrrev_b16_e64 v0, 2, s16
	s_sub_i32 s12, s11, 29
	v_readfirstlane_b32 s10, v0
	s_lshl_b32 s12, s16, s12
	s_lshl_b32 s8, s16, 24
	s_and_b32 s10, s10, 31
	s_sub_i32 s11, 30, s11
	s_and_b32 s12, s12, 3
	s_cmp_eq_u32 s10, 0
	s_cselect_b32 s10, s11, s10
	s_cselect_b32 s9, s12, s9
	s_lshl_b32 s10, s10, 23
	s_and_b32 s8, s8, 0x80000000
	s_add_i32 s10, s10, 0x37800000
	s_lshl_b32 s9, s9, 21
	s_or_b32 s8, s8, s10
	s_or_b32 s8, s8, s9
	v_trunc_f32_e32 v0, s8
	s_mov_b32 s8, 0x2f800000
	v_mul_f32_e64 v1, |v0|, s8
	v_floor_f32_e32 v1, v1
	s_mov_b32 s8, 0xcf800000
	v_fma_f32 v1, v1, s8, |v0|
	v_cvt_u32_f32_e32 v1, v1
	v_ashrrev_i32_e32 v0, 31, v0
	v_xor_b32_e32 v1, v1, v0
	v_sub_u32_e32 v0, v1, v0
.LBB127_2284:
	global_store_byte v[6:7], v0, off
.LBB127_2285:
	s_branch .LBB127_1978
.LBB127_2286:
	s_mov_b64 s[2:3], 0
	s_mov_b64 s[4:5], 0
                                        ; implicit-def: $vgpr4_vgpr5
                                        ; implicit-def: $vgpr6
.LBB127_2287:
	s_and_b64 s[28:29], s[4:5], exec
	s_andn2_b64 s[4:5], s[6:7], exec
	s_and_b64 s[0:1], s[0:1], exec
	s_and_b64 s[2:3], s[2:3], exec
	s_or_b64 s[6:7], s[4:5], s[0:1]
.LBB127_2288:
	s_or_b64 exec, exec, s[26:27]
	s_and_saveexec_b64 s[0:1], s[6:7]
	s_cbranch_execz .LBB127_2291
; %bb.2289:
	; divergent unreachable
	s_or_b64 exec, exec, s[0:1]
	s_and_saveexec_b64 s[0:1], s[28:29]
	s_cbranch_execnz .LBB127_2292
.LBB127_2290:
	s_or_b64 exec, exec, s[0:1]
	s_and_saveexec_b64 s[0:1], s[2:3]
	s_cbranch_execnz .LBB127_2300
	s_branch .LBB127_2429
.LBB127_2291:
	s_or_b64 exec, exec, s[0:1]
	s_and_saveexec_b64 s[0:1], s[28:29]
	s_cbranch_execz .LBB127_2290
.LBB127_2292:
	v_mov_b32_e32 v0, 0x80
	v_cmp_lt_i16_sdwa s[4:5], s16, v0 src0_sel:BYTE_0 src1_sel:DWORD
	s_and_b64 vcc, exec, s[4:5]
	s_cbranch_vccnz .LBB127_2295
; %bb.2293:
	v_cmp_eq_u16_sdwa s[4:5], s16, v0 src0_sel:BYTE_0 src1_sel:DWORD
	s_and_b64 vcc, exec, s[4:5]
	s_cbranch_vccz .LBB127_2307
; %bb.2294:
	s_mov_b64 s[6:7], 0
	s_mov_b64 s[4:5], -1
	s_branch .LBB127_2297
.LBB127_2295:
	s_mov_b64 s[6:7], 0
                                        ; implicit-def: $sgpr4_sgpr5
	s_cbranch_execz .LBB127_2297
; %bb.2296:
	v_mov_b32_e32 v0, 0
	v_cmp_ne_u16_sdwa s[6:7], s16, v0 src0_sel:BYTE_0 src1_sel:DWORD
	s_mov_b64 s[4:5], 0
.LBB127_2297:
	s_andn2_b64 vcc, exec, s[6:7]
	s_cbranch_vccnz .LBB127_2299
; %bb.2298:
	s_and_b32 s4, s16, 3
	s_flbit_i32_b32 s6, s4
	s_min_u32 s6, s6, 32
	v_lshrrev_b16_e64 v0, 2, s16
	s_sub_i32 s7, s6, 29
	v_readfirstlane_b32 s5, v0
	s_lshl_b32 s7, s16, s7
	s_and_b32 s5, s5, 31
	s_sub_i32 s6, 30, s6
	s_and_b32 s7, s7, 3
	s_cmp_eq_u32 s5, 0
	s_cselect_b32 s5, s6, s5
	s_cselect_b32 s4, s7, s4
	s_lshl_b32 s5, s5, 23
	s_add_i32 s5, s5, 0x37800000
	s_lshl_b32 s4, s4, 21
	s_and_b32 s5, s5, 0x7f800000
	s_or_b32 s4, s5, s4
	s_cmp_lg_u32 s4, 0
	s_cselect_b64 s[4:5], -1, 0
.LBB127_2299:
	v_cndmask_b32_e64 v0, 0, 1, s[4:5]
	global_store_byte v[4:5], v0, off
	s_or_b64 exec, exec, s[0:1]
	s_and_saveexec_b64 s[0:1], s[2:3]
	s_cbranch_execz .LBB127_2429
.LBB127_2300:
	v_cmp_gt_i16_e32 vcc, 5, v6
	s_mov_b64 s[0:1], -1
	s_cbranch_vccnz .LBB127_2382
; %bb.2301:
	v_cmp_gt_i16_e32 vcc, 8, v6
	s_cbranch_vccnz .LBB127_2334
; %bb.2302:
	v_cmp_gt_i16_e32 vcc, 9, v6
	s_cbranch_vccnz .LBB127_2329
; %bb.2303:
	v_cmp_lt_i16_e32 vcc, 9, v6
	s_cbranch_vccz .LBB127_2316
; %bb.2304:
	v_mov_b32_e32 v0, 0x80
	v_cmp_lt_i16_sdwa s[0:1], s16, v0 src0_sel:BYTE_0 src1_sel:DWORD
	s_and_b64 vcc, exec, s[0:1]
	s_cbranch_vccnz .LBB127_2308
; %bb.2305:
	v_cmp_eq_u16_sdwa s[0:1], s16, v0 src0_sel:BYTE_0 src1_sel:DWORD
	s_and_b64 vcc, exec, s[0:1]
	s_cbranch_vccz .LBB127_2309
; %bb.2306:
	s_mov_b64 s[0:1], 0
	s_mov_b32 s3, 0x7ff80000
	s_brev_b32 s2, 4
	s_branch .LBB127_2310
.LBB127_2307:
	s_mov_b64 s[6:7], -1
                                        ; implicit-def: $sgpr4_sgpr5
	s_branch .LBB127_2297
.LBB127_2308:
	s_mov_b64 s[4:5], -1
	s_mov_b64 s[0:1], 0
                                        ; implicit-def: $sgpr2_sgpr3
	s_branch .LBB127_2311
.LBB127_2309:
	s_mov_b64 s[0:1], -1
                                        ; implicit-def: $sgpr2_sgpr3
.LBB127_2310:
	s_mov_b64 s[4:5], 0
.LBB127_2311:
	s_and_b64 vcc, exec, s[4:5]
	s_cbranch_vccz .LBB127_2313
; %bb.2312:
	v_mov_b32_e32 v0, 0
	v_cmp_ne_u16_sdwa s[0:1], s16, v0 src0_sel:BYTE_0 src1_sel:DWORD
	s_mov_b64 s[2:3], 0
.LBB127_2313:
	s_andn2_b64 vcc, exec, s[0:1]
	v_pk_mov_b32 v[0:1], s[2:3], s[2:3] op_sel:[0,1]
	s_cbranch_vccnz .LBB127_2315
; %bb.2314:
	s_and_b32 s1, s16, 3
	s_flbit_i32_b32 s3, s1
	s_min_u32 s3, s3, 32
	v_lshrrev_b16_e64 v0, 2, s16
	s_sub_i32 s4, s3, 29
	v_readfirstlane_b32 s2, v0
	s_lshl_b32 s4, s16, s4
	s_lshl_b32 s0, s16, 24
	s_and_b32 s2, s2, 31
	s_sub_i32 s3, 30, s3
	s_and_b32 s4, s4, 3
	s_cmp_eq_u32 s2, 0
	s_cselect_b32 s2, s3, s2
	s_cselect_b32 s1, s4, s1
	s_lshl_b32 s2, s2, 23
	s_and_b32 s0, s0, 0x80000000
	s_add_i32 s2, s2, 0x37800000
	s_lshl_b32 s1, s1, 21
	s_or_b32 s0, s0, s2
	s_or_b32 s0, s0, s1
	v_cvt_f64_f32_e32 v[0:1], s0
.LBB127_2315:
	v_mov_b32_e32 v2, 0
	v_mov_b32_e32 v3, v2
	global_store_dwordx4 v[4:5], v[0:3], off
	s_mov_b64 s[0:1], 0
.LBB127_2316:
	s_and_b64 vcc, exec, s[0:1]
	s_cbranch_vccz .LBB127_2328
; %bb.2317:
	v_mov_b32_e32 v0, 0x80
	v_cmp_lt_i16_sdwa s[0:1], s16, v0 src0_sel:BYTE_0 src1_sel:DWORD
	s_and_b64 vcc, exec, s[0:1]
	s_cbranch_vccnz .LBB127_2320
; %bb.2318:
	v_cmp_eq_u16_sdwa s[0:1], s16, v0 src0_sel:BYTE_0 src1_sel:DWORD
	s_and_b64 vcc, exec, s[0:1]
	s_cbranch_vccz .LBB127_2321
; %bb.2319:
	s_mov_b64 s[0:1], 0
	s_mov_b32 s4, 0x7f800001
	s_branch .LBB127_2322
.LBB127_2320:
	s_mov_b64 s[2:3], -1
	s_mov_b64 s[0:1], 0
                                        ; implicit-def: $sgpr4
	s_branch .LBB127_2323
.LBB127_2321:
	s_mov_b64 s[0:1], -1
                                        ; implicit-def: $sgpr4
.LBB127_2322:
	s_mov_b64 s[2:3], 0
.LBB127_2323:
	s_and_b64 vcc, exec, s[2:3]
	v_mov_b32_e32 v0, s4
	s_cbranch_vccz .LBB127_2325
; %bb.2324:
	s_mov_b32 s0, 0xffff
	v_mov_b32_e32 v0, s16
	v_mov_b32_e32 v1, 0
	v_and_b32_sdwa v0, s0, v0 dst_sel:DWORD dst_unused:UNUSED_PAD src0_sel:DWORD src1_sel:BYTE_0
	v_cmp_ne_u16_sdwa s[0:1], s16, v1 src0_sel:BYTE_0 src1_sel:DWORD
.LBB127_2325:
	s_andn2_b64 vcc, exec, s[0:1]
	s_cbranch_vccnz .LBB127_2327
; %bb.2326:
	s_and_b32 s1, s16, 3
	s_flbit_i32_b32 s3, s1
	s_min_u32 s3, s3, 32
	v_lshrrev_b16_e64 v0, 2, s16
	s_sub_i32 s4, s3, 29
	v_readfirstlane_b32 s2, v0
	s_lshl_b32 s4, s16, s4
	s_lshl_b32 s0, s16, 24
	s_and_b32 s2, s2, 31
	s_sub_i32 s3, 30, s3
	s_and_b32 s4, s4, 3
	s_cmp_eq_u32 s2, 0
	s_cselect_b32 s2, s3, s2
	s_cselect_b32 s1, s4, s1
	s_lshl_b32 s2, s2, 23
	s_and_b32 s0, s0, 0x80000000
	s_add_i32 s2, s2, 0x37800000
	s_lshl_b32 s1, s1, 21
	s_or_b32 s0, s0, s2
	s_or_b32 s0, s0, s1
	v_mov_b32_e32 v0, s0
.LBB127_2327:
	v_mov_b32_e32 v1, 0
	global_store_dwordx2 v[4:5], v[0:1], off
.LBB127_2328:
	s_mov_b64 s[0:1], 0
.LBB127_2329:
	s_andn2_b64 vcc, exec, s[0:1]
	s_cbranch_vccnz .LBB127_2333
; %bb.2330:
	v_mov_b32_e32 v0, 0x80
	v_cmp_lt_i16_sdwa s[0:1], s16, v0 src0_sel:BYTE_0 src1_sel:DWORD
	s_and_b64 vcc, exec, s[0:1]
	s_cbranch_vccnz .LBB127_2340
; %bb.2331:
	v_cmp_eq_u16_sdwa s[0:1], s16, v0 src0_sel:BYTE_0 src1_sel:DWORD
	s_and_b64 vcc, exec, s[0:1]
	s_cbranch_vccz .LBB127_2341
; %bb.2332:
	s_mov_b64 s[0:1], 0
	s_movk_i32 s4, 0x7e00
	s_branch .LBB127_2342
.LBB127_2333:
	s_mov_b64 s[0:1], 0
.LBB127_2334:
	s_andn2_b64 vcc, exec, s[0:1]
	s_cbranch_vccnz .LBB127_2381
.LBB127_2335:
	v_cmp_gt_i16_e32 vcc, 6, v6
	s_mov_b64 s[0:1], -1
	s_cbranch_vccnz .LBB127_2369
; %bb.2336:
	v_cmp_lt_i16_e32 vcc, 6, v6
	s_cbranch_vccz .LBB127_2356
; %bb.2337:
	v_mov_b32_e32 v0, 0x80
	v_cmp_lt_i16_sdwa s[0:1], s16, v0 src0_sel:BYTE_0 src1_sel:DWORD
	s_and_b64 vcc, exec, s[0:1]
	s_cbranch_vccnz .LBB127_2348
; %bb.2338:
	v_cmp_eq_u16_sdwa s[0:1], s16, v0 src0_sel:BYTE_0 src1_sel:DWORD
	s_and_b64 vcc, exec, s[0:1]
	s_cbranch_vccz .LBB127_2349
; %bb.2339:
	s_mov_b64 s[0:1], 0
	s_mov_b32 s3, 0x7ff80000
	s_brev_b32 s2, 4
	s_branch .LBB127_2350
.LBB127_2340:
	s_mov_b64 s[2:3], -1
	s_mov_b64 s[0:1], 0
                                        ; implicit-def: $sgpr4
	s_branch .LBB127_2343
.LBB127_2341:
	s_mov_b64 s[0:1], -1
                                        ; implicit-def: $sgpr4
.LBB127_2342:
	s_mov_b64 s[2:3], 0
.LBB127_2343:
	s_and_b64 vcc, exec, s[2:3]
	v_mov_b32_e32 v0, s4
	s_cbranch_vccz .LBB127_2345
; %bb.2344:
	s_mov_b32 s0, 0xffff
	v_mov_b32_e32 v0, s16
	v_mov_b32_e32 v1, 0
	v_and_b32_sdwa v0, s0, v0 dst_sel:DWORD dst_unused:UNUSED_PAD src0_sel:DWORD src1_sel:BYTE_0
	v_cmp_ne_u16_sdwa s[0:1], s16, v1 src0_sel:BYTE_0 src1_sel:DWORD
.LBB127_2345:
	s_andn2_b64 vcc, exec, s[0:1]
	s_cbranch_vccnz .LBB127_2347
; %bb.2346:
	s_and_b32 s1, s16, 3
	s_flbit_i32_b32 s3, s1
	s_min_u32 s3, s3, 32
	v_lshrrev_b16_e64 v0, 2, s16
	s_sub_i32 s4, s3, 29
	v_readfirstlane_b32 s2, v0
	s_lshl_b32 s4, s16, s4
	s_lshl_b32 s0, s16, 24
	s_and_b32 s2, s2, 31
	s_sub_i32 s3, 30, s3
	s_and_b32 s4, s4, 3
	s_cmp_eq_u32 s2, 0
	s_cselect_b32 s2, s3, s2
	s_cselect_b32 s1, s4, s1
	s_lshl_b32 s2, s2, 23
	s_and_b32 s0, s0, 0x80000000
	s_add_i32 s2, s2, 0x37800000
	s_lshl_b32 s1, s1, 21
	s_or_b32 s0, s0, s2
	s_or_b32 s0, s0, s1
	v_cvt_f16_f32_e32 v0, s0
.LBB127_2347:
	global_store_dword v[4:5], v0, off
	s_cbranch_execz .LBB127_2335
	s_branch .LBB127_2381
.LBB127_2348:
	s_mov_b64 s[4:5], -1
	s_mov_b64 s[0:1], 0
                                        ; implicit-def: $sgpr2_sgpr3
	s_branch .LBB127_2351
.LBB127_2349:
	s_mov_b64 s[0:1], -1
                                        ; implicit-def: $sgpr2_sgpr3
.LBB127_2350:
	s_mov_b64 s[4:5], 0
.LBB127_2351:
	s_and_b64 vcc, exec, s[4:5]
	s_cbranch_vccz .LBB127_2353
; %bb.2352:
	v_mov_b32_e32 v0, 0
	v_cmp_ne_u16_sdwa s[0:1], s16, v0 src0_sel:BYTE_0 src1_sel:DWORD
	s_mov_b64 s[2:3], 0
.LBB127_2353:
	s_andn2_b64 vcc, exec, s[0:1]
	v_pk_mov_b32 v[0:1], s[2:3], s[2:3] op_sel:[0,1]
	s_cbranch_vccnz .LBB127_2355
; %bb.2354:
	s_and_b32 s1, s16, 3
	s_flbit_i32_b32 s3, s1
	s_min_u32 s3, s3, 32
	v_lshrrev_b16_e64 v0, 2, s16
	s_sub_i32 s4, s3, 29
	v_readfirstlane_b32 s2, v0
	s_lshl_b32 s4, s16, s4
	s_lshl_b32 s0, s16, 24
	s_and_b32 s2, s2, 31
	s_sub_i32 s3, 30, s3
	s_and_b32 s4, s4, 3
	s_cmp_eq_u32 s2, 0
	s_cselect_b32 s2, s3, s2
	s_cselect_b32 s1, s4, s1
	s_lshl_b32 s2, s2, 23
	s_and_b32 s0, s0, 0x80000000
	s_add_i32 s2, s2, 0x37800000
	s_lshl_b32 s1, s1, 21
	s_or_b32 s0, s0, s2
	s_or_b32 s0, s0, s1
	v_cvt_f64_f32_e32 v[0:1], s0
.LBB127_2355:
	global_store_dwordx2 v[4:5], v[0:1], off
	s_mov_b64 s[0:1], 0
.LBB127_2356:
	s_and_b64 vcc, exec, s[0:1]
	s_cbranch_vccz .LBB127_2368
; %bb.2357:
	v_mov_b32_e32 v0, 0x80
	v_cmp_lt_i16_sdwa s[0:1], s16, v0 src0_sel:BYTE_0 src1_sel:DWORD
	s_and_b64 vcc, exec, s[0:1]
	s_cbranch_vccnz .LBB127_2360
; %bb.2358:
	v_cmp_eq_u16_sdwa s[0:1], s16, v0 src0_sel:BYTE_0 src1_sel:DWORD
	s_and_b64 vcc, exec, s[0:1]
	s_cbranch_vccz .LBB127_2361
; %bb.2359:
	s_mov_b64 s[0:1], 0
	s_mov_b32 s4, 0x7f800001
	s_branch .LBB127_2362
.LBB127_2360:
	s_mov_b64 s[2:3], -1
	s_mov_b64 s[0:1], 0
                                        ; implicit-def: $sgpr4
	s_branch .LBB127_2363
.LBB127_2361:
	s_mov_b64 s[0:1], -1
                                        ; implicit-def: $sgpr4
.LBB127_2362:
	s_mov_b64 s[2:3], 0
.LBB127_2363:
	s_and_b64 vcc, exec, s[2:3]
	v_mov_b32_e32 v0, s4
	s_cbranch_vccz .LBB127_2365
; %bb.2364:
	s_mov_b32 s0, 0xffff
	v_mov_b32_e32 v0, s16
	v_mov_b32_e32 v1, 0
	v_and_b32_sdwa v0, s0, v0 dst_sel:DWORD dst_unused:UNUSED_PAD src0_sel:DWORD src1_sel:BYTE_0
	v_cmp_ne_u16_sdwa s[0:1], s16, v1 src0_sel:BYTE_0 src1_sel:DWORD
.LBB127_2365:
	s_andn2_b64 vcc, exec, s[0:1]
	s_cbranch_vccnz .LBB127_2367
; %bb.2366:
	s_and_b32 s1, s16, 3
	s_flbit_i32_b32 s3, s1
	s_min_u32 s3, s3, 32
	v_lshrrev_b16_e64 v0, 2, s16
	s_sub_i32 s4, s3, 29
	v_readfirstlane_b32 s2, v0
	s_lshl_b32 s4, s16, s4
	s_lshl_b32 s0, s16, 24
	s_and_b32 s2, s2, 31
	s_sub_i32 s3, 30, s3
	s_and_b32 s4, s4, 3
	s_cmp_eq_u32 s2, 0
	s_cselect_b32 s2, s3, s2
	s_cselect_b32 s1, s4, s1
	s_lshl_b32 s2, s2, 23
	s_and_b32 s0, s0, 0x80000000
	s_add_i32 s2, s2, 0x37800000
	s_lshl_b32 s1, s1, 21
	s_or_b32 s0, s0, s2
	s_or_b32 s0, s0, s1
	v_mov_b32_e32 v0, s0
.LBB127_2367:
	global_store_dword v[4:5], v0, off
.LBB127_2368:
	s_mov_b64 s[0:1], 0
.LBB127_2369:
	s_andn2_b64 vcc, exec, s[0:1]
	s_cbranch_vccnz .LBB127_2381
; %bb.2370:
	v_mov_b32_e32 v0, 0xff
	v_and_b32_e32 v0, s16, v0
	s_movk_i32 s0, 0x80
	v_cmp_gt_i16_e32 vcc, s0, v0
	s_cbranch_vccnz .LBB127_2373
; %bb.2371:
	v_cmp_eq_u16_e32 vcc, s0, v0
	s_cbranch_vccz .LBB127_2374
; %bb.2372:
	s_mov_b64 s[0:1], 0
	s_movk_i32 s4, 0x7e00
	s_branch .LBB127_2375
.LBB127_2373:
	s_mov_b64 s[2:3], -1
	s_mov_b64 s[0:1], 0
                                        ; implicit-def: $sgpr4
	s_branch .LBB127_2376
.LBB127_2374:
	s_mov_b64 s[0:1], -1
                                        ; implicit-def: $sgpr4
.LBB127_2375:
	s_mov_b64 s[2:3], 0
.LBB127_2376:
	s_and_b64 vcc, exec, s[2:3]
	v_mov_b32_e32 v1, s4
	s_cbranch_vccz .LBB127_2378
; %bb.2377:
	v_cmp_ne_u16_e64 s[0:1], 0, v0
	v_mov_b32_e32 v1, v0
.LBB127_2378:
	s_andn2_b64 vcc, exec, s[0:1]
	s_cbranch_vccnz .LBB127_2380
; %bb.2379:
	s_and_b32 s1, s16, 3
	s_flbit_i32_b32 s3, s1
	s_min_u32 s3, s3, 32
	v_lshrrev_b16_e64 v0, 2, s16
	s_sub_i32 s4, s3, 29
	v_readfirstlane_b32 s2, v0
	s_lshl_b32 s4, s16, s4
	s_lshl_b32 s0, s16, 24
	s_and_b32 s2, s2, 31
	s_sub_i32 s3, 30, s3
	s_and_b32 s4, s4, 3
	s_cmp_eq_u32 s2, 0
	s_cselect_b32 s2, s3, s2
	s_cselect_b32 s1, s4, s1
	s_lshl_b32 s2, s2, 23
	s_and_b32 s0, s0, 0x80000000
	s_add_i32 s2, s2, 0x37800000
	s_lshl_b32 s1, s1, 21
	s_or_b32 s0, s0, s2
	s_or_b32 s0, s0, s1
	v_cvt_f16_f32_e32 v1, s0
.LBB127_2380:
	global_store_short v[4:5], v1, off
.LBB127_2381:
	s_mov_b64 s[0:1], 0
.LBB127_2382:
	s_andn2_b64 vcc, exec, s[0:1]
	s_cbranch_vccnz .LBB127_2429
; %bb.2383:
	v_cmp_gt_i16_e32 vcc, 2, v6
	s_mov_b64 s[0:1], -1
	s_cbranch_vccnz .LBB127_2408
; %bb.2384:
	v_cmp_gt_i16_e32 vcc, 3, v6
	s_cbranch_vccnz .LBB127_2404
; %bb.2385:
	v_cmp_lt_i16_e32 vcc, 3, v6
	s_cbranch_vccz .LBB127_2394
; %bb.2386:
	v_mov_b32_e32 v0, 0x80
	v_cmp_lt_i16_sdwa s[0:1], s16, v0 src0_sel:BYTE_0 src1_sel:DWORD
	s_and_b64 vcc, exec, s[0:1]
	s_cbranch_vccnz .LBB127_2388
; %bb.2387:
	v_cmp_ne_u16_sdwa s[0:1], s16, v0 src0_sel:BYTE_0 src1_sel:DWORD
	s_mov_b64 s[4:5], 0
	s_mov_b64 s[2:3], 0
	s_branch .LBB127_2389
.LBB127_2388:
	s_mov_b64 s[4:5], -1
	s_mov_b64 s[0:1], 0
                                        ; implicit-def: $sgpr2_sgpr3
.LBB127_2389:
	s_andn2_b64 vcc, exec, s[4:5]
	s_cbranch_vccnz .LBB127_2391
; %bb.2390:
	v_mov_b32_e32 v0, 0
	v_cmp_ne_u16_sdwa s[0:1], s16, v0 src0_sel:BYTE_0 src1_sel:DWORD
	s_mov_b64 s[2:3], 0
.LBB127_2391:
	s_andn2_b64 vcc, exec, s[0:1]
	v_pk_mov_b32 v[0:1], s[2:3], s[2:3] op_sel:[0,1]
	s_cbranch_vccnz .LBB127_2393
; %bb.2392:
	s_and_b32 s1, s16, 3
	s_flbit_i32_b32 s3, s1
	s_min_u32 s3, s3, 32
	v_lshrrev_b16_e64 v0, 2, s16
	s_sub_i32 s4, s3, 29
	v_readfirstlane_b32 s2, v0
	s_lshl_b32 s4, s16, s4
	s_lshl_b32 s0, s16, 24
	s_and_b32 s2, s2, 31
	s_sub_i32 s3, 30, s3
	s_and_b32 s4, s4, 3
	s_cmp_eq_u32 s2, 0
	s_cselect_b32 s2, s3, s2
	s_cselect_b32 s1, s4, s1
	s_lshl_b32 s2, s2, 23
	s_and_b32 s0, s0, 0x80000000
	s_add_i32 s2, s2, 0x37800000
	s_lshl_b32 s1, s1, 21
	s_or_b32 s0, s0, s2
	s_or_b32 s0, s0, s1
	v_trunc_f32_e32 v0, s0
	s_mov_b32 s0, 0x2f800000
	v_mul_f32_e64 v1, |v0|, s0
	v_floor_f32_e32 v1, v1
	s_mov_b32 s0, 0xcf800000
	v_fma_f32 v2, v1, s0, |v0|
	v_cvt_u32_f32_e32 v2, v2
	v_cvt_u32_f32_e32 v1, v1
	v_ashrrev_i32_e32 v3, 31, v0
	v_xor_b32_e32 v0, v2, v3
	v_xor_b32_e32 v1, v1, v3
	v_sub_co_u32_e32 v0, vcc, v0, v3
	v_subb_co_u32_e32 v1, vcc, v1, v3, vcc
.LBB127_2393:
	global_store_dwordx2 v[4:5], v[0:1], off
	s_mov_b64 s[0:1], 0
.LBB127_2394:
	s_and_b64 vcc, exec, s[0:1]
	s_cbranch_vccz .LBB127_2403
; %bb.2395:
	v_mov_b32_e32 v0, 0x80
	v_cmp_lt_i16_sdwa s[0:1], s16, v0 src0_sel:BYTE_0 src1_sel:DWORD
	s_and_b64 vcc, exec, s[0:1]
	s_cbranch_vccnz .LBB127_2397
; %bb.2396:
	v_cmp_ne_u16_sdwa s[0:1], s16, v0 src0_sel:BYTE_0 src1_sel:DWORD
	s_mov_b64 s[2:3], 0
	s_mov_b32 s4, 0
	s_branch .LBB127_2398
.LBB127_2397:
	s_mov_b64 s[2:3], -1
	s_mov_b64 s[0:1], 0
                                        ; implicit-def: $sgpr4
.LBB127_2398:
	s_andn2_b64 vcc, exec, s[2:3]
	s_cbranch_vccnz .LBB127_2400
; %bb.2399:
	v_mov_b32_e32 v0, 0
	s_mov_b32 s4, 0
	v_cmp_ne_u16_sdwa s[0:1], s16, v0 src0_sel:BYTE_0 src1_sel:DWORD
.LBB127_2400:
	s_andn2_b64 vcc, exec, s[0:1]
	v_mov_b32_e32 v0, s4
	s_cbranch_vccnz .LBB127_2402
; %bb.2401:
	s_and_b32 s1, s16, 3
	s_flbit_i32_b32 s3, s1
	s_min_u32 s3, s3, 32
	v_lshrrev_b16_e64 v0, 2, s16
	s_sub_i32 s4, s3, 29
	v_readfirstlane_b32 s2, v0
	s_lshl_b32 s4, s16, s4
	s_lshl_b32 s0, s16, 24
	s_and_b32 s2, s2, 31
	s_sub_i32 s3, 30, s3
	s_and_b32 s4, s4, 3
	s_cmp_eq_u32 s2, 0
	s_cselect_b32 s2, s3, s2
	s_cselect_b32 s1, s4, s1
	s_lshl_b32 s2, s2, 23
	s_and_b32 s0, s0, 0x80000000
	s_add_i32 s2, s2, 0x37800000
	s_lshl_b32 s1, s1, 21
	s_or_b32 s0, s0, s2
	s_or_b32 s0, s0, s1
	v_cvt_i32_f32_e32 v0, s0
.LBB127_2402:
	global_store_dword v[4:5], v0, off
.LBB127_2403:
	s_mov_b64 s[0:1], 0
.LBB127_2404:
	s_andn2_b64 vcc, exec, s[0:1]
	s_cbranch_vccnz .LBB127_2407
; %bb.2405:
	v_mov_b32_e32 v0, 0x80
	v_cmp_lt_i16_sdwa s[0:1], s16, v0 src0_sel:BYTE_0 src1_sel:DWORD
	s_and_b64 vcc, exec, s[0:1]
	s_cbranch_vccnz .LBB127_2412
; %bb.2406:
	v_cmp_ne_u16_sdwa s[0:1], s16, v0 src0_sel:BYTE_0 src1_sel:DWORD
	s_mov_b64 s[2:3], 0
	s_mov_b32 s4, 0
	s_branch .LBB127_2413
.LBB127_2407:
	s_mov_b64 s[0:1], 0
.LBB127_2408:
	s_andn2_b64 vcc, exec, s[0:1]
	s_cbranch_vccnz .LBB127_2429
.LBB127_2409:
	v_cmp_lt_i16_e32 vcc, 0, v6
	s_mov_b64 s[0:1], -1
	s_cbranch_vccz .LBB127_2424
; %bb.2410:
	v_mov_b32_e32 v0, 0x80
	v_cmp_lt_i16_sdwa s[0:1], s16, v0 src0_sel:BYTE_0 src1_sel:DWORD
	s_and_b64 vcc, exec, s[0:1]
	s_cbranch_vccnz .LBB127_2418
; %bb.2411:
	v_cmp_ne_u16_sdwa s[0:1], s16, v0 src0_sel:BYTE_0 src1_sel:DWORD
	s_mov_b64 s[2:3], 0
	s_mov_b32 s4, 0
	s_branch .LBB127_2419
.LBB127_2412:
	s_mov_b64 s[2:3], -1
	s_mov_b64 s[0:1], 0
                                        ; implicit-def: $sgpr4
.LBB127_2413:
	s_andn2_b64 vcc, exec, s[2:3]
	s_cbranch_vccnz .LBB127_2415
; %bb.2414:
	v_mov_b32_e32 v0, 0
	s_mov_b32 s4, 0
	v_cmp_ne_u16_sdwa s[0:1], s16, v0 src0_sel:BYTE_0 src1_sel:DWORD
.LBB127_2415:
	s_andn2_b64 vcc, exec, s[0:1]
	v_mov_b32_e32 v0, s4
	s_cbranch_vccnz .LBB127_2417
; %bb.2416:
	s_and_b32 s1, s16, 3
	s_flbit_i32_b32 s3, s1
	s_min_u32 s3, s3, 32
	v_lshrrev_b16_e64 v0, 2, s16
	s_sub_i32 s4, s3, 29
	v_readfirstlane_b32 s2, v0
	s_lshl_b32 s4, s16, s4
	s_lshl_b32 s0, s16, 24
	s_and_b32 s2, s2, 31
	s_sub_i32 s3, 30, s3
	s_and_b32 s4, s4, 3
	s_cmp_eq_u32 s2, 0
	s_cselect_b32 s2, s3, s2
	s_cselect_b32 s1, s4, s1
	s_lshl_b32 s2, s2, 23
	s_and_b32 s0, s0, 0x80000000
	s_add_i32 s2, s2, 0x37800000
	s_lshl_b32 s1, s1, 21
	s_or_b32 s0, s0, s2
	s_or_b32 s0, s0, s1
	v_cvt_i32_f32_e32 v0, s0
.LBB127_2417:
	global_store_short v[4:5], v0, off
	s_cbranch_execnz .LBB127_2429
	s_branch .LBB127_2409
.LBB127_2418:
	s_mov_b64 s[2:3], -1
	s_mov_b64 s[0:1], 0
                                        ; implicit-def: $sgpr4
.LBB127_2419:
	s_andn2_b64 vcc, exec, s[2:3]
	s_cbranch_vccnz .LBB127_2421
; %bb.2420:
	v_mov_b32_e32 v0, 0
	s_mov_b32 s4, 0
	v_cmp_ne_u16_sdwa s[0:1], s16, v0 src0_sel:BYTE_0 src1_sel:DWORD
.LBB127_2421:
	s_andn2_b64 vcc, exec, s[0:1]
	v_mov_b32_e32 v0, s4
	s_cbranch_vccnz .LBB127_2423
; %bb.2422:
	s_and_b32 s1, s16, 3
	s_flbit_i32_b32 s3, s1
	s_min_u32 s3, s3, 32
	v_lshrrev_b16_e64 v0, 2, s16
	s_sub_i32 s4, s3, 29
	v_readfirstlane_b32 s2, v0
	s_lshl_b32 s4, s16, s4
	s_lshl_b32 s0, s16, 24
	s_and_b32 s2, s2, 31
	s_sub_i32 s3, 30, s3
	s_and_b32 s4, s4, 3
	s_cmp_eq_u32 s2, 0
	s_cselect_b32 s2, s3, s2
	s_cselect_b32 s1, s4, s1
	s_lshl_b32 s2, s2, 23
	s_and_b32 s0, s0, 0x80000000
	s_add_i32 s2, s2, 0x37800000
	s_lshl_b32 s1, s1, 21
	s_or_b32 s0, s0, s2
	s_or_b32 s0, s0, s1
	v_cvt_i32_f32_e32 v0, s0
.LBB127_2423:
	global_store_byte v[4:5], v0, off
	s_mov_b64 s[0:1], 0
.LBB127_2424:
	s_and_b64 vcc, exec, s[0:1]
	s_cbranch_vccz .LBB127_2429
; %bb.2425:
	v_mov_b32_e32 v0, 0x80
	v_cmp_lt_i16_sdwa s[0:1], s16, v0 src0_sel:BYTE_0 src1_sel:DWORD
	s_and_b64 vcc, exec, s[0:1]
	s_cbranch_vccnz .LBB127_2430
; %bb.2426:
	v_cmp_ne_u16_sdwa s[0:1], s16, v0 src0_sel:BYTE_0 src1_sel:DWORD
	s_mov_b32 s4, 0
	s_cbranch_execz .LBB127_2431
; %bb.2427:
	s_andn2_b64 vcc, exec, s[0:1]
	v_mov_b32_e32 v0, s4
	s_cbranch_vccnz .LBB127_2432
.LBB127_2428:
	s_and_b32 s1, s16, 3
	s_flbit_i32_b32 s3, s1
	s_min_u32 s3, s3, 32
	v_lshrrev_b16_e64 v0, 2, s16
	s_sub_i32 s4, s3, 29
	v_readfirstlane_b32 s2, v0
	s_lshl_b32 s4, s16, s4
	s_lshl_b32 s0, s16, 24
	s_and_b32 s2, s2, 31
	s_sub_i32 s3, 30, s3
	s_and_b32 s4, s4, 3
	s_cmp_eq_u32 s2, 0
	s_cselect_b32 s2, s3, s2
	s_cselect_b32 s1, s4, s1
	s_lshl_b32 s2, s2, 23
	s_and_b32 s0, s0, 0x80000000
	s_add_i32 s2, s2, 0x37800000
	s_lshl_b32 s1, s1, 21
	s_or_b32 s0, s0, s2
	s_or_b32 s0, s0, s1
	v_trunc_f32_e32 v0, s0
	s_mov_b32 s0, 0x2f800000
	v_mul_f32_e64 v1, |v0|, s0
	v_floor_f32_e32 v1, v1
	s_mov_b32 s0, 0xcf800000
	v_fma_f32 v1, v1, s0, |v0|
	v_cvt_u32_f32_e32 v1, v1
	v_ashrrev_i32_e32 v0, 31, v0
	v_xor_b32_e32 v1, v1, v0
	v_sub_u32_e32 v0, v1, v0
	global_store_byte v[4:5], v0, off
	s_endpgm
.LBB127_2429:
	s_endpgm
.LBB127_2430:
	s_mov_b64 s[0:1], 0
                                        ; implicit-def: $sgpr4
.LBB127_2431:
	v_mov_b32_e32 v0, 0
	s_mov_b32 s4, 0
	v_cmp_ne_u16_sdwa s[0:1], s16, v0 src0_sel:BYTE_0 src1_sel:DWORD
	s_andn2_b64 vcc, exec, s[0:1]
	v_mov_b32_e32 v0, s4
	s_cbranch_vccz .LBB127_2428
.LBB127_2432:
	global_store_byte v[4:5], v0, off
	s_endpgm
.LBB127_2433:
	s_mov_b64 s[2:3], -1
                                        ; implicit-def: $sgpr10
.LBB127_2434:
	s_mov_b64 s[8:9], 0
.LBB127_2435:
	s_and_b64 vcc, exec, s[8:9]
	s_cbranch_vccz .LBB127_2437
; %bb.2436:
	v_mov_b32_e32 v0, 0
	s_mov_b32 s10, 0
	v_cmp_ne_u16_sdwa s[2:3], s16, v0 src0_sel:BYTE_0 src1_sel:DWORD
.LBB127_2437:
	s_andn2_b64 vcc, exec, s[2:3]
	s_cbranch_vccnz .LBB127_2439
; %bb.2438:
	s_and_b32 s3, s16, 3
	s_flbit_i32_b32 s9, s3
	s_min_u32 s9, s9, 32
	v_lshrrev_b16_e64 v0, 2, s16
	s_sub_i32 s10, s9, 29
	v_readfirstlane_b32 s8, v0
	s_lshl_b32 s10, s16, s10
	s_lshl_b32 s2, s16, 24
	s_and_b32 s8, s8, 31
	s_sub_i32 s9, 30, s9
	s_and_b32 s10, s10, 3
	s_cmp_eq_u32 s8, 0
	s_cselect_b32 s8, s9, s8
	s_cselect_b32 s3, s10, s3
	s_lshl_b32 s8, s8, 23
	s_and_b32 s2, s2, 0x80000000
	s_add_i32 s8, s8, 0x37800000
	s_lshl_b32 s3, s3, 21
	s_or_b32 s2, s2, s8
	s_or_b32 s10, s2, s3
.LBB127_2439:
	s_bfe_u32 s2, s10, 0x10010
	s_add_i32 s2, s10, s2
	s_addk_i32 s2, 0x7fff
	s_lshr_b32 s8, s2, 16
	v_cmp_o_f32_e64 s[2:3], s10, s10
	s_and_b64 s[2:3], s[2:3], exec
	s_cselect_b32 s2, s8, 0x7fc0
	v_mov_b32_e32 v0, s2
	global_store_dword v[4:5], v0, off
	s_mov_b64 s[2:3], 0
.LBB127_2440:
	s_mov_b64 s[8:9], 0
.LBB127_2441:
	s_and_b64 vcc, exec, s[8:9]
	s_cbranch_vccz .LBB127_2454
; %bb.2442:
	v_cmp_eq_u16_e32 vcc, 44, v6
	s_mov_b64 s[2:3], -1
	s_cbranch_vccz .LBB127_2454
; %bb.2443:
	v_mov_b32_e32 v0, 0xff
	v_and_b32_e32 v0, s16, v0
	s_movk_i32 s2, 0x80
	v_cmp_gt_i16_e32 vcc, s2, v0
	v_readfirstlane_b32 s11, v0
	s_cbranch_vccnz .LBB127_2446
; %bb.2444:
	v_mov_b32_e32 v0, 0x80
	v_cmp_eq_u16_e32 vcc, s11, v0
	s_cbranch_vccz .LBB127_2447
; %bb.2445:
	s_mov_b64 s[2:3], 0
	s_mov_b32 s10, 0x7f800001
	s_branch .LBB127_2448
.LBB127_2446:
	s_mov_b64 s[8:9], -1
	s_mov_b64 s[2:3], 0
                                        ; implicit-def: $sgpr10
	s_branch .LBB127_2449
.LBB127_2447:
	s_mov_b64 s[2:3], -1
                                        ; implicit-def: $sgpr10
.LBB127_2448:
	s_mov_b64 s[8:9], 0
.LBB127_2449:
	s_and_b64 vcc, exec, s[8:9]
	s_cbranch_vccz .LBB127_2459
; %bb.2450:
	s_and_b32 s10, 0xffff, s11
	v_cmp_ne_u16_e64 s[2:3], s11, 0
	s_andn2_b64 vcc, exec, s[2:3]
	s_cbranch_vccz .LBB127_2460
.LBB127_2451:
	s_bfe_u32 s2, s10, 0x80017
	s_cmpk_eq_i32 s2, 0xff
	v_mov_b32_e32 v0, 0xff
	s_cbranch_scc1 .LBB127_2453
.LBB127_2452:
	s_lshr_b32 s11, s10, 23
	s_bitcmp1_b32 s10, 22
	s_cselect_b64 s[8:9], -1, 0
	s_and_b32 s3, s10, 0x3fffff
	s_or_b32 s2, s2, s3
	s_cmp_lg_u32 s2, 0
	s_cselect_b64 s[2:3], -1, 0
	s_and_b64 s[2:3], s[8:9], s[2:3]
	v_cndmask_b32_e64 v0, 0, 1, s[2:3]
	v_add_u32_e32 v0, s11, v0
.LBB127_2453:
	global_store_byte v[4:5], v0, off
	s_mov_b64 s[2:3], 0
.LBB127_2454:
	s_mov_b64 s[8:9], 0
.LBB127_2455:
	s_and_b64 vcc, exec, s[8:9]
	s_cbranch_vccz .LBB127_2467
; %bb.2456:
	v_cmp_eq_u16_e32 vcc, 29, v6
	s_mov_b64 s[2:3], -1
	s_cbranch_vccz .LBB127_2467
; %bb.2457:
	v_mov_b32_e32 v0, 0x80
	v_cmp_lt_i16_sdwa s[2:3], s16, v0 src0_sel:BYTE_0 src1_sel:DWORD
	s_and_b64 vcc, exec, s[2:3]
	s_cbranch_vccnz .LBB127_2461
; %bb.2458:
	v_cmp_ne_u16_sdwa s[2:3], s16, v0 src0_sel:BYTE_0 src1_sel:DWORD
	s_mov_b64 s[10:11], 0
	s_mov_b64 s[8:9], 0
	s_branch .LBB127_2462
.LBB127_2459:
	s_andn2_b64 vcc, exec, s[2:3]
	s_cbranch_vccnz .LBB127_2451
.LBB127_2460:
	s_and_b32 s2, s16, 3
	s_flbit_i32_b32 s8, s2
	s_min_u32 s8, s8, 32
	v_lshrrev_b16_e64 v0, 2, s16
	s_sub_i32 s9, s8, 29
	v_readfirstlane_b32 s3, v0
	s_lshl_b32 s9, s16, s9
	s_and_b32 s3, s3, 31
	s_sub_i32 s8, 30, s8
	s_and_b32 s9, s9, 3
	s_cmp_eq_u32 s3, 0
	s_cselect_b32 s3, s8, s3
	s_cselect_b32 s2, s9, s2
	s_lshl_b32 s2, s2, 21
	s_lshl_b32 s3, s3, 23
	s_or_b32 s2, s3, s2
	s_add_i32 s10, s2, 0x37800000
	s_bfe_u32 s2, s10, 0x80017
	s_cmpk_eq_i32 s2, 0xff
	v_mov_b32_e32 v0, 0xff
	s_cbranch_scc0 .LBB127_2452
	s_branch .LBB127_2453
.LBB127_2461:
	s_mov_b64 s[10:11], -1
	s_mov_b64 s[2:3], 0
                                        ; implicit-def: $sgpr8_sgpr9
.LBB127_2462:
	s_andn2_b64 vcc, exec, s[10:11]
	s_cbranch_vccnz .LBB127_2464
; %bb.2463:
	v_mov_b32_e32 v0, 0
	v_cmp_ne_u16_sdwa s[2:3], s16, v0 src0_sel:BYTE_0 src1_sel:DWORD
	s_mov_b64 s[8:9], 0
.LBB127_2464:
	s_andn2_b64 vcc, exec, s[2:3]
	v_pk_mov_b32 v[0:1], s[8:9], s[8:9] op_sel:[0,1]
	s_cbranch_vccnz .LBB127_2466
; %bb.2465:
	s_and_b32 s3, s16, 3
	s_flbit_i32_b32 s9, s3
	s_min_u32 s9, s9, 32
	v_lshrrev_b16_e64 v0, 2, s16
	s_sub_i32 s10, s9, 29
	v_readfirstlane_b32 s8, v0
	s_lshl_b32 s10, s16, s10
	s_lshl_b32 s2, s16, 24
	s_and_b32 s8, s8, 31
	s_sub_i32 s9, 30, s9
	s_and_b32 s10, s10, 3
	s_cmp_eq_u32 s8, 0
	s_cselect_b32 s8, s9, s8
	s_cselect_b32 s3, s10, s3
	s_lshl_b32 s8, s8, 23
	s_and_b32 s2, s2, 0x80000000
	s_add_i32 s8, s8, 0x37800000
	s_lshl_b32 s3, s3, 21
	s_or_b32 s2, s2, s8
	s_or_b32 s2, s2, s3
	v_trunc_f32_e32 v0, s2
	v_mul_f32_e32 v1, 0x2f800000, v0
	v_floor_f32_e32 v1, v1
	v_fmac_f32_e32 v0, 0xcf800000, v1
	v_cvt_u32_f32_e32 v0, v0
	v_cvt_u32_f32_e32 v1, v1
.LBB127_2466:
	global_store_dwordx2 v[4:5], v[0:1], off
	s_mov_b64 s[2:3], 0
.LBB127_2467:
	s_mov_b64 s[8:9], 0
.LBB127_2468:
	s_and_b64 vcc, exec, s[8:9]
	s_cbranch_vccz .LBB127_2509
; %bb.2469:
	v_cmp_gt_i16_e32 vcc, 27, v6
	s_mov_b64 s[8:9], -1
	s_cbranch_vccnz .LBB127_2489
; %bb.2470:
	v_cmp_lt_i16_e32 vcc, 27, v6
	s_cbranch_vccz .LBB127_2479
; %bb.2471:
	v_mov_b32_e32 v0, 0x80
	v_cmp_lt_i16_sdwa s[8:9], s16, v0 src0_sel:BYTE_0 src1_sel:DWORD
	s_and_b64 vcc, exec, s[8:9]
	s_cbranch_vccnz .LBB127_2473
; %bb.2472:
	v_cmp_ne_u16_sdwa s[8:9], s16, v0 src0_sel:BYTE_0 src1_sel:DWORD
	s_mov_b64 s[10:11], 0
	s_mov_b32 s12, 0
	s_branch .LBB127_2474
.LBB127_2473:
	s_mov_b64 s[10:11], -1
	s_mov_b64 s[8:9], 0
                                        ; implicit-def: $sgpr12
.LBB127_2474:
	s_andn2_b64 vcc, exec, s[10:11]
	s_cbranch_vccnz .LBB127_2476
; %bb.2475:
	v_mov_b32_e32 v0, 0
	s_mov_b32 s12, 0
	v_cmp_ne_u16_sdwa s[8:9], s16, v0 src0_sel:BYTE_0 src1_sel:DWORD
.LBB127_2476:
	s_andn2_b64 vcc, exec, s[8:9]
	v_mov_b32_e32 v0, s12
	s_cbranch_vccnz .LBB127_2478
; %bb.2477:
	s_and_b32 s9, s16, 3
	s_flbit_i32_b32 s11, s9
	s_min_u32 s11, s11, 32
	v_lshrrev_b16_e64 v0, 2, s16
	s_sub_i32 s12, s11, 29
	v_readfirstlane_b32 s10, v0
	s_lshl_b32 s12, s16, s12
	s_lshl_b32 s8, s16, 24
	s_and_b32 s10, s10, 31
	s_sub_i32 s11, 30, s11
	s_and_b32 s12, s12, 3
	s_cmp_eq_u32 s10, 0
	s_cselect_b32 s10, s11, s10
	s_cselect_b32 s9, s12, s9
	s_lshl_b32 s10, s10, 23
	s_and_b32 s8, s8, 0x80000000
	s_add_i32 s10, s10, 0x37800000
	s_lshl_b32 s9, s9, 21
	s_or_b32 s8, s8, s10
	s_or_b32 s8, s8, s9
	v_cvt_u32_f32_e32 v0, s8
.LBB127_2478:
	global_store_dword v[4:5], v0, off
	s_mov_b64 s[8:9], 0
.LBB127_2479:
	s_and_b64 vcc, exec, s[8:9]
	s_cbranch_vccz .LBB127_2488
; %bb.2480:
	v_mov_b32_e32 v0, 0x80
	v_cmp_lt_i16_sdwa s[8:9], s16, v0 src0_sel:BYTE_0 src1_sel:DWORD
	s_and_b64 vcc, exec, s[8:9]
	s_cbranch_vccnz .LBB127_2482
; %bb.2481:
	v_cmp_ne_u16_sdwa s[8:9], s16, v0 src0_sel:BYTE_0 src1_sel:DWORD
	s_mov_b64 s[10:11], 0
	s_mov_b32 s12, 0
	s_branch .LBB127_2483
.LBB127_2482:
	s_mov_b64 s[10:11], -1
	s_mov_b64 s[8:9], 0
                                        ; implicit-def: $sgpr12
.LBB127_2483:
	s_andn2_b64 vcc, exec, s[10:11]
	s_cbranch_vccnz .LBB127_2485
; %bb.2484:
	v_mov_b32_e32 v0, 0
	s_mov_b32 s12, 0
	v_cmp_ne_u16_sdwa s[8:9], s16, v0 src0_sel:BYTE_0 src1_sel:DWORD
.LBB127_2485:
	s_andn2_b64 vcc, exec, s[8:9]
	v_mov_b32_e32 v0, s12
	s_cbranch_vccnz .LBB127_2487
; %bb.2486:
	s_and_b32 s9, s16, 3
	s_flbit_i32_b32 s11, s9
	s_min_u32 s11, s11, 32
	v_lshrrev_b16_e64 v0, 2, s16
	s_sub_i32 s12, s11, 29
	v_readfirstlane_b32 s10, v0
	s_lshl_b32 s12, s16, s12
	s_lshl_b32 s8, s16, 24
	s_and_b32 s10, s10, 31
	s_sub_i32 s11, 30, s11
	s_and_b32 s12, s12, 3
	s_cmp_eq_u32 s10, 0
	s_cselect_b32 s10, s11, s10
	s_cselect_b32 s9, s12, s9
	s_lshl_b32 s10, s10, 23
	s_and_b32 s8, s8, 0x80000000
	s_add_i32 s10, s10, 0x37800000
	s_lshl_b32 s9, s9, 21
	s_or_b32 s8, s8, s10
	s_or_b32 s8, s8, s9
	v_cvt_u32_f32_e32 v0, s8
.LBB127_2487:
	global_store_short v[4:5], v0, off
.LBB127_2488:
	s_mov_b64 s[8:9], 0
.LBB127_2489:
	s_andn2_b64 vcc, exec, s[8:9]
	s_cbranch_vccnz .LBB127_2509
; %bb.2490:
	v_mov_b32_e32 v0, 0x80
	v_cmp_lt_i16_sdwa s[8:9], s16, v0 src0_sel:BYTE_0 src1_sel:DWORD
	s_and_b64 vcc, exec, s[8:9]
	s_cbranch_vccnz .LBB127_2493
; %bb.2491:
	v_cmp_eq_u16_sdwa s[8:9], s16, v0 src0_sel:BYTE_0 src1_sel:DWORD
	s_and_b64 vcc, exec, s[8:9]
	s_cbranch_vccz .LBB127_2494
; %bb.2492:
	s_mov_b64 s[8:9], 0
	s_mov_b32 s12, 0x7f800001
	s_branch .LBB127_2495
.LBB127_2493:
	s_mov_b64 s[10:11], -1
	s_mov_b64 s[8:9], 0
                                        ; implicit-def: $sgpr12
	s_branch .LBB127_2496
.LBB127_2494:
	s_mov_b64 s[8:9], -1
                                        ; implicit-def: $sgpr12
.LBB127_2495:
	s_mov_b64 s[10:11], 0
.LBB127_2496:
	s_and_b64 vcc, exec, s[10:11]
	s_cbranch_vccz .LBB127_2499
; %bb.2497:
	v_mov_b32_e32 v0, 0
	s_mov_b32 s12, 0
	v_cmp_ne_u16_sdwa s[8:9], s16, v0 src0_sel:BYTE_0 src1_sel:DWORD
	s_andn2_b64 vcc, exec, s[8:9]
	s_cbranch_vccz .LBB127_2500
.LBB127_2498:
	s_and_b32 s8, s12, 0x7fffffff
	s_cmp_gt_u32 s8, 0x437fffff
	v_mov_b32_e32 v1, 0x80
	s_cbranch_scc0 .LBB127_2501
	s_branch .LBB127_2508
.LBB127_2499:
	s_andn2_b64 vcc, exec, s[8:9]
	s_cbranch_vccnz .LBB127_2498
.LBB127_2500:
	s_and_b32 s9, s16, 3
	s_flbit_i32_b32 s11, s9
	s_min_u32 s11, s11, 32
	v_lshrrev_b16_e64 v0, 2, s16
	s_sub_i32 s12, s11, 29
	v_readfirstlane_b32 s10, v0
	s_lshl_b32 s12, s16, s12
	s_lshl_b32 s8, s16, 24
	s_and_b32 s10, s10, 31
	s_sub_i32 s11, 30, s11
	s_and_b32 s12, s12, 3
	s_cmp_eq_u32 s10, 0
	s_cselect_b32 s10, s11, s10
	s_cselect_b32 s9, s12, s9
	s_lshl_b32 s10, s10, 23
	s_and_b32 s8, s8, 0x80000000
	s_add_i32 s10, s10, 0x37800000
	s_lshl_b32 s9, s9, 21
	s_or_b32 s8, s8, s10
	s_or_b32 s12, s8, s9
	s_and_b32 s8, s12, 0x7fffffff
	s_cmp_gt_u32 s8, 0x437fffff
	v_mov_b32_e32 v1, 0x80
	s_cbranch_scc1 .LBB127_2508
.LBB127_2501:
	s_cmp_gt_u32 s8, 0x3bffffff
	s_cbranch_scc0 .LBB127_2503
; %bb.2502:
	s_bfe_u32 s8, s12, 0x10014
	s_add_i32 s8, s12, s8
	s_add_i32 s8, s8, 0x487ffff
	s_lshr_b32 s13, s8, 20
	s_mov_b64 s[10:11], 0
	s_mov_b64 s[8:9], -1
	s_branch .LBB127_2504
.LBB127_2503:
	s_mov_b64 s[10:11], -1
	s_mov_b64 s[8:9], 0
                                        ; implicit-def: $sgpr13
.LBB127_2504:
	s_andn2_b64 vcc, exec, s[10:11]
	v_mov_b32_e32 v0, s13
                                        ; implicit-def: $sgpr10
	s_cbranch_vccnz .LBB127_2506
; %bb.2505:
	v_mov_b32_e32 v0, 0x46000000
	v_add_f32_e64 v0, |s12|, v0
	v_and_b32_e32 v0, 0xff, v0
	s_mov_b32 s10, 0
	v_cmp_ne_u32_e64 s[8:9], 0, v0
.LBB127_2506:
	s_andn2_b64 vcc, exec, s[8:9]
	v_mov_b32_e32 v1, s10
	s_cbranch_vccnz .LBB127_2508
; %bb.2507:
	s_lshr_b32 s8, s12, 24
	s_and_b32 s8, s8, 0x80
	v_or_b32_e32 v1, s8, v0
.LBB127_2508:
	global_store_byte v[4:5], v1, off
.LBB127_2509:
	s_mov_b64 s[8:9], 0
.LBB127_2510:
	s_and_b64 vcc, exec, s[8:9]
	s_cbranch_vccz .LBB127_2578
; %bb.2511:
	v_cmp_lt_i16_e32 vcc, 22, v6
	s_mov_b64 s[4:5], -1
	s_cbranch_vccz .LBB127_2561
; %bb.2512:
	v_cmp_gt_i16_e32 vcc, 24, v6
	s_cbranch_vccnz .LBB127_2538
; %bb.2513:
	v_cmp_lt_i16_e32 vcc, 24, v6
	s_cbranch_vccz .LBB127_2515
; %bb.2514:
	v_mov_b32_e32 v0, s16
	global_store_byte v[4:5], v0, off
	s_mov_b64 s[4:5], 0
.LBB127_2515:
	s_andn2_b64 vcc, exec, s[4:5]
	s_cbranch_vccnz .LBB127_2537
; %bb.2516:
	v_mov_b32_e32 v0, 0x80
	v_cmp_lt_i16_sdwa s[4:5], s16, v0 src0_sel:BYTE_0 src1_sel:DWORD
	s_and_b64 vcc, exec, s[4:5]
	s_cbranch_vccnz .LBB127_2519
; %bb.2517:
	v_cmp_eq_u16_sdwa s[4:5], s16, v0 src0_sel:BYTE_0 src1_sel:DWORD
	s_and_b64 vcc, exec, s[4:5]
	s_cbranch_vccz .LBB127_2520
; %bb.2518:
	s_mov_b64 s[4:5], 0
	s_mov_b32 s10, 0x7f800001
	s_branch .LBB127_2521
.LBB127_2519:
	s_mov_b64 s[8:9], -1
	s_mov_b64 s[4:5], 0
                                        ; implicit-def: $sgpr10
	s_branch .LBB127_2522
.LBB127_2520:
	s_mov_b64 s[4:5], -1
                                        ; implicit-def: $sgpr10
.LBB127_2521:
	s_mov_b64 s[8:9], 0
.LBB127_2522:
	s_and_b64 vcc, exec, s[8:9]
	s_cbranch_vccz .LBB127_2527
; %bb.2523:
	v_mov_b32_e32 v0, 0
	s_mov_b32 s10, 0
	v_cmp_ne_u16_sdwa s[4:5], s16, v0 src0_sel:BYTE_0 src1_sel:DWORD
	s_andn2_b64 vcc, exec, s[4:5]
	s_cbranch_vccz .LBB127_2528
.LBB127_2524:
	s_and_b32 s8, s10, 0x7fffffff
	s_cmp_lt_u32 s8, 0x43f00000
	s_cbranch_scc0 .LBB127_2529
.LBB127_2525:
	s_cmp_gt_u32 s8, 0x3c7fffff
	s_cbranch_scc0 .LBB127_2530
; %bb.2526:
	s_bfe_u32 s4, s10, 0x10014
	s_add_i32 s4, s10, s4
	s_add_i32 s4, s4, 0x407ffff
	s_lshr_b32 s5, s4, 20
	s_and_b32 s4, s4, 0xff00000
	s_cmp_lg_u32 s4, 0x7f00000
	s_cselect_b32 s9, s5, 0x7e
	s_mov_b64 s[4:5], 0
	s_branch .LBB127_2531
.LBB127_2527:
	s_andn2_b64 vcc, exec, s[4:5]
	s_cbranch_vccnz .LBB127_2524
.LBB127_2528:
	s_and_b32 s5, s16, 3
	s_flbit_i32_b32 s9, s5
	s_min_u32 s9, s9, 32
	v_lshrrev_b16_e64 v0, 2, s16
	s_sub_i32 s10, s9, 29
	v_readfirstlane_b32 s8, v0
	s_lshl_b32 s10, s16, s10
	s_lshl_b32 s4, s16, 24
	s_and_b32 s8, s8, 31
	s_sub_i32 s9, 30, s9
	s_and_b32 s10, s10, 3
	s_cmp_eq_u32 s8, 0
	s_cselect_b32 s8, s9, s8
	s_cselect_b32 s5, s10, s5
	s_lshl_b32 s8, s8, 23
	s_and_b32 s4, s4, 0x80000000
	s_add_i32 s8, s8, 0x37800000
	s_lshl_b32 s5, s5, 21
	s_or_b32 s4, s4, s8
	s_or_b32 s10, s4, s5
	s_and_b32 s8, s10, 0x7fffffff
	s_cmp_lt_u32 s8, 0x43f00000
	s_cbranch_scc1 .LBB127_2525
.LBB127_2529:
	s_mov_b64 s[4:5], -1
                                        ; implicit-def: $vgpr0
	s_branch .LBB127_2534
.LBB127_2530:
	s_mov_b64 s[4:5], -1
                                        ; implicit-def: $sgpr9
.LBB127_2531:
	s_andn2_b64 vcc, exec, s[4:5]
	v_mov_b32_e32 v0, s9
	s_cbranch_vccnz .LBB127_2533
; %bb.2532:
	v_mov_b32_e32 v0, 0x46800000
	v_add_f32_e64 v0, |s10|, v0
.LBB127_2533:
	s_mov_b64 s[4:5], 0
.LBB127_2534:
	s_andn2_b64 vcc, exec, s[4:5]
	s_cbranch_vccnz .LBB127_2536
; %bb.2535:
	s_cmp_gt_u32 s8, 0x7f800000
	s_movk_i32 s4, 0x7f
	s_cselect_b32 s4, s4, 0x7e
	v_mov_b32_e32 v0, s4
.LBB127_2536:
	s_lshr_b32 s4, s10, 24
	s_and_b32 s4, s4, 0x80
	v_or_b32_e32 v0, s4, v0
	global_store_byte v[4:5], v0, off
.LBB127_2537:
	s_mov_b64 s[4:5], 0
.LBB127_2538:
	s_andn2_b64 vcc, exec, s[4:5]
	s_cbranch_vccnz .LBB127_2560
; %bb.2539:
	v_mov_b32_e32 v0, 0x80
	v_cmp_lt_i16_sdwa s[4:5], s16, v0 src0_sel:BYTE_0 src1_sel:DWORD
	s_and_b64 vcc, exec, s[4:5]
	s_cbranch_vccnz .LBB127_2542
; %bb.2540:
	v_cmp_eq_u16_sdwa s[4:5], s16, v0 src0_sel:BYTE_0 src1_sel:DWORD
	s_and_b64 vcc, exec, s[4:5]
	s_cbranch_vccz .LBB127_2543
; %bb.2541:
	s_mov_b64 s[4:5], 0
	s_mov_b32 s10, 0x7f800001
	s_branch .LBB127_2544
.LBB127_2542:
	s_mov_b64 s[8:9], -1
	s_mov_b64 s[4:5], 0
                                        ; implicit-def: $sgpr10
	s_branch .LBB127_2545
.LBB127_2543:
	s_mov_b64 s[4:5], -1
                                        ; implicit-def: $sgpr10
.LBB127_2544:
	s_mov_b64 s[8:9], 0
.LBB127_2545:
	s_and_b64 vcc, exec, s[8:9]
	s_cbranch_vccz .LBB127_2550
; %bb.2546:
	v_mov_b32_e32 v0, 0
	s_mov_b32 s10, 0
	v_cmp_ne_u16_sdwa s[4:5], s16, v0 src0_sel:BYTE_0 src1_sel:DWORD
	s_andn2_b64 vcc, exec, s[4:5]
	s_cbranch_vccz .LBB127_2551
.LBB127_2547:
	s_and_b32 s8, s10, 0x7fffffff
	s_cmp_lt_u32 s8, 0x47800000
	s_cbranch_scc0 .LBB127_2552
.LBB127_2548:
	s_cmp_gt_u32 s8, 0x387fffff
	s_cbranch_scc0 .LBB127_2553
; %bb.2549:
	s_bfe_u32 s4, s10, 0x10015
	s_add_i32 s4, s10, s4
	s_add_i32 s4, s4, 0x80fffff
	s_lshr_b32 s9, s4, 21
	s_mov_b64 s[4:5], 0
	s_branch .LBB127_2554
.LBB127_2550:
	s_andn2_b64 vcc, exec, s[4:5]
	s_cbranch_vccnz .LBB127_2547
.LBB127_2551:
	s_and_b32 s5, s16, 3
	s_flbit_i32_b32 s9, s5
	s_min_u32 s9, s9, 32
	v_lshrrev_b16_e64 v0, 2, s16
	s_sub_i32 s10, s9, 29
	v_readfirstlane_b32 s8, v0
	s_lshl_b32 s10, s16, s10
	s_lshl_b32 s4, s16, 24
	s_and_b32 s8, s8, 31
	s_sub_i32 s9, 30, s9
	s_and_b32 s10, s10, 3
	s_cmp_eq_u32 s8, 0
	s_cselect_b32 s8, s9, s8
	s_cselect_b32 s5, s10, s5
	s_lshl_b32 s8, s8, 23
	s_and_b32 s4, s4, 0x80000000
	s_add_i32 s8, s8, 0x37800000
	s_lshl_b32 s5, s5, 21
	s_or_b32 s4, s4, s8
	s_or_b32 s10, s4, s5
	s_and_b32 s8, s10, 0x7fffffff
	s_cmp_lt_u32 s8, 0x47800000
	s_cbranch_scc1 .LBB127_2548
.LBB127_2552:
	s_mov_b64 s[4:5], -1
                                        ; implicit-def: $vgpr0
	s_branch .LBB127_2557
.LBB127_2553:
	s_mov_b64 s[4:5], -1
                                        ; implicit-def: $sgpr9
.LBB127_2554:
	s_andn2_b64 vcc, exec, s[4:5]
	v_mov_b32_e32 v0, s9
	s_cbranch_vccnz .LBB127_2556
; %bb.2555:
	v_mov_b32_e32 v0, 0x43000000
	v_add_f32_e64 v0, |s10|, v0
.LBB127_2556:
	s_mov_b64 s[4:5], 0
.LBB127_2557:
	s_andn2_b64 vcc, exec, s[4:5]
	s_cbranch_vccnz .LBB127_2559
; %bb.2558:
	s_cmp_gt_u32 s8, 0x7f800000
	s_movk_i32 s4, 0x7f
	s_cselect_b32 s4, s4, 0x7c
	v_mov_b32_e32 v0, s4
.LBB127_2559:
	s_lshr_b32 s4, s10, 24
	s_and_b32 s4, s4, 0x80
	v_or_b32_e32 v0, s4, v0
	global_store_byte v[4:5], v0, off
.LBB127_2560:
	s_mov_b64 s[4:5], 0
.LBB127_2561:
	s_andn2_b64 vcc, exec, s[4:5]
	s_mov_b64 s[4:5], 0
	s_cbranch_vccnz .LBB127_2578
; %bb.2562:
	v_cmp_lt_i16_e32 vcc, 14, v6
	s_mov_b64 s[8:9], -1
	s_cbranch_vccz .LBB127_2576
; %bb.2563:
	v_cmp_eq_u16_e32 vcc, 15, v6
	s_mov_b64 s[2:3], -1
	s_cbranch_vccz .LBB127_2575
; %bb.2564:
	v_mov_b32_e32 v0, 0x80
	v_cmp_lt_i16_sdwa s[2:3], s16, v0 src0_sel:BYTE_0 src1_sel:DWORD
	s_and_b64 vcc, exec, s[2:3]
	s_cbranch_vccnz .LBB127_2567
; %bb.2565:
	v_cmp_eq_u16_sdwa s[2:3], s16, v0 src0_sel:BYTE_0 src1_sel:DWORD
	s_and_b64 vcc, exec, s[2:3]
	s_cbranch_vccz .LBB127_2568
; %bb.2566:
	s_mov_b64 s[2:3], 0
	s_mov_b32 s8, 0x7f800001
	s_branch .LBB127_2570
.LBB127_2567:
	s_mov_b64 s[4:5], -1
	s_mov_b64 s[2:3], 0
	s_branch .LBB127_2569
.LBB127_2568:
	s_mov_b64 s[2:3], -1
.LBB127_2569:
                                        ; implicit-def: $sgpr8
.LBB127_2570:
	s_and_b64 vcc, exec, s[4:5]
	s_cbranch_vccz .LBB127_2572
; %bb.2571:
	v_mov_b32_e32 v0, 0
	s_mov_b32 s8, 0
	v_cmp_ne_u16_sdwa s[2:3], s16, v0 src0_sel:BYTE_0 src1_sel:DWORD
.LBB127_2572:
	s_andn2_b64 vcc, exec, s[2:3]
	s_cbranch_vccnz .LBB127_2574
; %bb.2573:
	s_and_b32 s3, s16, 3
	s_flbit_i32_b32 s5, s3
	s_min_u32 s5, s5, 32
	v_lshrrev_b16_e64 v0, 2, s16
	s_sub_i32 s8, s5, 29
	v_readfirstlane_b32 s4, v0
	s_lshl_b32 s8, s16, s8
	s_lshl_b32 s2, s16, 24
	s_and_b32 s4, s4, 31
	s_sub_i32 s5, 30, s5
	s_and_b32 s8, s8, 3
	s_cmp_eq_u32 s4, 0
	s_cselect_b32 s4, s5, s4
	s_cselect_b32 s3, s8, s3
	s_lshl_b32 s4, s4, 23
	s_and_b32 s2, s2, 0x80000000
	s_add_i32 s4, s4, 0x37800000
	s_lshl_b32 s3, s3, 21
	s_or_b32 s2, s2, s4
	s_or_b32 s8, s2, s3
.LBB127_2574:
	s_bfe_u32 s2, s8, 0x10010
	s_add_i32 s2, s8, s2
	s_addk_i32 s2, 0x7fff
	s_lshr_b32 s4, s2, 16
	v_cmp_o_f32_e64 s[2:3], s8, s8
	s_and_b64 s[2:3], s[2:3], exec
	s_cselect_b32 s2, s4, 0x7fc0
	v_mov_b32_e32 v0, s2
	global_store_short v[4:5], v0, off
	s_mov_b64 s[2:3], 0
.LBB127_2575:
	s_mov_b64 s[8:9], 0
.LBB127_2576:
	s_mov_b64 s[4:5], 0
	s_and_b64 vcc, exec, s[8:9]
	s_cbranch_vccz .LBB127_2578
; %bb.2577:
	v_cmp_ne_u16_e64 s[2:3], 11, v6
	s_mov_b64 s[4:5], -1
.LBB127_2578:
	s_and_b64 vcc, exec, s[2:3]
	s_cbranch_vccnz .LBB127_2580
.LBB127_2579:
	s_mov_b64 s[2:3], 0
	s_branch .LBB127_2287
.LBB127_2580:
	s_mov_b64 s[4:5], 0
	s_or_b64 s[0:1], s[0:1], exec
	s_trap 2
	s_branch .LBB127_2579
	.section	.rodata,"a",@progbits
	.p2align	6, 0x0
	.amdhsa_kernel _ZN2at6native32elementwise_kernel_manual_unrollILi128ELi4EZNS0_15gpu_kernel_implINS0_11FillFunctorIN3c1015Float8_e5m2fnuzEEEEEvRNS_18TensorIteratorBaseERKT_EUlibE0_EEviT1_
		.amdhsa_group_segment_fixed_size 0
		.amdhsa_private_segment_fixed_size 0
		.amdhsa_kernarg_size 288
		.amdhsa_user_sgpr_count 6
		.amdhsa_user_sgpr_private_segment_buffer 1
		.amdhsa_user_sgpr_dispatch_ptr 0
		.amdhsa_user_sgpr_queue_ptr 0
		.amdhsa_user_sgpr_kernarg_segment_ptr 1
		.amdhsa_user_sgpr_dispatch_id 0
		.amdhsa_user_sgpr_flat_scratch_init 0
		.amdhsa_user_sgpr_kernarg_preload_length 0
		.amdhsa_user_sgpr_kernarg_preload_offset 0
		.amdhsa_user_sgpr_private_segment_size 0
		.amdhsa_uses_dynamic_stack 0
		.amdhsa_system_sgpr_private_segment_wavefront_offset 0
		.amdhsa_system_sgpr_workgroup_id_x 1
		.amdhsa_system_sgpr_workgroup_id_y 0
		.amdhsa_system_sgpr_workgroup_id_z 0
		.amdhsa_system_sgpr_workgroup_info 0
		.amdhsa_system_vgpr_workitem_id 0
		.amdhsa_next_free_vgpr 17
		.amdhsa_next_free_sgpr 69
		.amdhsa_accum_offset 20
		.amdhsa_reserve_vcc 1
		.amdhsa_reserve_flat_scratch 0
		.amdhsa_float_round_mode_32 0
		.amdhsa_float_round_mode_16_64 0
		.amdhsa_float_denorm_mode_32 3
		.amdhsa_float_denorm_mode_16_64 3
		.amdhsa_dx10_clamp 1
		.amdhsa_ieee_mode 1
		.amdhsa_fp16_overflow 0
		.amdhsa_tg_split 0
		.amdhsa_exception_fp_ieee_invalid_op 0
		.amdhsa_exception_fp_denorm_src 0
		.amdhsa_exception_fp_ieee_div_zero 0
		.amdhsa_exception_fp_ieee_overflow 0
		.amdhsa_exception_fp_ieee_underflow 0
		.amdhsa_exception_fp_ieee_inexact 0
		.amdhsa_exception_int_div_zero 0
	.end_amdhsa_kernel
	.section	.text._ZN2at6native32elementwise_kernel_manual_unrollILi128ELi4EZNS0_15gpu_kernel_implINS0_11FillFunctorIN3c1015Float8_e5m2fnuzEEEEEvRNS_18TensorIteratorBaseERKT_EUlibE0_EEviT1_,"axG",@progbits,_ZN2at6native32elementwise_kernel_manual_unrollILi128ELi4EZNS0_15gpu_kernel_implINS0_11FillFunctorIN3c1015Float8_e5m2fnuzEEEEEvRNS_18TensorIteratorBaseERKT_EUlibE0_EEviT1_,comdat
.Lfunc_end127:
	.size	_ZN2at6native32elementwise_kernel_manual_unrollILi128ELi4EZNS0_15gpu_kernel_implINS0_11FillFunctorIN3c1015Float8_e5m2fnuzEEEEEvRNS_18TensorIteratorBaseERKT_EUlibE0_EEviT1_, .Lfunc_end127-_ZN2at6native32elementwise_kernel_manual_unrollILi128ELi4EZNS0_15gpu_kernel_implINS0_11FillFunctorIN3c1015Float8_e5m2fnuzEEEEEvRNS_18TensorIteratorBaseERKT_EUlibE0_EEviT1_
                                        ; -- End function
	.section	.AMDGPU.csdata,"",@progbits
; Kernel info:
; codeLenInByte = 45596
; NumSgprs: 73
; NumVgprs: 17
; NumAgprs: 0
; TotalNumVgprs: 17
; ScratchSize: 0
; MemoryBound: 0
; FloatMode: 240
; IeeeMode: 1
; LDSByteSize: 0 bytes/workgroup (compile time only)
; SGPRBlocks: 9
; VGPRBlocks: 2
; NumSGPRsForWavesPerEU: 73
; NumVGPRsForWavesPerEU: 17
; AccumOffset: 20
; Occupancy: 8
; WaveLimiterHint : 1
; COMPUTE_PGM_RSRC2:SCRATCH_EN: 0
; COMPUTE_PGM_RSRC2:USER_SGPR: 6
; COMPUTE_PGM_RSRC2:TRAP_HANDLER: 0
; COMPUTE_PGM_RSRC2:TGID_X_EN: 1
; COMPUTE_PGM_RSRC2:TGID_Y_EN: 0
; COMPUTE_PGM_RSRC2:TGID_Z_EN: 0
; COMPUTE_PGM_RSRC2:TIDIG_COMP_CNT: 0
; COMPUTE_PGM_RSRC3_GFX90A:ACCUM_OFFSET: 4
; COMPUTE_PGM_RSRC3_GFX90A:TG_SPLIT: 0
	.section	.text._ZN2at6native29vectorized_elementwise_kernelILi16ENS0_11FillFunctorIN3c1013Float8_e4m3fnEEESt5arrayIPcLm1EEEEviT0_T1_,"axG",@progbits,_ZN2at6native29vectorized_elementwise_kernelILi16ENS0_11FillFunctorIN3c1013Float8_e4m3fnEEESt5arrayIPcLm1EEEEviT0_T1_,comdat
	.protected	_ZN2at6native29vectorized_elementwise_kernelILi16ENS0_11FillFunctorIN3c1013Float8_e4m3fnEEESt5arrayIPcLm1EEEEviT0_T1_ ; -- Begin function _ZN2at6native29vectorized_elementwise_kernelILi16ENS0_11FillFunctorIN3c1013Float8_e4m3fnEEESt5arrayIPcLm1EEEEviT0_T1_
	.globl	_ZN2at6native29vectorized_elementwise_kernelILi16ENS0_11FillFunctorIN3c1013Float8_e4m3fnEEESt5arrayIPcLm1EEEEviT0_T1_
	.p2align	8
	.type	_ZN2at6native29vectorized_elementwise_kernelILi16ENS0_11FillFunctorIN3c1013Float8_e4m3fnEEESt5arrayIPcLm1EEEEviT0_T1_,@function
_ZN2at6native29vectorized_elementwise_kernelILi16ENS0_11FillFunctorIN3c1013Float8_e4m3fnEEESt5arrayIPcLm1EEEEviT0_T1_: ; @_ZN2at6native29vectorized_elementwise_kernelILi16ENS0_11FillFunctorIN3c1013Float8_e4m3fnEEESt5arrayIPcLm1EEEEviT0_T1_
; %bb.0:
	s_load_dwordx4 s[0:3], s[4:5], 0x0
	s_lshl_b32 s8, s6, 12
	s_waitcnt lgkmcnt(0)
	s_sub_i32 s0, s0, s8
	s_cmpk_gt_i32 s0, 0xfff
	s_cbranch_scc0 .LBB128_4
; %bb.1:
	s_ashr_i32 s5, s8, 31
	s_add_u32 s4, s2, s8
	s_addc_u32 s5, s3, s5
	v_lshlrev_b32_e32 v1, 4, v0
	v_mov_b32_e32 v2, s5
	v_add_co_u32_e32 v5, vcc, s4, v1
	v_addc_co_u32_e32 v6, vcc, 0, v2, vcc
	v_lshlrev_b16_e64 v2, 8, s1
	v_or_b32_sdwa v7, s1, v2 dst_sel:DWORD dst_unused:UNUSED_PAD src0_sel:BYTE_0 src1_sel:DWORD
	v_lshlrev_b32_e32 v2, 16, v7
	v_mov_b32_e32 v4, s1
	v_or_b32_sdwa v2, v7, v2 dst_sel:DWORD dst_unused:UNUSED_PAD src0_sel:WORD_0 src1_sel:DWORD
	v_mov_b32_e32 v3, v2
	global_store_byte v1, v4, s[4:5] offset:14
	global_store_short v1, v7, s[4:5] offset:12
	v_mov_b32_e32 v4, v2
	global_store_dwordx3 v1, v[2:4], s[4:5]
	s_nop 0
	v_add_co_u32_e32 v2, vcc, 15, v5
	v_addc_co_u32_e32 v3, vcc, 0, v6, vcc
	s_mov_b64 s[4:5], -1
	s_cbranch_execz .LBB128_5
; %bb.2:
	s_and_saveexec_b64 s[2:3], s[4:5]
	s_cbranch_execz .LBB128_24
.LBB128_3:
	v_mov_b32_e32 v0, s1
	global_store_byte v[2:3], v0, off
	s_endpgm
.LBB128_4:
	s_mov_b64 s[4:5], 0
                                        ; implicit-def: $vgpr2_vgpr3
.LBB128_5:
	v_cmp_gt_i32_e32 vcc, s0, v0
	s_and_saveexec_b64 s[6:7], vcc
	s_cbranch_execz .LBB128_25
; %bb.6:
	v_or_b32_e32 v1, 0x100, v0
	v_or_b32_e32 v0, s8, v0
	v_mov_b32_e32 v2, s1
	global_store_byte v0, v2, s[2:3]
	v_mov_b32_e32 v0, v1
	s_or_b64 exec, exec, s[6:7]
	v_cmp_gt_i32_e32 vcc, s0, v0
	s_and_saveexec_b64 s[6:7], vcc
	s_cbranch_execnz .LBB128_26
.LBB128_7:
	s_or_b64 exec, exec, s[6:7]
	v_cmp_gt_i32_e32 vcc, s0, v0
	s_and_saveexec_b64 s[6:7], vcc
	s_cbranch_execz .LBB128_27
.LBB128_8:
	v_add_u32_e32 v1, s8, v0
	v_add_u32_e32 v0, 0x100, v0
	v_mov_b32_e32 v2, s1
	global_store_byte v1, v2, s[2:3]
	s_or_b64 exec, exec, s[6:7]
	v_cmp_gt_i32_e32 vcc, s0, v0
	s_and_saveexec_b64 s[6:7], vcc
	s_cbranch_execnz .LBB128_28
.LBB128_9:
	s_or_b64 exec, exec, s[6:7]
	v_cmp_gt_i32_e32 vcc, s0, v0
	s_and_saveexec_b64 s[6:7], vcc
	s_cbranch_execz .LBB128_29
.LBB128_10:
	v_add_u32_e32 v1, s8, v0
	v_add_u32_e32 v0, 0x100, v0
	v_mov_b32_e32 v2, s1
	global_store_byte v1, v2, s[2:3]
	s_or_b64 exec, exec, s[6:7]
	v_cmp_gt_i32_e32 vcc, s0, v0
	s_and_saveexec_b64 s[6:7], vcc
	s_cbranch_execnz .LBB128_30
.LBB128_11:
	s_or_b64 exec, exec, s[6:7]
	v_cmp_gt_i32_e32 vcc, s0, v0
	s_and_saveexec_b64 s[6:7], vcc
	s_cbranch_execz .LBB128_31
.LBB128_12:
	v_add_u32_e32 v1, s8, v0
	v_add_u32_e32 v0, 0x100, v0
	v_mov_b32_e32 v2, s1
	global_store_byte v1, v2, s[2:3]
	s_or_b64 exec, exec, s[6:7]
	v_cmp_gt_i32_e32 vcc, s0, v0
	s_and_saveexec_b64 s[6:7], vcc
	s_cbranch_execnz .LBB128_32
.LBB128_13:
	s_or_b64 exec, exec, s[6:7]
	v_cmp_gt_i32_e32 vcc, s0, v0
	s_and_saveexec_b64 s[6:7], vcc
	s_cbranch_execz .LBB128_33
.LBB128_14:
	v_add_u32_e32 v1, s8, v0
	v_add_u32_e32 v0, 0x100, v0
	v_mov_b32_e32 v2, s1
	global_store_byte v1, v2, s[2:3]
	s_or_b64 exec, exec, s[6:7]
	v_cmp_gt_i32_e32 vcc, s0, v0
	s_and_saveexec_b64 s[6:7], vcc
	s_cbranch_execnz .LBB128_34
.LBB128_15:
	s_or_b64 exec, exec, s[6:7]
	v_cmp_gt_i32_e32 vcc, s0, v0
	s_and_saveexec_b64 s[6:7], vcc
	s_cbranch_execz .LBB128_35
.LBB128_16:
	v_add_u32_e32 v1, s8, v0
	v_add_u32_e32 v0, 0x100, v0
	v_mov_b32_e32 v2, s1
	global_store_byte v1, v2, s[2:3]
	s_or_b64 exec, exec, s[6:7]
	v_cmp_gt_i32_e32 vcc, s0, v0
	s_and_saveexec_b64 s[6:7], vcc
	s_cbranch_execnz .LBB128_36
.LBB128_17:
	s_or_b64 exec, exec, s[6:7]
	v_cmp_gt_i32_e32 vcc, s0, v0
	s_and_saveexec_b64 s[6:7], vcc
	s_cbranch_execz .LBB128_37
.LBB128_18:
	v_add_u32_e32 v1, s8, v0
	v_add_u32_e32 v0, 0x100, v0
	v_mov_b32_e32 v2, s1
	global_store_byte v1, v2, s[2:3]
	s_or_b64 exec, exec, s[6:7]
	v_cmp_gt_i32_e32 vcc, s0, v0
	s_and_saveexec_b64 s[6:7], vcc
	s_cbranch_execnz .LBB128_38
.LBB128_19:
	s_or_b64 exec, exec, s[6:7]
	v_cmp_gt_i32_e32 vcc, s0, v0
	s_and_saveexec_b64 s[6:7], vcc
	s_cbranch_execz .LBB128_21
.LBB128_20:
	v_add_u32_e32 v1, s8, v0
	v_add_u32_e32 v0, 0x100, v0
	v_mov_b32_e32 v2, s1
	global_store_byte v1, v2, s[2:3]
.LBB128_21:
	s_or_b64 exec, exec, s[6:7]
	v_cmp_gt_i32_e32 vcc, s0, v0
                                        ; implicit-def: $vgpr2_vgpr3
	s_and_saveexec_b64 s[6:7], vcc
; %bb.22:
	v_add_u32_e32 v0, s8, v0
	v_mov_b32_e32 v1, s3
	v_add_co_u32_e32 v2, vcc, s2, v0
	v_addc_co_u32_e32 v3, vcc, 0, v1, vcc
	s_or_b64 s[4:5], s[4:5], exec
; %bb.23:
	s_or_b64 exec, exec, s[6:7]
	s_and_saveexec_b64 s[2:3], s[4:5]
	s_cbranch_execnz .LBB128_3
.LBB128_24:
	s_endpgm
.LBB128_25:
	s_or_b64 exec, exec, s[6:7]
	v_cmp_gt_i32_e32 vcc, s0, v0
	s_and_saveexec_b64 s[6:7], vcc
	s_cbranch_execz .LBB128_7
.LBB128_26:
	v_add_u32_e32 v1, s8, v0
	v_add_u32_e32 v0, 0x100, v0
	v_mov_b32_e32 v2, s1
	global_store_byte v1, v2, s[2:3]
	s_or_b64 exec, exec, s[6:7]
	v_cmp_gt_i32_e32 vcc, s0, v0
	s_and_saveexec_b64 s[6:7], vcc
	s_cbranch_execnz .LBB128_8
.LBB128_27:
	s_or_b64 exec, exec, s[6:7]
	v_cmp_gt_i32_e32 vcc, s0, v0
	s_and_saveexec_b64 s[6:7], vcc
	s_cbranch_execz .LBB128_9
.LBB128_28:
	v_add_u32_e32 v1, s8, v0
	v_add_u32_e32 v0, 0x100, v0
	v_mov_b32_e32 v2, s1
	global_store_byte v1, v2, s[2:3]
	s_or_b64 exec, exec, s[6:7]
	v_cmp_gt_i32_e32 vcc, s0, v0
	s_and_saveexec_b64 s[6:7], vcc
	s_cbranch_execnz .LBB128_10
.LBB128_29:
	s_or_b64 exec, exec, s[6:7]
	v_cmp_gt_i32_e32 vcc, s0, v0
	s_and_saveexec_b64 s[6:7], vcc
	s_cbranch_execz .LBB128_11
.LBB128_30:
	v_add_u32_e32 v1, s8, v0
	v_add_u32_e32 v0, 0x100, v0
	v_mov_b32_e32 v2, s1
	global_store_byte v1, v2, s[2:3]
	s_or_b64 exec, exec, s[6:7]
	v_cmp_gt_i32_e32 vcc, s0, v0
	s_and_saveexec_b64 s[6:7], vcc
	s_cbranch_execnz .LBB128_12
.LBB128_31:
	s_or_b64 exec, exec, s[6:7]
	v_cmp_gt_i32_e32 vcc, s0, v0
	s_and_saveexec_b64 s[6:7], vcc
	s_cbranch_execz .LBB128_13
.LBB128_32:
	v_add_u32_e32 v1, s8, v0
	v_add_u32_e32 v0, 0x100, v0
	v_mov_b32_e32 v2, s1
	global_store_byte v1, v2, s[2:3]
	s_or_b64 exec, exec, s[6:7]
	v_cmp_gt_i32_e32 vcc, s0, v0
	s_and_saveexec_b64 s[6:7], vcc
	s_cbranch_execnz .LBB128_14
.LBB128_33:
	s_or_b64 exec, exec, s[6:7]
	v_cmp_gt_i32_e32 vcc, s0, v0
	s_and_saveexec_b64 s[6:7], vcc
	s_cbranch_execz .LBB128_15
.LBB128_34:
	v_add_u32_e32 v1, s8, v0
	v_add_u32_e32 v0, 0x100, v0
	v_mov_b32_e32 v2, s1
	global_store_byte v1, v2, s[2:3]
	s_or_b64 exec, exec, s[6:7]
	v_cmp_gt_i32_e32 vcc, s0, v0
	s_and_saveexec_b64 s[6:7], vcc
	s_cbranch_execnz .LBB128_16
.LBB128_35:
	s_or_b64 exec, exec, s[6:7]
	v_cmp_gt_i32_e32 vcc, s0, v0
	s_and_saveexec_b64 s[6:7], vcc
	s_cbranch_execz .LBB128_17
.LBB128_36:
	v_add_u32_e32 v1, s8, v0
	v_add_u32_e32 v0, 0x100, v0
	v_mov_b32_e32 v2, s1
	global_store_byte v1, v2, s[2:3]
	s_or_b64 exec, exec, s[6:7]
	v_cmp_gt_i32_e32 vcc, s0, v0
	s_and_saveexec_b64 s[6:7], vcc
	s_cbranch_execnz .LBB128_18
.LBB128_37:
	s_or_b64 exec, exec, s[6:7]
	v_cmp_gt_i32_e32 vcc, s0, v0
	s_and_saveexec_b64 s[6:7], vcc
	s_cbranch_execz .LBB128_19
.LBB128_38:
	v_add_u32_e32 v1, s8, v0
	v_add_u32_e32 v0, 0x100, v0
	v_mov_b32_e32 v2, s1
	global_store_byte v1, v2, s[2:3]
	s_or_b64 exec, exec, s[6:7]
	v_cmp_gt_i32_e32 vcc, s0, v0
	s_and_saveexec_b64 s[6:7], vcc
	s_cbranch_execz .LBB128_21
	s_branch .LBB128_20
	.section	.rodata,"a",@progbits
	.p2align	6, 0x0
	.amdhsa_kernel _ZN2at6native29vectorized_elementwise_kernelILi16ENS0_11FillFunctorIN3c1013Float8_e4m3fnEEESt5arrayIPcLm1EEEEviT0_T1_
		.amdhsa_group_segment_fixed_size 0
		.amdhsa_private_segment_fixed_size 0
		.amdhsa_kernarg_size 16
		.amdhsa_user_sgpr_count 6
		.amdhsa_user_sgpr_private_segment_buffer 1
		.amdhsa_user_sgpr_dispatch_ptr 0
		.amdhsa_user_sgpr_queue_ptr 0
		.amdhsa_user_sgpr_kernarg_segment_ptr 1
		.amdhsa_user_sgpr_dispatch_id 0
		.amdhsa_user_sgpr_flat_scratch_init 0
		.amdhsa_user_sgpr_kernarg_preload_length 0
		.amdhsa_user_sgpr_kernarg_preload_offset 0
		.amdhsa_user_sgpr_private_segment_size 0
		.amdhsa_uses_dynamic_stack 0
		.amdhsa_system_sgpr_private_segment_wavefront_offset 0
		.amdhsa_system_sgpr_workgroup_id_x 1
		.amdhsa_system_sgpr_workgroup_id_y 0
		.amdhsa_system_sgpr_workgroup_id_z 0
		.amdhsa_system_sgpr_workgroup_info 0
		.amdhsa_system_vgpr_workitem_id 0
		.amdhsa_next_free_vgpr 8
		.amdhsa_next_free_sgpr 9
		.amdhsa_accum_offset 8
		.amdhsa_reserve_vcc 1
		.amdhsa_reserve_flat_scratch 0
		.amdhsa_float_round_mode_32 0
		.amdhsa_float_round_mode_16_64 0
		.amdhsa_float_denorm_mode_32 3
		.amdhsa_float_denorm_mode_16_64 3
		.amdhsa_dx10_clamp 1
		.amdhsa_ieee_mode 1
		.amdhsa_fp16_overflow 0
		.amdhsa_tg_split 0
		.amdhsa_exception_fp_ieee_invalid_op 0
		.amdhsa_exception_fp_denorm_src 0
		.amdhsa_exception_fp_ieee_div_zero 0
		.amdhsa_exception_fp_ieee_overflow 0
		.amdhsa_exception_fp_ieee_underflow 0
		.amdhsa_exception_fp_ieee_inexact 0
		.amdhsa_exception_int_div_zero 0
	.end_amdhsa_kernel
	.section	.text._ZN2at6native29vectorized_elementwise_kernelILi16ENS0_11FillFunctorIN3c1013Float8_e4m3fnEEESt5arrayIPcLm1EEEEviT0_T1_,"axG",@progbits,_ZN2at6native29vectorized_elementwise_kernelILi16ENS0_11FillFunctorIN3c1013Float8_e4m3fnEEESt5arrayIPcLm1EEEEviT0_T1_,comdat
.Lfunc_end128:
	.size	_ZN2at6native29vectorized_elementwise_kernelILi16ENS0_11FillFunctorIN3c1013Float8_e4m3fnEEESt5arrayIPcLm1EEEEviT0_T1_, .Lfunc_end128-_ZN2at6native29vectorized_elementwise_kernelILi16ENS0_11FillFunctorIN3c1013Float8_e4m3fnEEESt5arrayIPcLm1EEEEviT0_T1_
                                        ; -- End function
	.section	.AMDGPU.csdata,"",@progbits
; Kernel info:
; codeLenInByte = 1044
; NumSgprs: 13
; NumVgprs: 8
; NumAgprs: 0
; TotalNumVgprs: 8
; ScratchSize: 0
; MemoryBound: 0
; FloatMode: 240
; IeeeMode: 1
; LDSByteSize: 0 bytes/workgroup (compile time only)
; SGPRBlocks: 1
; VGPRBlocks: 0
; NumSGPRsForWavesPerEU: 13
; NumVGPRsForWavesPerEU: 8
; AccumOffset: 8
; Occupancy: 8
; WaveLimiterHint : 0
; COMPUTE_PGM_RSRC2:SCRATCH_EN: 0
; COMPUTE_PGM_RSRC2:USER_SGPR: 6
; COMPUTE_PGM_RSRC2:TRAP_HANDLER: 0
; COMPUTE_PGM_RSRC2:TGID_X_EN: 1
; COMPUTE_PGM_RSRC2:TGID_Y_EN: 0
; COMPUTE_PGM_RSRC2:TGID_Z_EN: 0
; COMPUTE_PGM_RSRC2:TIDIG_COMP_CNT: 0
; COMPUTE_PGM_RSRC3_GFX90A:ACCUM_OFFSET: 1
; COMPUTE_PGM_RSRC3_GFX90A:TG_SPLIT: 0
	.section	.text._ZN2at6native29vectorized_elementwise_kernelILi8ENS0_11FillFunctorIN3c1013Float8_e4m3fnEEESt5arrayIPcLm1EEEEviT0_T1_,"axG",@progbits,_ZN2at6native29vectorized_elementwise_kernelILi8ENS0_11FillFunctorIN3c1013Float8_e4m3fnEEESt5arrayIPcLm1EEEEviT0_T1_,comdat
	.protected	_ZN2at6native29vectorized_elementwise_kernelILi8ENS0_11FillFunctorIN3c1013Float8_e4m3fnEEESt5arrayIPcLm1EEEEviT0_T1_ ; -- Begin function _ZN2at6native29vectorized_elementwise_kernelILi8ENS0_11FillFunctorIN3c1013Float8_e4m3fnEEESt5arrayIPcLm1EEEEviT0_T1_
	.globl	_ZN2at6native29vectorized_elementwise_kernelILi8ENS0_11FillFunctorIN3c1013Float8_e4m3fnEEESt5arrayIPcLm1EEEEviT0_T1_
	.p2align	8
	.type	_ZN2at6native29vectorized_elementwise_kernelILi8ENS0_11FillFunctorIN3c1013Float8_e4m3fnEEESt5arrayIPcLm1EEEEviT0_T1_,@function
_ZN2at6native29vectorized_elementwise_kernelILi8ENS0_11FillFunctorIN3c1013Float8_e4m3fnEEESt5arrayIPcLm1EEEEviT0_T1_: ; @_ZN2at6native29vectorized_elementwise_kernelILi8ENS0_11FillFunctorIN3c1013Float8_e4m3fnEEESt5arrayIPcLm1EEEEviT0_T1_
; %bb.0:
	s_load_dwordx4 s[0:3], s[4:5], 0x0
	s_lshl_b32 s6, s6, 12
	s_mov_b64 s[4:5], -1
	s_waitcnt lgkmcnt(0)
	s_sub_i32 s0, s0, s6
	s_cmpk_gt_i32 s0, 0xfff
	s_cbranch_scc0 .LBB129_2
; %bb.1:
	s_ashr_i32 s5, s6, 31
	s_add_u32 s4, s2, s6
	s_addc_u32 s5, s3, s5
	s_and_b32 s7, s1, 0xff
	s_mul_i32 s8, s7, 0x1010101
	s_mov_b32 s9, s8
	v_lshlrev_b32_e32 v1, 3, v0
	v_pk_mov_b32 v[2:3], s[8:9], s[8:9] op_sel:[0,1]
	global_store_dwordx2 v1, v[2:3], s[4:5]
	global_store_dwordx2 v1, v[2:3], s[4:5] offset:2048
	s_mov_b64 s[4:5], 0
.LBB129_2:
	s_andn2_b64 vcc, exec, s[4:5]
	s_cbranch_vccnz .LBB129_20
; %bb.3:
	v_cmp_gt_i32_e32 vcc, s0, v0
	s_and_saveexec_b64 s[4:5], vcc
	s_cbranch_execnz .LBB129_21
; %bb.4:
	s_or_b64 exec, exec, s[4:5]
	v_cmp_gt_i32_e32 vcc, s0, v0
	s_and_saveexec_b64 s[4:5], vcc
	s_cbranch_execnz .LBB129_22
.LBB129_5:
	s_or_b64 exec, exec, s[4:5]
	v_cmp_gt_i32_e32 vcc, s0, v0
	s_and_saveexec_b64 s[4:5], vcc
	s_cbranch_execnz .LBB129_23
.LBB129_6:
	s_or_b64 exec, exec, s[4:5]
	v_cmp_gt_i32_e32 vcc, s0, v0
	s_and_saveexec_b64 s[4:5], vcc
	s_cbranch_execnz .LBB129_24
.LBB129_7:
	s_or_b64 exec, exec, s[4:5]
	v_cmp_gt_i32_e32 vcc, s0, v0
	s_and_saveexec_b64 s[4:5], vcc
	s_cbranch_execnz .LBB129_25
.LBB129_8:
	s_or_b64 exec, exec, s[4:5]
	v_cmp_gt_i32_e32 vcc, s0, v0
	s_and_saveexec_b64 s[4:5], vcc
	s_cbranch_execnz .LBB129_26
.LBB129_9:
	s_or_b64 exec, exec, s[4:5]
	v_cmp_gt_i32_e32 vcc, s0, v0
	s_and_saveexec_b64 s[4:5], vcc
	s_cbranch_execnz .LBB129_27
.LBB129_10:
	s_or_b64 exec, exec, s[4:5]
	v_cmp_gt_i32_e32 vcc, s0, v0
	s_and_saveexec_b64 s[4:5], vcc
	s_cbranch_execnz .LBB129_28
.LBB129_11:
	s_or_b64 exec, exec, s[4:5]
	v_cmp_gt_i32_e32 vcc, s0, v0
	s_and_saveexec_b64 s[4:5], vcc
	s_cbranch_execnz .LBB129_29
.LBB129_12:
	s_or_b64 exec, exec, s[4:5]
	v_cmp_gt_i32_e32 vcc, s0, v0
	s_and_saveexec_b64 s[4:5], vcc
	s_cbranch_execnz .LBB129_30
.LBB129_13:
	s_or_b64 exec, exec, s[4:5]
	v_cmp_gt_i32_e32 vcc, s0, v0
	s_and_saveexec_b64 s[4:5], vcc
	s_cbranch_execnz .LBB129_31
.LBB129_14:
	s_or_b64 exec, exec, s[4:5]
	v_cmp_gt_i32_e32 vcc, s0, v0
	s_and_saveexec_b64 s[4:5], vcc
	s_cbranch_execnz .LBB129_32
.LBB129_15:
	s_or_b64 exec, exec, s[4:5]
	v_cmp_gt_i32_e32 vcc, s0, v0
	s_and_saveexec_b64 s[4:5], vcc
	s_cbranch_execnz .LBB129_33
.LBB129_16:
	s_or_b64 exec, exec, s[4:5]
	v_cmp_gt_i32_e32 vcc, s0, v0
	s_and_saveexec_b64 s[4:5], vcc
	s_cbranch_execnz .LBB129_34
.LBB129_17:
	s_or_b64 exec, exec, s[4:5]
	v_cmp_gt_i32_e32 vcc, s0, v0
	s_and_saveexec_b64 s[4:5], vcc
	s_cbranch_execnz .LBB129_35
.LBB129_18:
	s_or_b64 exec, exec, s[4:5]
	v_cmp_gt_i32_e32 vcc, s0, v0
	s_and_saveexec_b64 s[4:5], vcc
	s_cbranch_execz .LBB129_20
.LBB129_19:
	v_add_u32_e32 v0, s6, v0
	v_mov_b32_e32 v1, s1
	global_store_byte v0, v1, s[2:3]
.LBB129_20:
	s_endpgm
.LBB129_21:
	v_or_b32_e32 v1, 0x100, v0
	v_or_b32_e32 v0, s6, v0
	v_mov_b32_e32 v2, s1
	global_store_byte v0, v2, s[2:3]
	v_mov_b32_e32 v0, v1
	s_or_b64 exec, exec, s[4:5]
	v_cmp_gt_i32_e32 vcc, s0, v0
	s_and_saveexec_b64 s[4:5], vcc
	s_cbranch_execz .LBB129_5
.LBB129_22:
	v_add_u32_e32 v1, s6, v0
	v_add_u32_e32 v0, 0x100, v0
	v_mov_b32_e32 v2, s1
	global_store_byte v1, v2, s[2:3]
	s_or_b64 exec, exec, s[4:5]
	v_cmp_gt_i32_e32 vcc, s0, v0
	s_and_saveexec_b64 s[4:5], vcc
	s_cbranch_execz .LBB129_6
.LBB129_23:
	v_add_u32_e32 v1, s6, v0
	v_add_u32_e32 v0, 0x100, v0
	v_mov_b32_e32 v2, s1
	global_store_byte v1, v2, s[2:3]
	s_or_b64 exec, exec, s[4:5]
	v_cmp_gt_i32_e32 vcc, s0, v0
	s_and_saveexec_b64 s[4:5], vcc
	s_cbranch_execz .LBB129_7
.LBB129_24:
	v_add_u32_e32 v1, s6, v0
	v_add_u32_e32 v0, 0x100, v0
	v_mov_b32_e32 v2, s1
	global_store_byte v1, v2, s[2:3]
	s_or_b64 exec, exec, s[4:5]
	v_cmp_gt_i32_e32 vcc, s0, v0
	s_and_saveexec_b64 s[4:5], vcc
	s_cbranch_execz .LBB129_8
.LBB129_25:
	v_add_u32_e32 v1, s6, v0
	v_add_u32_e32 v0, 0x100, v0
	v_mov_b32_e32 v2, s1
	global_store_byte v1, v2, s[2:3]
	s_or_b64 exec, exec, s[4:5]
	v_cmp_gt_i32_e32 vcc, s0, v0
	s_and_saveexec_b64 s[4:5], vcc
	s_cbranch_execz .LBB129_9
.LBB129_26:
	v_add_u32_e32 v1, s6, v0
	v_add_u32_e32 v0, 0x100, v0
	v_mov_b32_e32 v2, s1
	global_store_byte v1, v2, s[2:3]
	s_or_b64 exec, exec, s[4:5]
	v_cmp_gt_i32_e32 vcc, s0, v0
	s_and_saveexec_b64 s[4:5], vcc
	s_cbranch_execz .LBB129_10
.LBB129_27:
	v_add_u32_e32 v1, s6, v0
	v_add_u32_e32 v0, 0x100, v0
	v_mov_b32_e32 v2, s1
	global_store_byte v1, v2, s[2:3]
	s_or_b64 exec, exec, s[4:5]
	v_cmp_gt_i32_e32 vcc, s0, v0
	s_and_saveexec_b64 s[4:5], vcc
	s_cbranch_execz .LBB129_11
.LBB129_28:
	v_add_u32_e32 v1, s6, v0
	v_add_u32_e32 v0, 0x100, v0
	v_mov_b32_e32 v2, s1
	global_store_byte v1, v2, s[2:3]
	s_or_b64 exec, exec, s[4:5]
	v_cmp_gt_i32_e32 vcc, s0, v0
	s_and_saveexec_b64 s[4:5], vcc
	s_cbranch_execz .LBB129_12
.LBB129_29:
	v_add_u32_e32 v1, s6, v0
	v_add_u32_e32 v0, 0x100, v0
	v_mov_b32_e32 v2, s1
	global_store_byte v1, v2, s[2:3]
	s_or_b64 exec, exec, s[4:5]
	v_cmp_gt_i32_e32 vcc, s0, v0
	s_and_saveexec_b64 s[4:5], vcc
	s_cbranch_execz .LBB129_13
.LBB129_30:
	v_add_u32_e32 v1, s6, v0
	v_add_u32_e32 v0, 0x100, v0
	v_mov_b32_e32 v2, s1
	global_store_byte v1, v2, s[2:3]
	s_or_b64 exec, exec, s[4:5]
	v_cmp_gt_i32_e32 vcc, s0, v0
	s_and_saveexec_b64 s[4:5], vcc
	s_cbranch_execz .LBB129_14
.LBB129_31:
	v_add_u32_e32 v1, s6, v0
	v_add_u32_e32 v0, 0x100, v0
	v_mov_b32_e32 v2, s1
	global_store_byte v1, v2, s[2:3]
	s_or_b64 exec, exec, s[4:5]
	v_cmp_gt_i32_e32 vcc, s0, v0
	s_and_saveexec_b64 s[4:5], vcc
	s_cbranch_execz .LBB129_15
.LBB129_32:
	v_add_u32_e32 v1, s6, v0
	v_add_u32_e32 v0, 0x100, v0
	v_mov_b32_e32 v2, s1
	global_store_byte v1, v2, s[2:3]
	s_or_b64 exec, exec, s[4:5]
	v_cmp_gt_i32_e32 vcc, s0, v0
	s_and_saveexec_b64 s[4:5], vcc
	s_cbranch_execz .LBB129_16
.LBB129_33:
	v_add_u32_e32 v1, s6, v0
	v_add_u32_e32 v0, 0x100, v0
	v_mov_b32_e32 v2, s1
	global_store_byte v1, v2, s[2:3]
	s_or_b64 exec, exec, s[4:5]
	v_cmp_gt_i32_e32 vcc, s0, v0
	s_and_saveexec_b64 s[4:5], vcc
	s_cbranch_execz .LBB129_17
.LBB129_34:
	v_add_u32_e32 v1, s6, v0
	v_add_u32_e32 v0, 0x100, v0
	v_mov_b32_e32 v2, s1
	global_store_byte v1, v2, s[2:3]
	s_or_b64 exec, exec, s[4:5]
	v_cmp_gt_i32_e32 vcc, s0, v0
	s_and_saveexec_b64 s[4:5], vcc
	s_cbranch_execz .LBB129_18
.LBB129_35:
	v_add_u32_e32 v1, s6, v0
	v_add_u32_e32 v0, 0x100, v0
	v_mov_b32_e32 v2, s1
	global_store_byte v1, v2, s[2:3]
	s_or_b64 exec, exec, s[4:5]
	v_cmp_gt_i32_e32 vcc, s0, v0
	s_and_saveexec_b64 s[4:5], vcc
	s_cbranch_execnz .LBB129_19
	s_branch .LBB129_20
	.section	.rodata,"a",@progbits
	.p2align	6, 0x0
	.amdhsa_kernel _ZN2at6native29vectorized_elementwise_kernelILi8ENS0_11FillFunctorIN3c1013Float8_e4m3fnEEESt5arrayIPcLm1EEEEviT0_T1_
		.amdhsa_group_segment_fixed_size 0
		.amdhsa_private_segment_fixed_size 0
		.amdhsa_kernarg_size 16
		.amdhsa_user_sgpr_count 6
		.amdhsa_user_sgpr_private_segment_buffer 1
		.amdhsa_user_sgpr_dispatch_ptr 0
		.amdhsa_user_sgpr_queue_ptr 0
		.amdhsa_user_sgpr_kernarg_segment_ptr 1
		.amdhsa_user_sgpr_dispatch_id 0
		.amdhsa_user_sgpr_flat_scratch_init 0
		.amdhsa_user_sgpr_kernarg_preload_length 0
		.amdhsa_user_sgpr_kernarg_preload_offset 0
		.amdhsa_user_sgpr_private_segment_size 0
		.amdhsa_uses_dynamic_stack 0
		.amdhsa_system_sgpr_private_segment_wavefront_offset 0
		.amdhsa_system_sgpr_workgroup_id_x 1
		.amdhsa_system_sgpr_workgroup_id_y 0
		.amdhsa_system_sgpr_workgroup_id_z 0
		.amdhsa_system_sgpr_workgroup_info 0
		.amdhsa_system_vgpr_workitem_id 0
		.amdhsa_next_free_vgpr 4
		.amdhsa_next_free_sgpr 10
		.amdhsa_accum_offset 4
		.amdhsa_reserve_vcc 1
		.amdhsa_reserve_flat_scratch 0
		.amdhsa_float_round_mode_32 0
		.amdhsa_float_round_mode_16_64 0
		.amdhsa_float_denorm_mode_32 3
		.amdhsa_float_denorm_mode_16_64 3
		.amdhsa_dx10_clamp 1
		.amdhsa_ieee_mode 1
		.amdhsa_fp16_overflow 0
		.amdhsa_tg_split 0
		.amdhsa_exception_fp_ieee_invalid_op 0
		.amdhsa_exception_fp_denorm_src 0
		.amdhsa_exception_fp_ieee_div_zero 0
		.amdhsa_exception_fp_ieee_overflow 0
		.amdhsa_exception_fp_ieee_underflow 0
		.amdhsa_exception_fp_ieee_inexact 0
		.amdhsa_exception_int_div_zero 0
	.end_amdhsa_kernel
	.section	.text._ZN2at6native29vectorized_elementwise_kernelILi8ENS0_11FillFunctorIN3c1013Float8_e4m3fnEEESt5arrayIPcLm1EEEEviT0_T1_,"axG",@progbits,_ZN2at6native29vectorized_elementwise_kernelILi8ENS0_11FillFunctorIN3c1013Float8_e4m3fnEEESt5arrayIPcLm1EEEEviT0_T1_,comdat
.Lfunc_end129:
	.size	_ZN2at6native29vectorized_elementwise_kernelILi8ENS0_11FillFunctorIN3c1013Float8_e4m3fnEEESt5arrayIPcLm1EEEEviT0_T1_, .Lfunc_end129-_ZN2at6native29vectorized_elementwise_kernelILi8ENS0_11FillFunctorIN3c1013Float8_e4m3fnEEESt5arrayIPcLm1EEEEviT0_T1_
                                        ; -- End function
	.section	.AMDGPU.csdata,"",@progbits
; Kernel info:
; codeLenInByte = 984
; NumSgprs: 14
; NumVgprs: 4
; NumAgprs: 0
; TotalNumVgprs: 4
; ScratchSize: 0
; MemoryBound: 0
; FloatMode: 240
; IeeeMode: 1
; LDSByteSize: 0 bytes/workgroup (compile time only)
; SGPRBlocks: 1
; VGPRBlocks: 0
; NumSGPRsForWavesPerEU: 14
; NumVGPRsForWavesPerEU: 4
; AccumOffset: 4
; Occupancy: 8
; WaveLimiterHint : 1
; COMPUTE_PGM_RSRC2:SCRATCH_EN: 0
; COMPUTE_PGM_RSRC2:USER_SGPR: 6
; COMPUTE_PGM_RSRC2:TRAP_HANDLER: 0
; COMPUTE_PGM_RSRC2:TGID_X_EN: 1
; COMPUTE_PGM_RSRC2:TGID_Y_EN: 0
; COMPUTE_PGM_RSRC2:TGID_Z_EN: 0
; COMPUTE_PGM_RSRC2:TIDIG_COMP_CNT: 0
; COMPUTE_PGM_RSRC3_GFX90A:ACCUM_OFFSET: 0
; COMPUTE_PGM_RSRC3_GFX90A:TG_SPLIT: 0
	.section	.text._ZN2at6native29vectorized_elementwise_kernelILi4ENS0_11FillFunctorIN3c1013Float8_e4m3fnEEESt5arrayIPcLm1EEEEviT0_T1_,"axG",@progbits,_ZN2at6native29vectorized_elementwise_kernelILi4ENS0_11FillFunctorIN3c1013Float8_e4m3fnEEESt5arrayIPcLm1EEEEviT0_T1_,comdat
	.protected	_ZN2at6native29vectorized_elementwise_kernelILi4ENS0_11FillFunctorIN3c1013Float8_e4m3fnEEESt5arrayIPcLm1EEEEviT0_T1_ ; -- Begin function _ZN2at6native29vectorized_elementwise_kernelILi4ENS0_11FillFunctorIN3c1013Float8_e4m3fnEEESt5arrayIPcLm1EEEEviT0_T1_
	.globl	_ZN2at6native29vectorized_elementwise_kernelILi4ENS0_11FillFunctorIN3c1013Float8_e4m3fnEEESt5arrayIPcLm1EEEEviT0_T1_
	.p2align	8
	.type	_ZN2at6native29vectorized_elementwise_kernelILi4ENS0_11FillFunctorIN3c1013Float8_e4m3fnEEESt5arrayIPcLm1EEEEviT0_T1_,@function
_ZN2at6native29vectorized_elementwise_kernelILi4ENS0_11FillFunctorIN3c1013Float8_e4m3fnEEESt5arrayIPcLm1EEEEviT0_T1_: ; @_ZN2at6native29vectorized_elementwise_kernelILi4ENS0_11FillFunctorIN3c1013Float8_e4m3fnEEESt5arrayIPcLm1EEEEviT0_T1_
; %bb.0:
	s_load_dwordx4 s[0:3], s[4:5], 0x0
	s_lshl_b32 s6, s6, 12
	s_mov_b64 s[4:5], -1
	s_waitcnt lgkmcnt(0)
	s_sub_i32 s0, s0, s6
	s_cmpk_gt_i32 s0, 0xfff
	s_cbranch_scc0 .LBB130_2
; %bb.1:
	s_ashr_i32 s5, s6, 31
	s_add_u32 s4, s2, s6
	s_addc_u32 s5, s3, s5
	s_and_b32 s7, s1, 0xff
	s_mul_i32 s7, s7, 0x1010101
	v_lshlrev_b32_e32 v1, 2, v0
	v_mov_b32_e32 v2, s7
	global_store_dword v1, v2, s[4:5]
	global_store_dword v1, v2, s[4:5] offset:1024
	global_store_dword v1, v2, s[4:5] offset:2048
	;; [unrolled: 1-line block ×3, first 2 shown]
	s_mov_b64 s[4:5], 0
.LBB130_2:
	s_andn2_b64 vcc, exec, s[4:5]
	s_cbranch_vccnz .LBB130_20
; %bb.3:
	v_cmp_gt_i32_e32 vcc, s0, v0
	s_and_saveexec_b64 s[4:5], vcc
	s_cbranch_execnz .LBB130_21
; %bb.4:
	s_or_b64 exec, exec, s[4:5]
	v_cmp_gt_i32_e32 vcc, s0, v0
	s_and_saveexec_b64 s[4:5], vcc
	s_cbranch_execnz .LBB130_22
.LBB130_5:
	s_or_b64 exec, exec, s[4:5]
	v_cmp_gt_i32_e32 vcc, s0, v0
	s_and_saveexec_b64 s[4:5], vcc
	s_cbranch_execnz .LBB130_23
.LBB130_6:
	s_or_b64 exec, exec, s[4:5]
	v_cmp_gt_i32_e32 vcc, s0, v0
	s_and_saveexec_b64 s[4:5], vcc
	s_cbranch_execnz .LBB130_24
.LBB130_7:
	s_or_b64 exec, exec, s[4:5]
	v_cmp_gt_i32_e32 vcc, s0, v0
	s_and_saveexec_b64 s[4:5], vcc
	s_cbranch_execnz .LBB130_25
.LBB130_8:
	s_or_b64 exec, exec, s[4:5]
	v_cmp_gt_i32_e32 vcc, s0, v0
	s_and_saveexec_b64 s[4:5], vcc
	s_cbranch_execnz .LBB130_26
.LBB130_9:
	s_or_b64 exec, exec, s[4:5]
	v_cmp_gt_i32_e32 vcc, s0, v0
	s_and_saveexec_b64 s[4:5], vcc
	s_cbranch_execnz .LBB130_27
.LBB130_10:
	s_or_b64 exec, exec, s[4:5]
	v_cmp_gt_i32_e32 vcc, s0, v0
	s_and_saveexec_b64 s[4:5], vcc
	s_cbranch_execnz .LBB130_28
.LBB130_11:
	s_or_b64 exec, exec, s[4:5]
	v_cmp_gt_i32_e32 vcc, s0, v0
	s_and_saveexec_b64 s[4:5], vcc
	s_cbranch_execnz .LBB130_29
.LBB130_12:
	s_or_b64 exec, exec, s[4:5]
	v_cmp_gt_i32_e32 vcc, s0, v0
	s_and_saveexec_b64 s[4:5], vcc
	s_cbranch_execnz .LBB130_30
.LBB130_13:
	s_or_b64 exec, exec, s[4:5]
	v_cmp_gt_i32_e32 vcc, s0, v0
	s_and_saveexec_b64 s[4:5], vcc
	s_cbranch_execnz .LBB130_31
.LBB130_14:
	s_or_b64 exec, exec, s[4:5]
	v_cmp_gt_i32_e32 vcc, s0, v0
	s_and_saveexec_b64 s[4:5], vcc
	s_cbranch_execnz .LBB130_32
.LBB130_15:
	s_or_b64 exec, exec, s[4:5]
	v_cmp_gt_i32_e32 vcc, s0, v0
	s_and_saveexec_b64 s[4:5], vcc
	s_cbranch_execnz .LBB130_33
.LBB130_16:
	s_or_b64 exec, exec, s[4:5]
	v_cmp_gt_i32_e32 vcc, s0, v0
	s_and_saveexec_b64 s[4:5], vcc
	s_cbranch_execnz .LBB130_34
.LBB130_17:
	s_or_b64 exec, exec, s[4:5]
	v_cmp_gt_i32_e32 vcc, s0, v0
	s_and_saveexec_b64 s[4:5], vcc
	s_cbranch_execnz .LBB130_35
.LBB130_18:
	s_or_b64 exec, exec, s[4:5]
	v_cmp_gt_i32_e32 vcc, s0, v0
	s_and_saveexec_b64 s[4:5], vcc
	s_cbranch_execz .LBB130_20
.LBB130_19:
	v_add_u32_e32 v0, s6, v0
	v_mov_b32_e32 v1, s1
	global_store_byte v0, v1, s[2:3]
.LBB130_20:
	s_endpgm
.LBB130_21:
	v_or_b32_e32 v1, 0x100, v0
	v_or_b32_e32 v0, s6, v0
	v_mov_b32_e32 v2, s1
	global_store_byte v0, v2, s[2:3]
	v_mov_b32_e32 v0, v1
	s_or_b64 exec, exec, s[4:5]
	v_cmp_gt_i32_e32 vcc, s0, v0
	s_and_saveexec_b64 s[4:5], vcc
	s_cbranch_execz .LBB130_5
.LBB130_22:
	v_add_u32_e32 v1, s6, v0
	v_add_u32_e32 v0, 0x100, v0
	v_mov_b32_e32 v2, s1
	global_store_byte v1, v2, s[2:3]
	s_or_b64 exec, exec, s[4:5]
	v_cmp_gt_i32_e32 vcc, s0, v0
	s_and_saveexec_b64 s[4:5], vcc
	s_cbranch_execz .LBB130_6
.LBB130_23:
	v_add_u32_e32 v1, s6, v0
	v_add_u32_e32 v0, 0x100, v0
	v_mov_b32_e32 v2, s1
	global_store_byte v1, v2, s[2:3]
	s_or_b64 exec, exec, s[4:5]
	v_cmp_gt_i32_e32 vcc, s0, v0
	s_and_saveexec_b64 s[4:5], vcc
	s_cbranch_execz .LBB130_7
.LBB130_24:
	v_add_u32_e32 v1, s6, v0
	v_add_u32_e32 v0, 0x100, v0
	v_mov_b32_e32 v2, s1
	global_store_byte v1, v2, s[2:3]
	s_or_b64 exec, exec, s[4:5]
	v_cmp_gt_i32_e32 vcc, s0, v0
	s_and_saveexec_b64 s[4:5], vcc
	s_cbranch_execz .LBB130_8
.LBB130_25:
	v_add_u32_e32 v1, s6, v0
	v_add_u32_e32 v0, 0x100, v0
	v_mov_b32_e32 v2, s1
	global_store_byte v1, v2, s[2:3]
	s_or_b64 exec, exec, s[4:5]
	v_cmp_gt_i32_e32 vcc, s0, v0
	s_and_saveexec_b64 s[4:5], vcc
	s_cbranch_execz .LBB130_9
.LBB130_26:
	v_add_u32_e32 v1, s6, v0
	v_add_u32_e32 v0, 0x100, v0
	v_mov_b32_e32 v2, s1
	global_store_byte v1, v2, s[2:3]
	s_or_b64 exec, exec, s[4:5]
	v_cmp_gt_i32_e32 vcc, s0, v0
	s_and_saveexec_b64 s[4:5], vcc
	s_cbranch_execz .LBB130_10
.LBB130_27:
	v_add_u32_e32 v1, s6, v0
	v_add_u32_e32 v0, 0x100, v0
	v_mov_b32_e32 v2, s1
	global_store_byte v1, v2, s[2:3]
	s_or_b64 exec, exec, s[4:5]
	v_cmp_gt_i32_e32 vcc, s0, v0
	s_and_saveexec_b64 s[4:5], vcc
	s_cbranch_execz .LBB130_11
.LBB130_28:
	v_add_u32_e32 v1, s6, v0
	v_add_u32_e32 v0, 0x100, v0
	v_mov_b32_e32 v2, s1
	global_store_byte v1, v2, s[2:3]
	s_or_b64 exec, exec, s[4:5]
	v_cmp_gt_i32_e32 vcc, s0, v0
	s_and_saveexec_b64 s[4:5], vcc
	s_cbranch_execz .LBB130_12
.LBB130_29:
	v_add_u32_e32 v1, s6, v0
	v_add_u32_e32 v0, 0x100, v0
	v_mov_b32_e32 v2, s1
	global_store_byte v1, v2, s[2:3]
	s_or_b64 exec, exec, s[4:5]
	v_cmp_gt_i32_e32 vcc, s0, v0
	s_and_saveexec_b64 s[4:5], vcc
	s_cbranch_execz .LBB130_13
.LBB130_30:
	v_add_u32_e32 v1, s6, v0
	v_add_u32_e32 v0, 0x100, v0
	v_mov_b32_e32 v2, s1
	global_store_byte v1, v2, s[2:3]
	s_or_b64 exec, exec, s[4:5]
	v_cmp_gt_i32_e32 vcc, s0, v0
	s_and_saveexec_b64 s[4:5], vcc
	s_cbranch_execz .LBB130_14
.LBB130_31:
	v_add_u32_e32 v1, s6, v0
	v_add_u32_e32 v0, 0x100, v0
	v_mov_b32_e32 v2, s1
	global_store_byte v1, v2, s[2:3]
	s_or_b64 exec, exec, s[4:5]
	v_cmp_gt_i32_e32 vcc, s0, v0
	s_and_saveexec_b64 s[4:5], vcc
	s_cbranch_execz .LBB130_15
.LBB130_32:
	v_add_u32_e32 v1, s6, v0
	v_add_u32_e32 v0, 0x100, v0
	v_mov_b32_e32 v2, s1
	global_store_byte v1, v2, s[2:3]
	s_or_b64 exec, exec, s[4:5]
	v_cmp_gt_i32_e32 vcc, s0, v0
	s_and_saveexec_b64 s[4:5], vcc
	s_cbranch_execz .LBB130_16
.LBB130_33:
	v_add_u32_e32 v1, s6, v0
	v_add_u32_e32 v0, 0x100, v0
	v_mov_b32_e32 v2, s1
	global_store_byte v1, v2, s[2:3]
	s_or_b64 exec, exec, s[4:5]
	v_cmp_gt_i32_e32 vcc, s0, v0
	s_and_saveexec_b64 s[4:5], vcc
	s_cbranch_execz .LBB130_17
.LBB130_34:
	v_add_u32_e32 v1, s6, v0
	v_add_u32_e32 v0, 0x100, v0
	v_mov_b32_e32 v2, s1
	global_store_byte v1, v2, s[2:3]
	s_or_b64 exec, exec, s[4:5]
	v_cmp_gt_i32_e32 vcc, s0, v0
	s_and_saveexec_b64 s[4:5], vcc
	s_cbranch_execz .LBB130_18
.LBB130_35:
	v_add_u32_e32 v1, s6, v0
	v_add_u32_e32 v0, 0x100, v0
	v_mov_b32_e32 v2, s1
	global_store_byte v1, v2, s[2:3]
	s_or_b64 exec, exec, s[4:5]
	v_cmp_gt_i32_e32 vcc, s0, v0
	s_and_saveexec_b64 s[4:5], vcc
	s_cbranch_execnz .LBB130_19
	s_branch .LBB130_20
	.section	.rodata,"a",@progbits
	.p2align	6, 0x0
	.amdhsa_kernel _ZN2at6native29vectorized_elementwise_kernelILi4ENS0_11FillFunctorIN3c1013Float8_e4m3fnEEESt5arrayIPcLm1EEEEviT0_T1_
		.amdhsa_group_segment_fixed_size 0
		.amdhsa_private_segment_fixed_size 0
		.amdhsa_kernarg_size 16
		.amdhsa_user_sgpr_count 6
		.amdhsa_user_sgpr_private_segment_buffer 1
		.amdhsa_user_sgpr_dispatch_ptr 0
		.amdhsa_user_sgpr_queue_ptr 0
		.amdhsa_user_sgpr_kernarg_segment_ptr 1
		.amdhsa_user_sgpr_dispatch_id 0
		.amdhsa_user_sgpr_flat_scratch_init 0
		.amdhsa_user_sgpr_kernarg_preload_length 0
		.amdhsa_user_sgpr_kernarg_preload_offset 0
		.amdhsa_user_sgpr_private_segment_size 0
		.amdhsa_uses_dynamic_stack 0
		.amdhsa_system_sgpr_private_segment_wavefront_offset 0
		.amdhsa_system_sgpr_workgroup_id_x 1
		.amdhsa_system_sgpr_workgroup_id_y 0
		.amdhsa_system_sgpr_workgroup_id_z 0
		.amdhsa_system_sgpr_workgroup_info 0
		.amdhsa_system_vgpr_workitem_id 0
		.amdhsa_next_free_vgpr 3
		.amdhsa_next_free_sgpr 8
		.amdhsa_accum_offset 4
		.amdhsa_reserve_vcc 1
		.amdhsa_reserve_flat_scratch 0
		.amdhsa_float_round_mode_32 0
		.amdhsa_float_round_mode_16_64 0
		.amdhsa_float_denorm_mode_32 3
		.amdhsa_float_denorm_mode_16_64 3
		.amdhsa_dx10_clamp 1
		.amdhsa_ieee_mode 1
		.amdhsa_fp16_overflow 0
		.amdhsa_tg_split 0
		.amdhsa_exception_fp_ieee_invalid_op 0
		.amdhsa_exception_fp_denorm_src 0
		.amdhsa_exception_fp_ieee_div_zero 0
		.amdhsa_exception_fp_ieee_overflow 0
		.amdhsa_exception_fp_ieee_underflow 0
		.amdhsa_exception_fp_ieee_inexact 0
		.amdhsa_exception_int_div_zero 0
	.end_amdhsa_kernel
	.section	.text._ZN2at6native29vectorized_elementwise_kernelILi4ENS0_11FillFunctorIN3c1013Float8_e4m3fnEEESt5arrayIPcLm1EEEEviT0_T1_,"axG",@progbits,_ZN2at6native29vectorized_elementwise_kernelILi4ENS0_11FillFunctorIN3c1013Float8_e4m3fnEEESt5arrayIPcLm1EEEEviT0_T1_,comdat
.Lfunc_end130:
	.size	_ZN2at6native29vectorized_elementwise_kernelILi4ENS0_11FillFunctorIN3c1013Float8_e4m3fnEEESt5arrayIPcLm1EEEEviT0_T1_, .Lfunc_end130-_ZN2at6native29vectorized_elementwise_kernelILi4ENS0_11FillFunctorIN3c1013Float8_e4m3fnEEESt5arrayIPcLm1EEEEviT0_T1_
                                        ; -- End function
	.section	.AMDGPU.csdata,"",@progbits
; Kernel info:
; codeLenInByte = 992
; NumSgprs: 12
; NumVgprs: 3
; NumAgprs: 0
; TotalNumVgprs: 3
; ScratchSize: 0
; MemoryBound: 0
; FloatMode: 240
; IeeeMode: 1
; LDSByteSize: 0 bytes/workgroup (compile time only)
; SGPRBlocks: 1
; VGPRBlocks: 0
; NumSGPRsForWavesPerEU: 12
; NumVGPRsForWavesPerEU: 3
; AccumOffset: 4
; Occupancy: 8
; WaveLimiterHint : 1
; COMPUTE_PGM_RSRC2:SCRATCH_EN: 0
; COMPUTE_PGM_RSRC2:USER_SGPR: 6
; COMPUTE_PGM_RSRC2:TRAP_HANDLER: 0
; COMPUTE_PGM_RSRC2:TGID_X_EN: 1
; COMPUTE_PGM_RSRC2:TGID_Y_EN: 0
; COMPUTE_PGM_RSRC2:TGID_Z_EN: 0
; COMPUTE_PGM_RSRC2:TIDIG_COMP_CNT: 0
; COMPUTE_PGM_RSRC3_GFX90A:ACCUM_OFFSET: 0
; COMPUTE_PGM_RSRC3_GFX90A:TG_SPLIT: 0
	.section	.text._ZN2at6native29vectorized_elementwise_kernelILi2ENS0_11FillFunctorIN3c1013Float8_e4m3fnEEESt5arrayIPcLm1EEEEviT0_T1_,"axG",@progbits,_ZN2at6native29vectorized_elementwise_kernelILi2ENS0_11FillFunctorIN3c1013Float8_e4m3fnEEESt5arrayIPcLm1EEEEviT0_T1_,comdat
	.protected	_ZN2at6native29vectorized_elementwise_kernelILi2ENS0_11FillFunctorIN3c1013Float8_e4m3fnEEESt5arrayIPcLm1EEEEviT0_T1_ ; -- Begin function _ZN2at6native29vectorized_elementwise_kernelILi2ENS0_11FillFunctorIN3c1013Float8_e4m3fnEEESt5arrayIPcLm1EEEEviT0_T1_
	.globl	_ZN2at6native29vectorized_elementwise_kernelILi2ENS0_11FillFunctorIN3c1013Float8_e4m3fnEEESt5arrayIPcLm1EEEEviT0_T1_
	.p2align	8
	.type	_ZN2at6native29vectorized_elementwise_kernelILi2ENS0_11FillFunctorIN3c1013Float8_e4m3fnEEESt5arrayIPcLm1EEEEviT0_T1_,@function
_ZN2at6native29vectorized_elementwise_kernelILi2ENS0_11FillFunctorIN3c1013Float8_e4m3fnEEESt5arrayIPcLm1EEEEviT0_T1_: ; @_ZN2at6native29vectorized_elementwise_kernelILi2ENS0_11FillFunctorIN3c1013Float8_e4m3fnEEESt5arrayIPcLm1EEEEviT0_T1_
; %bb.0:
	s_load_dwordx4 s[0:3], s[4:5], 0x0
	s_lshl_b32 s6, s6, 12
	s_mov_b64 s[4:5], -1
	s_waitcnt lgkmcnt(0)
	s_sub_i32 s0, s0, s6
	s_cmpk_gt_i32 s0, 0xfff
	s_cbranch_scc0 .LBB131_2
; %bb.1:
	s_ashr_i32 s5, s6, 31
	s_add_u32 s4, s2, s6
	v_mov_b32_e32 v2, 0x101
	s_addc_u32 s5, s3, s5
	v_lshlrev_b32_e32 v1, 1, v0
	v_mul_lo_u16_sdwa v2, s1, v2 dst_sel:DWORD dst_unused:UNUSED_PAD src0_sel:BYTE_0 src1_sel:DWORD
	global_store_short v1, v2, s[4:5]
	global_store_short v1, v2, s[4:5] offset:512
	global_store_short v1, v2, s[4:5] offset:1024
	;; [unrolled: 1-line block ×7, first 2 shown]
	s_mov_b64 s[4:5], 0
.LBB131_2:
	s_andn2_b64 vcc, exec, s[4:5]
	s_cbranch_vccnz .LBB131_20
; %bb.3:
	v_cmp_gt_i32_e32 vcc, s0, v0
	s_and_saveexec_b64 s[4:5], vcc
	s_cbranch_execnz .LBB131_21
; %bb.4:
	s_or_b64 exec, exec, s[4:5]
	v_cmp_gt_i32_e32 vcc, s0, v0
	s_and_saveexec_b64 s[4:5], vcc
	s_cbranch_execnz .LBB131_22
.LBB131_5:
	s_or_b64 exec, exec, s[4:5]
	v_cmp_gt_i32_e32 vcc, s0, v0
	s_and_saveexec_b64 s[4:5], vcc
	s_cbranch_execnz .LBB131_23
.LBB131_6:
	s_or_b64 exec, exec, s[4:5]
	v_cmp_gt_i32_e32 vcc, s0, v0
	s_and_saveexec_b64 s[4:5], vcc
	s_cbranch_execnz .LBB131_24
.LBB131_7:
	s_or_b64 exec, exec, s[4:5]
	v_cmp_gt_i32_e32 vcc, s0, v0
	s_and_saveexec_b64 s[4:5], vcc
	s_cbranch_execnz .LBB131_25
.LBB131_8:
	s_or_b64 exec, exec, s[4:5]
	v_cmp_gt_i32_e32 vcc, s0, v0
	s_and_saveexec_b64 s[4:5], vcc
	s_cbranch_execnz .LBB131_26
.LBB131_9:
	s_or_b64 exec, exec, s[4:5]
	v_cmp_gt_i32_e32 vcc, s0, v0
	s_and_saveexec_b64 s[4:5], vcc
	s_cbranch_execnz .LBB131_27
.LBB131_10:
	s_or_b64 exec, exec, s[4:5]
	v_cmp_gt_i32_e32 vcc, s0, v0
	s_and_saveexec_b64 s[4:5], vcc
	s_cbranch_execnz .LBB131_28
.LBB131_11:
	s_or_b64 exec, exec, s[4:5]
	v_cmp_gt_i32_e32 vcc, s0, v0
	s_and_saveexec_b64 s[4:5], vcc
	s_cbranch_execnz .LBB131_29
.LBB131_12:
	s_or_b64 exec, exec, s[4:5]
	v_cmp_gt_i32_e32 vcc, s0, v0
	s_and_saveexec_b64 s[4:5], vcc
	s_cbranch_execnz .LBB131_30
.LBB131_13:
	s_or_b64 exec, exec, s[4:5]
	v_cmp_gt_i32_e32 vcc, s0, v0
	s_and_saveexec_b64 s[4:5], vcc
	s_cbranch_execnz .LBB131_31
.LBB131_14:
	s_or_b64 exec, exec, s[4:5]
	v_cmp_gt_i32_e32 vcc, s0, v0
	s_and_saveexec_b64 s[4:5], vcc
	s_cbranch_execnz .LBB131_32
.LBB131_15:
	s_or_b64 exec, exec, s[4:5]
	v_cmp_gt_i32_e32 vcc, s0, v0
	s_and_saveexec_b64 s[4:5], vcc
	s_cbranch_execnz .LBB131_33
.LBB131_16:
	s_or_b64 exec, exec, s[4:5]
	v_cmp_gt_i32_e32 vcc, s0, v0
	s_and_saveexec_b64 s[4:5], vcc
	s_cbranch_execnz .LBB131_34
.LBB131_17:
	s_or_b64 exec, exec, s[4:5]
	v_cmp_gt_i32_e32 vcc, s0, v0
	s_and_saveexec_b64 s[4:5], vcc
	s_cbranch_execnz .LBB131_35
.LBB131_18:
	s_or_b64 exec, exec, s[4:5]
	v_cmp_gt_i32_e32 vcc, s0, v0
	s_and_saveexec_b64 s[4:5], vcc
	s_cbranch_execz .LBB131_20
.LBB131_19:
	v_add_u32_e32 v0, s6, v0
	v_mov_b32_e32 v1, s1
	global_store_byte v0, v1, s[2:3]
.LBB131_20:
	s_endpgm
.LBB131_21:
	v_or_b32_e32 v1, 0x100, v0
	v_or_b32_e32 v0, s6, v0
	v_mov_b32_e32 v2, s1
	global_store_byte v0, v2, s[2:3]
	v_mov_b32_e32 v0, v1
	s_or_b64 exec, exec, s[4:5]
	v_cmp_gt_i32_e32 vcc, s0, v0
	s_and_saveexec_b64 s[4:5], vcc
	s_cbranch_execz .LBB131_5
.LBB131_22:
	v_add_u32_e32 v1, s6, v0
	v_add_u32_e32 v0, 0x100, v0
	v_mov_b32_e32 v2, s1
	global_store_byte v1, v2, s[2:3]
	s_or_b64 exec, exec, s[4:5]
	v_cmp_gt_i32_e32 vcc, s0, v0
	s_and_saveexec_b64 s[4:5], vcc
	s_cbranch_execz .LBB131_6
.LBB131_23:
	v_add_u32_e32 v1, s6, v0
	v_add_u32_e32 v0, 0x100, v0
	v_mov_b32_e32 v2, s1
	global_store_byte v1, v2, s[2:3]
	s_or_b64 exec, exec, s[4:5]
	v_cmp_gt_i32_e32 vcc, s0, v0
	s_and_saveexec_b64 s[4:5], vcc
	s_cbranch_execz .LBB131_7
.LBB131_24:
	v_add_u32_e32 v1, s6, v0
	v_add_u32_e32 v0, 0x100, v0
	v_mov_b32_e32 v2, s1
	global_store_byte v1, v2, s[2:3]
	s_or_b64 exec, exec, s[4:5]
	v_cmp_gt_i32_e32 vcc, s0, v0
	s_and_saveexec_b64 s[4:5], vcc
	s_cbranch_execz .LBB131_8
.LBB131_25:
	v_add_u32_e32 v1, s6, v0
	v_add_u32_e32 v0, 0x100, v0
	v_mov_b32_e32 v2, s1
	global_store_byte v1, v2, s[2:3]
	s_or_b64 exec, exec, s[4:5]
	v_cmp_gt_i32_e32 vcc, s0, v0
	s_and_saveexec_b64 s[4:5], vcc
	s_cbranch_execz .LBB131_9
.LBB131_26:
	v_add_u32_e32 v1, s6, v0
	v_add_u32_e32 v0, 0x100, v0
	v_mov_b32_e32 v2, s1
	global_store_byte v1, v2, s[2:3]
	s_or_b64 exec, exec, s[4:5]
	v_cmp_gt_i32_e32 vcc, s0, v0
	s_and_saveexec_b64 s[4:5], vcc
	s_cbranch_execz .LBB131_10
.LBB131_27:
	v_add_u32_e32 v1, s6, v0
	v_add_u32_e32 v0, 0x100, v0
	v_mov_b32_e32 v2, s1
	global_store_byte v1, v2, s[2:3]
	s_or_b64 exec, exec, s[4:5]
	v_cmp_gt_i32_e32 vcc, s0, v0
	s_and_saveexec_b64 s[4:5], vcc
	s_cbranch_execz .LBB131_11
.LBB131_28:
	v_add_u32_e32 v1, s6, v0
	v_add_u32_e32 v0, 0x100, v0
	v_mov_b32_e32 v2, s1
	global_store_byte v1, v2, s[2:3]
	s_or_b64 exec, exec, s[4:5]
	v_cmp_gt_i32_e32 vcc, s0, v0
	s_and_saveexec_b64 s[4:5], vcc
	s_cbranch_execz .LBB131_12
.LBB131_29:
	v_add_u32_e32 v1, s6, v0
	v_add_u32_e32 v0, 0x100, v0
	v_mov_b32_e32 v2, s1
	global_store_byte v1, v2, s[2:3]
	s_or_b64 exec, exec, s[4:5]
	v_cmp_gt_i32_e32 vcc, s0, v0
	s_and_saveexec_b64 s[4:5], vcc
	s_cbranch_execz .LBB131_13
.LBB131_30:
	v_add_u32_e32 v1, s6, v0
	v_add_u32_e32 v0, 0x100, v0
	v_mov_b32_e32 v2, s1
	global_store_byte v1, v2, s[2:3]
	s_or_b64 exec, exec, s[4:5]
	v_cmp_gt_i32_e32 vcc, s0, v0
	s_and_saveexec_b64 s[4:5], vcc
	s_cbranch_execz .LBB131_14
.LBB131_31:
	v_add_u32_e32 v1, s6, v0
	v_add_u32_e32 v0, 0x100, v0
	v_mov_b32_e32 v2, s1
	global_store_byte v1, v2, s[2:3]
	s_or_b64 exec, exec, s[4:5]
	v_cmp_gt_i32_e32 vcc, s0, v0
	s_and_saveexec_b64 s[4:5], vcc
	s_cbranch_execz .LBB131_15
.LBB131_32:
	v_add_u32_e32 v1, s6, v0
	v_add_u32_e32 v0, 0x100, v0
	v_mov_b32_e32 v2, s1
	global_store_byte v1, v2, s[2:3]
	s_or_b64 exec, exec, s[4:5]
	v_cmp_gt_i32_e32 vcc, s0, v0
	s_and_saveexec_b64 s[4:5], vcc
	s_cbranch_execz .LBB131_16
.LBB131_33:
	v_add_u32_e32 v1, s6, v0
	v_add_u32_e32 v0, 0x100, v0
	v_mov_b32_e32 v2, s1
	global_store_byte v1, v2, s[2:3]
	s_or_b64 exec, exec, s[4:5]
	v_cmp_gt_i32_e32 vcc, s0, v0
	s_and_saveexec_b64 s[4:5], vcc
	s_cbranch_execz .LBB131_17
.LBB131_34:
	v_add_u32_e32 v1, s6, v0
	v_add_u32_e32 v0, 0x100, v0
	v_mov_b32_e32 v2, s1
	global_store_byte v1, v2, s[2:3]
	s_or_b64 exec, exec, s[4:5]
	v_cmp_gt_i32_e32 vcc, s0, v0
	s_and_saveexec_b64 s[4:5], vcc
	s_cbranch_execz .LBB131_18
.LBB131_35:
	v_add_u32_e32 v1, s6, v0
	v_add_u32_e32 v0, 0x100, v0
	v_mov_b32_e32 v2, s1
	global_store_byte v1, v2, s[2:3]
	s_or_b64 exec, exec, s[4:5]
	v_cmp_gt_i32_e32 vcc, s0, v0
	s_and_saveexec_b64 s[4:5], vcc
	s_cbranch_execnz .LBB131_19
	s_branch .LBB131_20
	.section	.rodata,"a",@progbits
	.p2align	6, 0x0
	.amdhsa_kernel _ZN2at6native29vectorized_elementwise_kernelILi2ENS0_11FillFunctorIN3c1013Float8_e4m3fnEEESt5arrayIPcLm1EEEEviT0_T1_
		.amdhsa_group_segment_fixed_size 0
		.amdhsa_private_segment_fixed_size 0
		.amdhsa_kernarg_size 16
		.amdhsa_user_sgpr_count 6
		.amdhsa_user_sgpr_private_segment_buffer 1
		.amdhsa_user_sgpr_dispatch_ptr 0
		.amdhsa_user_sgpr_queue_ptr 0
		.amdhsa_user_sgpr_kernarg_segment_ptr 1
		.amdhsa_user_sgpr_dispatch_id 0
		.amdhsa_user_sgpr_flat_scratch_init 0
		.amdhsa_user_sgpr_kernarg_preload_length 0
		.amdhsa_user_sgpr_kernarg_preload_offset 0
		.amdhsa_user_sgpr_private_segment_size 0
		.amdhsa_uses_dynamic_stack 0
		.amdhsa_system_sgpr_private_segment_wavefront_offset 0
		.amdhsa_system_sgpr_workgroup_id_x 1
		.amdhsa_system_sgpr_workgroup_id_y 0
		.amdhsa_system_sgpr_workgroup_id_z 0
		.amdhsa_system_sgpr_workgroup_info 0
		.amdhsa_system_vgpr_workitem_id 0
		.amdhsa_next_free_vgpr 3
		.amdhsa_next_free_sgpr 7
		.amdhsa_accum_offset 4
		.amdhsa_reserve_vcc 1
		.amdhsa_reserve_flat_scratch 0
		.amdhsa_float_round_mode_32 0
		.amdhsa_float_round_mode_16_64 0
		.amdhsa_float_denorm_mode_32 3
		.amdhsa_float_denorm_mode_16_64 3
		.amdhsa_dx10_clamp 1
		.amdhsa_ieee_mode 1
		.amdhsa_fp16_overflow 0
		.amdhsa_tg_split 0
		.amdhsa_exception_fp_ieee_invalid_op 0
		.amdhsa_exception_fp_denorm_src 0
		.amdhsa_exception_fp_ieee_div_zero 0
		.amdhsa_exception_fp_ieee_overflow 0
		.amdhsa_exception_fp_ieee_underflow 0
		.amdhsa_exception_fp_ieee_inexact 0
		.amdhsa_exception_int_div_zero 0
	.end_amdhsa_kernel
	.section	.text._ZN2at6native29vectorized_elementwise_kernelILi2ENS0_11FillFunctorIN3c1013Float8_e4m3fnEEESt5arrayIPcLm1EEEEviT0_T1_,"axG",@progbits,_ZN2at6native29vectorized_elementwise_kernelILi2ENS0_11FillFunctorIN3c1013Float8_e4m3fnEEESt5arrayIPcLm1EEEEviT0_T1_,comdat
.Lfunc_end131:
	.size	_ZN2at6native29vectorized_elementwise_kernelILi2ENS0_11FillFunctorIN3c1013Float8_e4m3fnEEESt5arrayIPcLm1EEEEviT0_T1_, .Lfunc_end131-_ZN2at6native29vectorized_elementwise_kernelILi2ENS0_11FillFunctorIN3c1013Float8_e4m3fnEEESt5arrayIPcLm1EEEEviT0_T1_
                                        ; -- End function
	.section	.AMDGPU.csdata,"",@progbits
; Kernel info:
; codeLenInByte = 1020
; NumSgprs: 11
; NumVgprs: 3
; NumAgprs: 0
; TotalNumVgprs: 3
; ScratchSize: 0
; MemoryBound: 0
; FloatMode: 240
; IeeeMode: 1
; LDSByteSize: 0 bytes/workgroup (compile time only)
; SGPRBlocks: 1
; VGPRBlocks: 0
; NumSGPRsForWavesPerEU: 11
; NumVGPRsForWavesPerEU: 3
; AccumOffset: 4
; Occupancy: 8
; WaveLimiterHint : 1
; COMPUTE_PGM_RSRC2:SCRATCH_EN: 0
; COMPUTE_PGM_RSRC2:USER_SGPR: 6
; COMPUTE_PGM_RSRC2:TRAP_HANDLER: 0
; COMPUTE_PGM_RSRC2:TGID_X_EN: 1
; COMPUTE_PGM_RSRC2:TGID_Y_EN: 0
; COMPUTE_PGM_RSRC2:TGID_Z_EN: 0
; COMPUTE_PGM_RSRC2:TIDIG_COMP_CNT: 0
; COMPUTE_PGM_RSRC3_GFX90A:ACCUM_OFFSET: 0
; COMPUTE_PGM_RSRC3_GFX90A:TG_SPLIT: 0
	.section	.text._ZN2at6native27unrolled_elementwise_kernelINS0_11FillFunctorIN3c1013Float8_e4m3fnEEESt5arrayIPcLm1EELi4E23TrivialOffsetCalculatorILi0EjES9_ILi1EjENS0_6memory15LoadWithoutCastENSC_16StoreWithoutCastEEEviT_T0_T2_T3_T4_T5_,"axG",@progbits,_ZN2at6native27unrolled_elementwise_kernelINS0_11FillFunctorIN3c1013Float8_e4m3fnEEESt5arrayIPcLm1EELi4E23TrivialOffsetCalculatorILi0EjES9_ILi1EjENS0_6memory15LoadWithoutCastENSC_16StoreWithoutCastEEEviT_T0_T2_T3_T4_T5_,comdat
	.protected	_ZN2at6native27unrolled_elementwise_kernelINS0_11FillFunctorIN3c1013Float8_e4m3fnEEESt5arrayIPcLm1EELi4E23TrivialOffsetCalculatorILi0EjES9_ILi1EjENS0_6memory15LoadWithoutCastENSC_16StoreWithoutCastEEEviT_T0_T2_T3_T4_T5_ ; -- Begin function _ZN2at6native27unrolled_elementwise_kernelINS0_11FillFunctorIN3c1013Float8_e4m3fnEEESt5arrayIPcLm1EELi4E23TrivialOffsetCalculatorILi0EjES9_ILi1EjENS0_6memory15LoadWithoutCastENSC_16StoreWithoutCastEEEviT_T0_T2_T3_T4_T5_
	.globl	_ZN2at6native27unrolled_elementwise_kernelINS0_11FillFunctorIN3c1013Float8_e4m3fnEEESt5arrayIPcLm1EELi4E23TrivialOffsetCalculatorILi0EjES9_ILi1EjENS0_6memory15LoadWithoutCastENSC_16StoreWithoutCastEEEviT_T0_T2_T3_T4_T5_
	.p2align	8
	.type	_ZN2at6native27unrolled_elementwise_kernelINS0_11FillFunctorIN3c1013Float8_e4m3fnEEESt5arrayIPcLm1EELi4E23TrivialOffsetCalculatorILi0EjES9_ILi1EjENS0_6memory15LoadWithoutCastENSC_16StoreWithoutCastEEEviT_T0_T2_T3_T4_T5_,@function
_ZN2at6native27unrolled_elementwise_kernelINS0_11FillFunctorIN3c1013Float8_e4m3fnEEESt5arrayIPcLm1EELi4E23TrivialOffsetCalculatorILi0EjES9_ILi1EjENS0_6memory15LoadWithoutCastENSC_16StoreWithoutCastEEEviT_T0_T2_T3_T4_T5_: ; @_ZN2at6native27unrolled_elementwise_kernelINS0_11FillFunctorIN3c1013Float8_e4m3fnEEESt5arrayIPcLm1EELi4E23TrivialOffsetCalculatorILi0EjES9_ILi1EjENS0_6memory15LoadWithoutCastENSC_16StoreWithoutCastEEEviT_T0_T2_T3_T4_T5_
; %bb.0:
	s_load_dwordx4 s[0:3], s[4:5], 0x0
	s_lshl_b32 s6, s6, 10
	s_waitcnt lgkmcnt(0)
	s_sub_i32 s0, s0, s6
	v_cmp_gt_i32_e32 vcc, s0, v0
	s_and_saveexec_b64 s[4:5], vcc
	s_cbranch_execnz .LBB132_5
; %bb.1:
	s_or_b64 exec, exec, s[4:5]
	v_cmp_gt_i32_e32 vcc, s0, v0
	s_and_saveexec_b64 s[4:5], vcc
	s_cbranch_execnz .LBB132_6
.LBB132_2:
	s_or_b64 exec, exec, s[4:5]
	v_cmp_gt_i32_e32 vcc, s0, v0
	s_and_saveexec_b64 s[4:5], vcc
	s_cbranch_execnz .LBB132_7
.LBB132_3:
	s_or_b64 exec, exec, s[4:5]
	v_cmp_gt_i32_e32 vcc, s0, v0
	s_and_saveexec_b64 s[4:5], vcc
	s_cbranch_execnz .LBB132_8
.LBB132_4:
	s_endpgm
.LBB132_5:
	v_or_b32_e32 v1, s6, v0
	v_or_b32_e32 v0, 0x100, v0
	v_mov_b32_e32 v2, s1
	global_store_byte v1, v2, s[2:3]
	s_or_b64 exec, exec, s[4:5]
	v_cmp_gt_i32_e32 vcc, s0, v0
	s_and_saveexec_b64 s[4:5], vcc
	s_cbranch_execz .LBB132_2
.LBB132_6:
	v_add_u32_e32 v1, 0x100, v0
	v_add_u32_e32 v0, s6, v0
	v_mov_b32_e32 v2, s1
	global_store_byte v0, v2, s[2:3]
	v_mov_b32_e32 v0, v1
	s_or_b64 exec, exec, s[4:5]
	v_cmp_gt_i32_e32 vcc, s0, v0
	s_and_saveexec_b64 s[4:5], vcc
	s_cbranch_execz .LBB132_3
.LBB132_7:
	v_add_u32_e32 v1, 0x100, v0
	v_add_u32_e32 v0, s6, v0
	v_mov_b32_e32 v2, s1
	global_store_byte v0, v2, s[2:3]
	v_mov_b32_e32 v0, v1
	s_or_b64 exec, exec, s[4:5]
	v_cmp_gt_i32_e32 vcc, s0, v0
	s_and_saveexec_b64 s[4:5], vcc
	s_cbranch_execz .LBB132_4
.LBB132_8:
	v_add_u32_e32 v0, s6, v0
	v_mov_b32_e32 v1, s1
	global_store_byte v0, v1, s[2:3]
	s_endpgm
	.section	.rodata,"a",@progbits
	.p2align	6, 0x0
	.amdhsa_kernel _ZN2at6native27unrolled_elementwise_kernelINS0_11FillFunctorIN3c1013Float8_e4m3fnEEESt5arrayIPcLm1EELi4E23TrivialOffsetCalculatorILi0EjES9_ILi1EjENS0_6memory15LoadWithoutCastENSC_16StoreWithoutCastEEEviT_T0_T2_T3_T4_T5_
		.amdhsa_group_segment_fixed_size 0
		.amdhsa_private_segment_fixed_size 0
		.amdhsa_kernarg_size 20
		.amdhsa_user_sgpr_count 6
		.amdhsa_user_sgpr_private_segment_buffer 1
		.amdhsa_user_sgpr_dispatch_ptr 0
		.amdhsa_user_sgpr_queue_ptr 0
		.amdhsa_user_sgpr_kernarg_segment_ptr 1
		.amdhsa_user_sgpr_dispatch_id 0
		.amdhsa_user_sgpr_flat_scratch_init 0
		.amdhsa_user_sgpr_kernarg_preload_length 0
		.amdhsa_user_sgpr_kernarg_preload_offset 0
		.amdhsa_user_sgpr_private_segment_size 0
		.amdhsa_uses_dynamic_stack 0
		.amdhsa_system_sgpr_private_segment_wavefront_offset 0
		.amdhsa_system_sgpr_workgroup_id_x 1
		.amdhsa_system_sgpr_workgroup_id_y 0
		.amdhsa_system_sgpr_workgroup_id_z 0
		.amdhsa_system_sgpr_workgroup_info 0
		.amdhsa_system_vgpr_workitem_id 0
		.amdhsa_next_free_vgpr 3
		.amdhsa_next_free_sgpr 7
		.amdhsa_accum_offset 4
		.amdhsa_reserve_vcc 1
		.amdhsa_reserve_flat_scratch 0
		.amdhsa_float_round_mode_32 0
		.amdhsa_float_round_mode_16_64 0
		.amdhsa_float_denorm_mode_32 3
		.amdhsa_float_denorm_mode_16_64 3
		.amdhsa_dx10_clamp 1
		.amdhsa_ieee_mode 1
		.amdhsa_fp16_overflow 0
		.amdhsa_tg_split 0
		.amdhsa_exception_fp_ieee_invalid_op 0
		.amdhsa_exception_fp_denorm_src 0
		.amdhsa_exception_fp_ieee_div_zero 0
		.amdhsa_exception_fp_ieee_overflow 0
		.amdhsa_exception_fp_ieee_underflow 0
		.amdhsa_exception_fp_ieee_inexact 0
		.amdhsa_exception_int_div_zero 0
	.end_amdhsa_kernel
	.section	.text._ZN2at6native27unrolled_elementwise_kernelINS0_11FillFunctorIN3c1013Float8_e4m3fnEEESt5arrayIPcLm1EELi4E23TrivialOffsetCalculatorILi0EjES9_ILi1EjENS0_6memory15LoadWithoutCastENSC_16StoreWithoutCastEEEviT_T0_T2_T3_T4_T5_,"axG",@progbits,_ZN2at6native27unrolled_elementwise_kernelINS0_11FillFunctorIN3c1013Float8_e4m3fnEEESt5arrayIPcLm1EELi4E23TrivialOffsetCalculatorILi0EjES9_ILi1EjENS0_6memory15LoadWithoutCastENSC_16StoreWithoutCastEEEviT_T0_T2_T3_T4_T5_,comdat
.Lfunc_end132:
	.size	_ZN2at6native27unrolled_elementwise_kernelINS0_11FillFunctorIN3c1013Float8_e4m3fnEEESt5arrayIPcLm1EELi4E23TrivialOffsetCalculatorILi0EjES9_ILi1EjENS0_6memory15LoadWithoutCastENSC_16StoreWithoutCastEEEviT_T0_T2_T3_T4_T5_, .Lfunc_end132-_ZN2at6native27unrolled_elementwise_kernelINS0_11FillFunctorIN3c1013Float8_e4m3fnEEESt5arrayIPcLm1EELi4E23TrivialOffsetCalculatorILi0EjES9_ILi1EjENS0_6memory15LoadWithoutCastENSC_16StoreWithoutCastEEEviT_T0_T2_T3_T4_T5_
                                        ; -- End function
	.section	.AMDGPU.csdata,"",@progbits
; Kernel info:
; codeLenInByte = 232
; NumSgprs: 11
; NumVgprs: 3
; NumAgprs: 0
; TotalNumVgprs: 3
; ScratchSize: 0
; MemoryBound: 0
; FloatMode: 240
; IeeeMode: 1
; LDSByteSize: 0 bytes/workgroup (compile time only)
; SGPRBlocks: 1
; VGPRBlocks: 0
; NumSGPRsForWavesPerEU: 11
; NumVGPRsForWavesPerEU: 3
; AccumOffset: 4
; Occupancy: 8
; WaveLimiterHint : 0
; COMPUTE_PGM_RSRC2:SCRATCH_EN: 0
; COMPUTE_PGM_RSRC2:USER_SGPR: 6
; COMPUTE_PGM_RSRC2:TRAP_HANDLER: 0
; COMPUTE_PGM_RSRC2:TGID_X_EN: 1
; COMPUTE_PGM_RSRC2:TGID_Y_EN: 0
; COMPUTE_PGM_RSRC2:TGID_Z_EN: 0
; COMPUTE_PGM_RSRC2:TIDIG_COMP_CNT: 0
; COMPUTE_PGM_RSRC3_GFX90A:ACCUM_OFFSET: 0
; COMPUTE_PGM_RSRC3_GFX90A:TG_SPLIT: 0
	.section	.text._ZN2at6native32elementwise_kernel_manual_unrollILi128ELi8EZNS0_22gpu_kernel_impl_nocastINS0_11FillFunctorIN3c1013Float8_e4m3fnEEEEEvRNS_18TensorIteratorBaseERKT_EUlibE_EEviT1_,"axG",@progbits,_ZN2at6native32elementwise_kernel_manual_unrollILi128ELi8EZNS0_22gpu_kernel_impl_nocastINS0_11FillFunctorIN3c1013Float8_e4m3fnEEEEEvRNS_18TensorIteratorBaseERKT_EUlibE_EEviT1_,comdat
	.protected	_ZN2at6native32elementwise_kernel_manual_unrollILi128ELi8EZNS0_22gpu_kernel_impl_nocastINS0_11FillFunctorIN3c1013Float8_e4m3fnEEEEEvRNS_18TensorIteratorBaseERKT_EUlibE_EEviT1_ ; -- Begin function _ZN2at6native32elementwise_kernel_manual_unrollILi128ELi8EZNS0_22gpu_kernel_impl_nocastINS0_11FillFunctorIN3c1013Float8_e4m3fnEEEEEvRNS_18TensorIteratorBaseERKT_EUlibE_EEviT1_
	.globl	_ZN2at6native32elementwise_kernel_manual_unrollILi128ELi8EZNS0_22gpu_kernel_impl_nocastINS0_11FillFunctorIN3c1013Float8_e4m3fnEEEEEvRNS_18TensorIteratorBaseERKT_EUlibE_EEviT1_
	.p2align	8
	.type	_ZN2at6native32elementwise_kernel_manual_unrollILi128ELi8EZNS0_22gpu_kernel_impl_nocastINS0_11FillFunctorIN3c1013Float8_e4m3fnEEEEEvRNS_18TensorIteratorBaseERKT_EUlibE_EEviT1_,@function
_ZN2at6native32elementwise_kernel_manual_unrollILi128ELi8EZNS0_22gpu_kernel_impl_nocastINS0_11FillFunctorIN3c1013Float8_e4m3fnEEEEEvRNS_18TensorIteratorBaseERKT_EUlibE_EEviT1_: ; @_ZN2at6native32elementwise_kernel_manual_unrollILi128ELi8EZNS0_22gpu_kernel_impl_nocastINS0_11FillFunctorIN3c1013Float8_e4m3fnEEEEEvRNS_18TensorIteratorBaseERKT_EUlibE_EEviT1_
; %bb.0:
	s_load_dword s48, s[4:5], 0x0
	s_load_dword s33, s[4:5], 0x8
	s_or_b32 s4, s4, 8
	v_lshl_or_b32 v12, s6, 10, v0
	v_or_b32_e32 v16, 0x380, v12
	s_waitcnt lgkmcnt(0)
	v_cmp_le_i32_e32 vcc, s48, v16
	s_add_i32 s46, s33, -1
	s_cmp_gt_u32 s46, 1
	s_cselect_b64 s[6:7], -1, 0
	s_and_saveexec_b64 s[0:1], vcc
	s_xor_b64 s[24:25], exec, s[0:1]
	s_cbranch_execz .LBB133_7
; %bb.1:
	s_load_dwordx4 s[0:3], s[4:5], 0x4
	s_load_dwordx2 s[30:31], s[4:5], 0x14
	s_load_dwordx2 s[28:29], s[4:5], 0xc4
	;; [unrolled: 1-line block ×3, first 2 shown]
	s_load_dword s47, s[4:5], 0x110
	s_cmp_lg_u32 s33, 0
	s_cselect_b64 s[38:39], -1, 0
	s_add_u32 s36, s4, 0xc4
	s_addc_u32 s37, s5, 0
	s_min_u32 s49, s46, 15
	s_cmp_gt_u32 s33, 1
	s_cselect_b64 s[34:35], -1, 0
	v_cmp_gt_i32_e32 vcc, s48, v12
	s_and_saveexec_b64 s[40:41], vcc
	s_cbranch_execz .LBB133_14
; %bb.2:
	s_andn2_b64 vcc, exec, s[6:7]
	s_cbranch_vccnz .LBB133_21
; %bb.3:
	s_andn2_b64 vcc, exec, s[38:39]
	s_cbranch_vccnz .LBB133_121
; %bb.4:
	s_add_i32 s51, s49, 1
	s_mov_b32 s50, 0
	s_cmp_eq_u32 s46, 2
	v_mov_b32_e32 v0, 0
	s_cbranch_scc1 .LBB133_123
; %bb.5:
	s_and_b32 s50, s51, 28
	s_mov_b32 s52, 0
	v_mov_b32_e32 v0, 0
	s_mov_b64 s[42:43], s[4:5]
	s_mov_b64 s[44:45], s[36:37]
	v_mov_b32_e32 v2, v12
.LBB133_6:                              ; =>This Inner Loop Header: Depth=1
	s_load_dwordx8 s[8:15], s[42:43], 0x4
	s_load_dwordx4 s[16:19], s[42:43], 0x24
	s_load_dwordx4 s[20:23], s[44:45], 0x0
	s_add_u32 s42, s42, 48
	s_addc_u32 s43, s43, 0
	s_waitcnt lgkmcnt(0)
	v_mul_hi_u32 v1, s9, v2
	v_add_u32_e32 v1, v2, v1
	v_lshrrev_b32_e32 v1, s10, v1
	v_mul_lo_u32 v3, v1, s8
	v_mul_hi_u32 v4, s12, v1
	v_sub_u32_e32 v2, v2, v3
	v_add_u32_e32 v3, v1, v4
	v_lshrrev_b32_e32 v3, s13, v3
	v_mul_lo_u32 v4, v3, s11
	v_mul_hi_u32 v5, s15, v3
	v_sub_u32_e32 v1, v1, v4
	v_add_u32_e32 v4, v3, v5
	v_mul_lo_u32 v2, v2, s20
	v_mul_lo_u32 v1, v1, s21
	v_lshrrev_b32_e32 v4, s16, v4
	v_add3_u32 v0, v2, v0, v1
	v_mul_hi_u32 v2, s18, v4
	v_add_u32_e32 v2, v4, v2
	v_mul_lo_u32 v1, v4, s14
	v_lshrrev_b32_e32 v2, s19, v2
	s_add_i32 s52, s52, 4
	v_sub_u32_e32 v1, v3, v1
	v_mul_lo_u32 v3, v2, s17
	s_add_u32 s44, s44, 16
	v_sub_u32_e32 v3, v4, v3
	s_addc_u32 s45, s45, 0
	v_mul_lo_u32 v1, v1, s22
	v_mul_lo_u32 v3, v3, s23
	s_cmp_lg_u32 s50, s52
	v_add3_u32 v0, v1, v0, v3
	s_cbranch_scc1 .LBB133_6
	s_branch .LBB133_124
.LBB133_7:
	s_andn2_saveexec_b64 s[0:1], s[24:25]
	s_cbranch_execz .LBB133_213
.LBB133_8:
	v_cndmask_b32_e64 v0, 0, 1, s[6:7]
	v_cmp_ne_u32_e64 s[0:1], 1, v0
	s_andn2_b64 vcc, exec, s[6:7]
	s_cbranch_vccnz .LBB133_20
; %bb.9:
	s_mov_b32 s24, 0
	s_cmp_eq_u32 s33, 0
	v_mov_b32_e32 v0, 0
	s_cbranch_scc1 .LBB133_26
; %bb.10:
	s_min_u32 s25, s46, 15
	s_add_i32 s25, s25, 1
	s_cmp_eq_u32 s46, 2
	v_mov_b32_e32 v0, 0
	s_cbranch_scc1 .LBB133_23
; %bb.11:
	s_add_u32 s2, s4, 0xc4
	s_addc_u32 s3, s5, 0
	s_and_b32 s24, s25, 28
	s_mov_b32 s26, 0
	v_mov_b32_e32 v0, 0
	s_mov_b64 s[6:7], s[4:5]
	v_mov_b32_e32 v2, v12
.LBB133_12:                             ; =>This Inner Loop Header: Depth=1
	s_load_dwordx8 s[8:15], s[6:7], 0x4
	s_load_dwordx4 s[16:19], s[6:7], 0x24
	s_load_dwordx4 s[20:23], s[2:3], 0x0
	s_add_u32 s6, s6, 48
	s_addc_u32 s7, s7, 0
	s_waitcnt lgkmcnt(0)
	v_mul_hi_u32 v1, s9, v2
	v_add_u32_e32 v1, v2, v1
	v_lshrrev_b32_e32 v1, s10, v1
	v_mul_lo_u32 v3, v1, s8
	v_mul_hi_u32 v4, s12, v1
	v_sub_u32_e32 v2, v2, v3
	v_add_u32_e32 v3, v1, v4
	v_lshrrev_b32_e32 v3, s13, v3
	v_mul_lo_u32 v4, v3, s11
	v_mul_hi_u32 v5, s15, v3
	v_sub_u32_e32 v1, v1, v4
	v_add_u32_e32 v4, v3, v5
	v_mul_lo_u32 v2, v2, s20
	v_mul_lo_u32 v1, v1, s21
	v_lshrrev_b32_e32 v4, s16, v4
	v_add3_u32 v0, v2, v0, v1
	v_mul_hi_u32 v2, s18, v4
	v_add_u32_e32 v2, v4, v2
	v_mul_lo_u32 v1, v4, s14
	v_lshrrev_b32_e32 v2, s19, v2
	s_add_i32 s26, s26, 4
	v_sub_u32_e32 v1, v3, v1
	v_mul_lo_u32 v3, v2, s17
	s_add_u32 s2, s2, 16
	v_sub_u32_e32 v3, v4, v3
	s_addc_u32 s3, s3, 0
	v_mul_lo_u32 v1, v1, s22
	v_mul_lo_u32 v3, v3, s23
	s_cmp_lg_u32 s24, s26
	v_add3_u32 v0, v1, v0, v3
	s_cbranch_scc1 .LBB133_12
; %bb.13:
	s_and_b32 s8, s25, 3
	s_cmp_eq_u32 s8, 0
	s_cbranch_scc0 .LBB133_24
	s_branch .LBB133_26
.LBB133_14:
	s_or_b64 exec, exec, s[40:41]
	v_cmp_gt_i32_e32 vcc, s48, v12
	s_and_saveexec_b64 s[40:41], vcc
	s_cbranch_execz .LBB133_131
.LBB133_15:
	s_andn2_b64 vcc, exec, s[6:7]
	s_cbranch_vccnz .LBB133_22
; %bb.16:
	s_andn2_b64 vcc, exec, s[38:39]
	s_cbranch_vccnz .LBB133_122
; %bb.17:
	s_add_i32 s51, s49, 1
	s_mov_b32 s50, 0
	s_cmp_eq_u32 s46, 2
	v_mov_b32_e32 v0, 0
	s_cbranch_scc1 .LBB133_139
; %bb.18:
	s_and_b32 s50, s51, 28
	s_mov_b32 s52, 0
	v_mov_b32_e32 v0, 0
	s_mov_b64 s[42:43], s[4:5]
	s_mov_b64 s[44:45], s[36:37]
	v_mov_b32_e32 v2, v12
.LBB133_19:                             ; =>This Inner Loop Header: Depth=1
	s_load_dwordx8 s[8:15], s[42:43], 0x4
	s_load_dwordx4 s[16:19], s[42:43], 0x24
	s_load_dwordx4 s[20:23], s[44:45], 0x0
	s_add_u32 s42, s42, 48
	s_addc_u32 s43, s43, 0
	s_waitcnt lgkmcnt(0)
	v_mul_hi_u32 v1, s9, v2
	v_add_u32_e32 v1, v2, v1
	v_lshrrev_b32_e32 v1, s10, v1
	v_mul_lo_u32 v3, v1, s8
	v_mul_hi_u32 v4, s12, v1
	v_sub_u32_e32 v2, v2, v3
	v_add_u32_e32 v3, v1, v4
	v_lshrrev_b32_e32 v3, s13, v3
	v_mul_lo_u32 v4, v3, s11
	v_mul_hi_u32 v5, s15, v3
	v_sub_u32_e32 v1, v1, v4
	v_add_u32_e32 v4, v3, v5
	v_mul_lo_u32 v2, v2, s20
	v_mul_lo_u32 v1, v1, s21
	v_lshrrev_b32_e32 v4, s16, v4
	v_add3_u32 v0, v2, v0, v1
	v_mul_hi_u32 v2, s18, v4
	v_add_u32_e32 v2, v4, v2
	v_mul_lo_u32 v1, v4, s14
	v_lshrrev_b32_e32 v2, s19, v2
	s_add_i32 s52, s52, 4
	v_sub_u32_e32 v1, v3, v1
	v_mul_lo_u32 v3, v2, s17
	s_add_u32 s44, s44, 16
	v_sub_u32_e32 v3, v4, v3
	s_addc_u32 s45, s45, 0
	v_mul_lo_u32 v1, v1, s22
	v_mul_lo_u32 v3, v3, s23
	s_cmp_eq_u32 s50, s52
	v_add3_u32 v0, v1, v0, v3
	s_cbranch_scc0 .LBB133_19
	s_branch .LBB133_140
.LBB133_20:
                                        ; implicit-def: $vgpr0
	s_branch .LBB133_27
.LBB133_21:
                                        ; implicit-def: $vgpr0
	s_branch .LBB133_128
.LBB133_22:
                                        ; implicit-def: $vgpr0
	s_branch .LBB133_144
.LBB133_23:
	v_mov_b32_e32 v2, v12
	s_and_b32 s8, s25, 3
	s_cmp_eq_u32 s8, 0
	s_cbranch_scc1 .LBB133_26
.LBB133_24:
	s_lshl_b32 s2, s24, 2
	s_add_u32 s2, s2, s4
	s_addc_u32 s3, 0, s5
	s_add_u32 s2, s2, 0xc4
	s_addc_u32 s3, s3, 0
	s_mul_i32 s6, s24, 12
	s_add_u32 s6, s4, s6
	s_addc_u32 s7, 0, s5
.LBB133_25:                             ; =>This Inner Loop Header: Depth=1
	s_load_dwordx2 s[10:11], s[6:7], 0x4
	s_load_dword s9, s[6:7], 0xc
	s_load_dword s12, s[2:3], 0x0
	s_add_u32 s6, s6, 12
	s_addc_u32 s7, s7, 0
	s_waitcnt lgkmcnt(0)
	v_mul_hi_u32 v1, s11, v2
	v_add_u32_e32 v1, v2, v1
	v_lshrrev_b32_e32 v1, s9, v1
	s_add_u32 s2, s2, 4
	v_mul_lo_u32 v3, v1, s10
	s_addc_u32 s3, s3, 0
	s_add_i32 s8, s8, -1
	v_sub_u32_e32 v3, v2, v3
	s_cmp_lg_u32 s8, 0
	v_mov_b32_e32 v2, v1
	v_mad_u64_u32 v[0:1], s[10:11], v3, s12, v[0:1]
	s_cbranch_scc1 .LBB133_25
.LBB133_26:
	s_cbranch_execnz .LBB133_29
.LBB133_27:
	s_load_dwordx4 s[8:11], s[4:5], 0x4
	s_load_dword s2, s[4:5], 0xc4
	s_cmp_lt_u32 s33, 2
	s_waitcnt lgkmcnt(0)
	v_mul_hi_u32 v0, s9, v12
	v_add_u32_e32 v0, v12, v0
	v_lshrrev_b32_e32 v1, s10, v0
	v_mul_lo_u32 v0, v1, s8
	v_sub_u32_e32 v0, v12, v0
	v_mul_lo_u32 v0, v0, s2
	s_cbranch_scc1 .LBB133_29
; %bb.28:
	s_load_dwordx4 s[8:11], s[4:5], 0x10
	s_load_dword s2, s[4:5], 0xc8
	s_waitcnt lgkmcnt(0)
	v_mul_hi_u32 v2, s9, v1
	v_add_u32_e32 v2, v1, v2
	v_lshrrev_b32_e32 v2, s10, v2
	v_mul_lo_u32 v2, v2, s8
	v_sub_u32_e32 v1, v1, v2
	v_mad_u64_u32 v[0:1], s[2:3], v1, s2, v[0:1]
.LBB133_29:
	s_and_b64 vcc, exec, s[0:1]
	v_add_u32_e32 v1, 0x80, v12
	s_cbranch_vccnz .LBB133_35
; %bb.30:
	s_mov_b32 s24, 0
	s_cmp_eq_u32 s33, 0
	v_mov_b32_e32 v2, 0
	s_cbranch_scc1 .LBB133_39
; %bb.31:
	s_min_u32 s25, s46, 15
	s_add_i32 s25, s25, 1
	s_cmp_eq_u32 s46, 2
	v_mov_b32_e32 v2, 0
	s_cbranch_scc1 .LBB133_36
; %bb.32:
	s_add_u32 s2, s4, 0xc4
	s_addc_u32 s3, s5, 0
	s_and_b32 s24, s25, 28
	s_mov_b32 s26, 0
	v_mov_b32_e32 v2, 0
	s_mov_b64 s[6:7], s[4:5]
	v_mov_b32_e32 v4, v1
.LBB133_33:                             ; =>This Inner Loop Header: Depth=1
	s_load_dwordx8 s[8:15], s[6:7], 0x4
	s_load_dwordx4 s[16:19], s[6:7], 0x24
	s_load_dwordx4 s[20:23], s[2:3], 0x0
	s_add_u32 s6, s6, 48
	s_addc_u32 s7, s7, 0
	s_waitcnt lgkmcnt(0)
	v_mul_hi_u32 v3, s9, v4
	v_add_u32_e32 v3, v4, v3
	v_lshrrev_b32_e32 v3, s10, v3
	v_mul_lo_u32 v5, v3, s8
	v_mul_hi_u32 v6, s12, v3
	v_sub_u32_e32 v4, v4, v5
	v_add_u32_e32 v5, v3, v6
	v_lshrrev_b32_e32 v5, s13, v5
	v_mul_lo_u32 v6, v5, s11
	v_mul_hi_u32 v7, s15, v5
	v_sub_u32_e32 v3, v3, v6
	v_add_u32_e32 v6, v5, v7
	v_mul_lo_u32 v4, v4, s20
	v_mul_lo_u32 v3, v3, s21
	v_lshrrev_b32_e32 v6, s16, v6
	v_add3_u32 v2, v4, v2, v3
	v_mul_hi_u32 v4, s18, v6
	v_add_u32_e32 v4, v6, v4
	v_mul_lo_u32 v3, v6, s14
	v_lshrrev_b32_e32 v4, s19, v4
	s_add_i32 s26, s26, 4
	v_sub_u32_e32 v3, v5, v3
	v_mul_lo_u32 v5, v4, s17
	s_add_u32 s2, s2, 16
	v_sub_u32_e32 v5, v6, v5
	s_addc_u32 s3, s3, 0
	v_mul_lo_u32 v3, v3, s22
	v_mul_lo_u32 v5, v5, s23
	s_cmp_lg_u32 s24, s26
	v_add3_u32 v2, v3, v2, v5
	s_cbranch_scc1 .LBB133_33
; %bb.34:
	s_and_b32 s8, s25, 3
	s_cmp_eq_u32 s8, 0
	s_cbranch_scc0 .LBB133_37
	s_branch .LBB133_39
.LBB133_35:
                                        ; implicit-def: $vgpr2
	s_branch .LBB133_40
.LBB133_36:
	v_mov_b32_e32 v4, v1
	s_and_b32 s8, s25, 3
	s_cmp_eq_u32 s8, 0
	s_cbranch_scc1 .LBB133_39
.LBB133_37:
	s_lshl_b32 s2, s24, 2
	s_add_u32 s2, s2, s4
	s_addc_u32 s3, 0, s5
	s_add_u32 s2, s2, 0xc4
	s_addc_u32 s3, s3, 0
	s_mul_i32 s6, s24, 12
	s_add_u32 s6, s4, s6
	s_addc_u32 s7, 0, s5
.LBB133_38:                             ; =>This Inner Loop Header: Depth=1
	s_load_dwordx2 s[10:11], s[6:7], 0x4
	s_load_dword s9, s[6:7], 0xc
	s_load_dword s12, s[2:3], 0x0
	s_add_u32 s6, s6, 12
	s_addc_u32 s7, s7, 0
	s_waitcnt lgkmcnt(0)
	v_mul_hi_u32 v3, s11, v4
	v_add_u32_e32 v3, v4, v3
	v_lshrrev_b32_e32 v3, s9, v3
	s_add_u32 s2, s2, 4
	v_mul_lo_u32 v5, v3, s10
	s_addc_u32 s3, s3, 0
	s_add_i32 s8, s8, -1
	v_sub_u32_e32 v5, v4, v5
	s_cmp_lg_u32 s8, 0
	v_mov_b32_e32 v4, v3
	v_mad_u64_u32 v[2:3], s[10:11], v5, s12, v[2:3]
	s_cbranch_scc1 .LBB133_38
.LBB133_39:
	s_cbranch_execnz .LBB133_42
.LBB133_40:
	s_load_dwordx4 s[8:11], s[4:5], 0x4
	s_load_dword s2, s[4:5], 0xc4
	s_cmp_lt_u32 s33, 2
	s_waitcnt lgkmcnt(0)
	v_mul_hi_u32 v2, s9, v1
	v_add_u32_e32 v2, v1, v2
	v_lshrrev_b32_e32 v3, s10, v2
	v_mul_lo_u32 v2, v3, s8
	v_sub_u32_e32 v1, v1, v2
	v_mul_lo_u32 v2, v1, s2
	s_cbranch_scc1 .LBB133_42
; %bb.41:
	s_load_dwordx4 s[8:11], s[4:5], 0x10
	s_load_dword s2, s[4:5], 0xc8
	s_waitcnt lgkmcnt(0)
	v_mul_hi_u32 v1, s9, v3
	v_add_u32_e32 v1, v3, v1
	v_lshrrev_b32_e32 v1, s10, v1
	v_mul_lo_u32 v1, v1, s8
	v_sub_u32_e32 v1, v3, v1
	v_mad_u64_u32 v[2:3], s[2:3], v1, s2, v[2:3]
.LBB133_42:
	s_and_b64 vcc, exec, s[0:1]
	v_add_u32_e32 v1, 0x100, v12
	s_cbranch_vccnz .LBB133_48
; %bb.43:
	s_mov_b32 s24, 0
	s_cmp_eq_u32 s33, 0
	v_mov_b32_e32 v4, 0
	s_cbranch_scc1 .LBB133_52
; %bb.44:
	s_min_u32 s25, s46, 15
	s_add_i32 s25, s25, 1
	s_cmp_eq_u32 s46, 2
	v_mov_b32_e32 v4, 0
	s_cbranch_scc1 .LBB133_49
; %bb.45:
	s_add_u32 s2, s4, 0xc4
	s_addc_u32 s3, s5, 0
	s_and_b32 s24, s25, 28
	s_mov_b32 s26, 0
	v_mov_b32_e32 v4, 0
	s_mov_b64 s[6:7], s[4:5]
	v_mov_b32_e32 v3, v1
.LBB133_46:                             ; =>This Inner Loop Header: Depth=1
	s_load_dwordx8 s[8:15], s[6:7], 0x4
	s_load_dwordx4 s[16:19], s[6:7], 0x24
	s_load_dwordx4 s[20:23], s[2:3], 0x0
	s_add_u32 s6, s6, 48
	s_addc_u32 s7, s7, 0
	s_waitcnt lgkmcnt(0)
	v_mul_hi_u32 v5, s9, v3
	v_add_u32_e32 v5, v3, v5
	v_lshrrev_b32_e32 v5, s10, v5
	v_mul_lo_u32 v6, v5, s8
	v_mul_hi_u32 v7, s12, v5
	v_sub_u32_e32 v3, v3, v6
	v_add_u32_e32 v6, v5, v7
	v_lshrrev_b32_e32 v6, s13, v6
	v_mul_lo_u32 v7, v6, s11
	v_mul_hi_u32 v8, s15, v6
	v_sub_u32_e32 v5, v5, v7
	v_add_u32_e32 v7, v6, v8
	v_mul_lo_u32 v3, v3, s20
	v_mul_lo_u32 v5, v5, s21
	v_lshrrev_b32_e32 v7, s16, v7
	v_add3_u32 v4, v3, v4, v5
	v_mul_lo_u32 v3, v7, s14
	v_mul_hi_u32 v5, s18, v7
	v_sub_u32_e32 v3, v6, v3
	v_add_u32_e32 v5, v7, v5
	v_mul_lo_u32 v6, v3, s22
	v_lshrrev_b32_e32 v3, s19, v5
	s_add_i32 s26, s26, 4
	v_mul_lo_u32 v5, v3, s17
	s_add_u32 s2, s2, 16
	v_sub_u32_e32 v5, v7, v5
	s_addc_u32 s3, s3, 0
	v_mul_lo_u32 v5, v5, s23
	s_cmp_lg_u32 s24, s26
	v_add3_u32 v4, v6, v4, v5
	s_cbranch_scc1 .LBB133_46
; %bb.47:
	s_and_b32 s8, s25, 3
	s_cmp_eq_u32 s8, 0
	s_cbranch_scc0 .LBB133_50
	s_branch .LBB133_52
.LBB133_48:
                                        ; implicit-def: $vgpr4
	s_branch .LBB133_53
.LBB133_49:
	v_mov_b32_e32 v3, v1
	s_and_b32 s8, s25, 3
	s_cmp_eq_u32 s8, 0
	s_cbranch_scc1 .LBB133_52
.LBB133_50:
	s_lshl_b32 s2, s24, 2
	s_add_u32 s2, s2, s4
	s_addc_u32 s3, 0, s5
	s_add_u32 s2, s2, 0xc4
	s_addc_u32 s3, s3, 0
	s_mul_i32 s6, s24, 12
	s_add_u32 s6, s4, s6
	s_addc_u32 s7, 0, s5
.LBB133_51:                             ; =>This Inner Loop Header: Depth=1
	s_load_dwordx2 s[10:11], s[6:7], 0x4
	s_load_dword s9, s[6:7], 0xc
	s_load_dword s12, s[2:3], 0x0
	s_add_u32 s6, s6, 12
	s_addc_u32 s7, s7, 0
	s_waitcnt lgkmcnt(0)
	v_mul_hi_u32 v5, s11, v3
	v_add_u32_e32 v5, v3, v5
	v_lshrrev_b32_e32 v5, s9, v5
	s_add_u32 s2, s2, 4
	v_mul_lo_u32 v6, v5, s10
	s_addc_u32 s3, s3, 0
	s_add_i32 s8, s8, -1
	v_sub_u32_e32 v6, v3, v6
	s_cmp_lg_u32 s8, 0
	v_mov_b32_e32 v3, v5
	v_mad_u64_u32 v[4:5], s[10:11], v6, s12, v[4:5]
	s_cbranch_scc1 .LBB133_51
.LBB133_52:
	s_cbranch_execnz .LBB133_55
.LBB133_53:
	s_load_dwordx4 s[8:11], s[4:5], 0x4
	s_load_dword s2, s[4:5], 0xc4
	s_cmp_lt_u32 s33, 2
	s_waitcnt lgkmcnt(0)
	v_mul_hi_u32 v3, s9, v1
	v_add_u32_e32 v3, v1, v3
	v_lshrrev_b32_e32 v3, s10, v3
	v_mul_lo_u32 v4, v3, s8
	v_sub_u32_e32 v1, v1, v4
	v_mul_lo_u32 v4, v1, s2
	s_cbranch_scc1 .LBB133_55
; %bb.54:
	s_load_dwordx4 s[8:11], s[4:5], 0x10
	s_load_dword s2, s[4:5], 0xc8
	s_waitcnt lgkmcnt(0)
	v_mul_hi_u32 v1, s9, v3
	v_add_u32_e32 v1, v3, v1
	v_lshrrev_b32_e32 v1, s10, v1
	v_mul_lo_u32 v1, v1, s8
	v_sub_u32_e32 v1, v3, v1
	v_mad_u64_u32 v[4:5], s[2:3], v1, s2, v[4:5]
.LBB133_55:
	s_and_b64 vcc, exec, s[0:1]
	v_add_u32_e32 v1, 0x180, v12
	s_cbranch_vccnz .LBB133_61
; %bb.56:
	s_mov_b32 s24, 0
	s_cmp_eq_u32 s33, 0
	v_mov_b32_e32 v6, 0
	s_cbranch_scc1 .LBB133_65
; %bb.57:
	s_min_u32 s25, s46, 15
	s_add_i32 s25, s25, 1
	s_cmp_eq_u32 s46, 2
	v_mov_b32_e32 v6, 0
	s_cbranch_scc1 .LBB133_62
; %bb.58:
	s_add_u32 s2, s4, 0xc4
	s_addc_u32 s3, s5, 0
	s_and_b32 s24, s25, 28
	s_mov_b32 s26, 0
	v_mov_b32_e32 v6, 0
	s_mov_b64 s[6:7], s[4:5]
	v_mov_b32_e32 v3, v1
.LBB133_59:                             ; =>This Inner Loop Header: Depth=1
	s_load_dwordx8 s[8:15], s[6:7], 0x4
	s_load_dwordx4 s[16:19], s[6:7], 0x24
	s_load_dwordx4 s[20:23], s[2:3], 0x0
	s_add_u32 s6, s6, 48
	s_addc_u32 s7, s7, 0
	s_waitcnt lgkmcnt(0)
	v_mul_hi_u32 v5, s9, v3
	v_add_u32_e32 v5, v3, v5
	v_lshrrev_b32_e32 v5, s10, v5
	v_mul_lo_u32 v7, v5, s8
	v_mul_hi_u32 v8, s12, v5
	v_sub_u32_e32 v3, v3, v7
	v_add_u32_e32 v7, v5, v8
	v_lshrrev_b32_e32 v7, s13, v7
	v_mul_lo_u32 v8, v7, s11
	v_mul_hi_u32 v9, s15, v7
	v_sub_u32_e32 v5, v5, v8
	v_add_u32_e32 v8, v7, v9
	v_mul_lo_u32 v3, v3, s20
	v_mul_lo_u32 v5, v5, s21
	v_lshrrev_b32_e32 v8, s16, v8
	v_add3_u32 v5, v3, v6, v5
	v_mul_lo_u32 v3, v8, s14
	v_mul_hi_u32 v6, s18, v8
	v_sub_u32_e32 v3, v7, v3
	v_add_u32_e32 v6, v8, v6
	v_mul_lo_u32 v7, v3, s22
	v_lshrrev_b32_e32 v3, s19, v6
	s_add_i32 s26, s26, 4
	v_mul_lo_u32 v6, v3, s17
	s_add_u32 s2, s2, 16
	v_sub_u32_e32 v6, v8, v6
	s_addc_u32 s3, s3, 0
	v_mul_lo_u32 v6, v6, s23
	s_cmp_lg_u32 s24, s26
	v_add3_u32 v6, v7, v5, v6
	s_cbranch_scc1 .LBB133_59
; %bb.60:
	s_and_b32 s8, s25, 3
	s_cmp_eq_u32 s8, 0
	s_cbranch_scc0 .LBB133_63
	s_branch .LBB133_65
.LBB133_61:
                                        ; implicit-def: $vgpr6
	s_branch .LBB133_66
.LBB133_62:
	v_mov_b32_e32 v3, v1
	s_and_b32 s8, s25, 3
	s_cmp_eq_u32 s8, 0
	s_cbranch_scc1 .LBB133_65
.LBB133_63:
	s_lshl_b32 s2, s24, 2
	s_add_u32 s2, s2, s4
	s_addc_u32 s3, 0, s5
	s_add_u32 s2, s2, 0xc4
	s_addc_u32 s3, s3, 0
	s_mul_i32 s6, s24, 12
	s_add_u32 s6, s4, s6
	s_addc_u32 s7, 0, s5
.LBB133_64:                             ; =>This Inner Loop Header: Depth=1
	s_load_dwordx2 s[10:11], s[6:7], 0x4
	s_load_dword s9, s[6:7], 0xc
	s_load_dword s12, s[2:3], 0x0
	s_add_u32 s6, s6, 12
	s_addc_u32 s7, s7, 0
	s_waitcnt lgkmcnt(0)
	v_mul_hi_u32 v5, s11, v3
	v_add_u32_e32 v5, v3, v5
	v_lshrrev_b32_e32 v5, s9, v5
	s_add_u32 s2, s2, 4
	v_mul_lo_u32 v7, v5, s10
	s_addc_u32 s3, s3, 0
	s_add_i32 s8, s8, -1
	v_sub_u32_e32 v7, v3, v7
	s_cmp_lg_u32 s8, 0
	v_mov_b32_e32 v3, v5
	v_mad_u64_u32 v[6:7], s[10:11], v7, s12, v[6:7]
	s_cbranch_scc1 .LBB133_64
.LBB133_65:
	s_cbranch_execnz .LBB133_68
.LBB133_66:
	s_load_dwordx4 s[8:11], s[4:5], 0x4
	s_load_dword s2, s[4:5], 0xc4
	s_cmp_lt_u32 s33, 2
	s_waitcnt lgkmcnt(0)
	v_mul_hi_u32 v3, s9, v1
	v_add_u32_e32 v3, v1, v3
	v_lshrrev_b32_e32 v3, s10, v3
	v_mul_lo_u32 v5, v3, s8
	v_sub_u32_e32 v1, v1, v5
	v_mul_lo_u32 v6, v1, s2
	s_cbranch_scc1 .LBB133_68
; %bb.67:
	s_load_dwordx4 s[8:11], s[4:5], 0x10
	s_load_dword s2, s[4:5], 0xc8
	s_waitcnt lgkmcnt(0)
	v_mul_hi_u32 v1, s9, v3
	v_add_u32_e32 v1, v3, v1
	v_lshrrev_b32_e32 v1, s10, v1
	v_mul_lo_u32 v1, v1, s8
	v_sub_u32_e32 v1, v3, v1
	v_mad_u64_u32 v[6:7], s[2:3], v1, s2, v[6:7]
.LBB133_68:
	s_and_b64 vcc, exec, s[0:1]
	v_add_u32_e32 v1, 0x200, v12
	s_cbranch_vccnz .LBB133_74
; %bb.69:
	s_mov_b32 s24, 0
	s_cmp_eq_u32 s33, 0
	v_mov_b32_e32 v8, 0
	s_cbranch_scc1 .LBB133_78
; %bb.70:
	s_min_u32 s25, s46, 15
	s_add_i32 s25, s25, 1
	s_cmp_eq_u32 s46, 2
	v_mov_b32_e32 v8, 0
	s_cbranch_scc1 .LBB133_75
; %bb.71:
	s_add_u32 s2, s4, 0xc4
	s_addc_u32 s3, s5, 0
	s_and_b32 s24, s25, 28
	s_mov_b32 s26, 0
	v_mov_b32_e32 v8, 0
	s_mov_b64 s[6:7], s[4:5]
	v_mov_b32_e32 v3, v1
.LBB133_72:                             ; =>This Inner Loop Header: Depth=1
	s_load_dwordx8 s[8:15], s[6:7], 0x4
	s_load_dwordx4 s[16:19], s[6:7], 0x24
	s_load_dwordx4 s[20:23], s[2:3], 0x0
	s_add_u32 s6, s6, 48
	s_addc_u32 s7, s7, 0
	s_waitcnt lgkmcnt(0)
	v_mul_hi_u32 v5, s9, v3
	v_add_u32_e32 v5, v3, v5
	v_lshrrev_b32_e32 v5, s10, v5
	v_mul_lo_u32 v7, v5, s8
	v_mul_hi_u32 v9, s12, v5
	v_sub_u32_e32 v3, v3, v7
	v_add_u32_e32 v7, v5, v9
	v_lshrrev_b32_e32 v7, s13, v7
	v_mul_lo_u32 v9, v7, s11
	v_mul_hi_u32 v10, s15, v7
	v_sub_u32_e32 v5, v5, v9
	v_add_u32_e32 v9, v7, v10
	v_mul_lo_u32 v3, v3, s20
	v_mul_lo_u32 v5, v5, s21
	v_lshrrev_b32_e32 v9, s16, v9
	v_add3_u32 v5, v3, v8, v5
	v_mul_lo_u32 v3, v9, s14
	v_mul_hi_u32 v8, s18, v9
	v_sub_u32_e32 v3, v7, v3
	v_add_u32_e32 v7, v9, v8
	v_mul_lo_u32 v8, v3, s22
	v_lshrrev_b32_e32 v3, s19, v7
	s_add_i32 s26, s26, 4
	v_mul_lo_u32 v7, v3, s17
	s_add_u32 s2, s2, 16
	v_sub_u32_e32 v7, v9, v7
	s_addc_u32 s3, s3, 0
	v_mul_lo_u32 v7, v7, s23
	s_cmp_lg_u32 s24, s26
	v_add3_u32 v8, v8, v5, v7
	s_cbranch_scc1 .LBB133_72
; %bb.73:
	s_and_b32 s8, s25, 3
	s_cmp_eq_u32 s8, 0
	s_cbranch_scc0 .LBB133_76
	s_branch .LBB133_78
.LBB133_74:
                                        ; implicit-def: $vgpr8
	s_branch .LBB133_79
.LBB133_75:
	v_mov_b32_e32 v3, v1
	s_and_b32 s8, s25, 3
	s_cmp_eq_u32 s8, 0
	s_cbranch_scc1 .LBB133_78
.LBB133_76:
	s_lshl_b32 s2, s24, 2
	s_add_u32 s2, s2, s4
	s_addc_u32 s3, 0, s5
	s_add_u32 s2, s2, 0xc4
	s_addc_u32 s3, s3, 0
	s_mul_i32 s6, s24, 12
	s_add_u32 s6, s4, s6
	s_addc_u32 s7, 0, s5
.LBB133_77:                             ; =>This Inner Loop Header: Depth=1
	s_load_dwordx2 s[10:11], s[6:7], 0x4
	s_load_dword s9, s[6:7], 0xc
	s_load_dword s12, s[2:3], 0x0
	s_add_u32 s6, s6, 12
	s_addc_u32 s7, s7, 0
	s_waitcnt lgkmcnt(0)
	v_mul_hi_u32 v5, s11, v3
	v_add_u32_e32 v5, v3, v5
	v_lshrrev_b32_e32 v5, s9, v5
	s_add_u32 s2, s2, 4
	v_mul_lo_u32 v7, v5, s10
	s_addc_u32 s3, s3, 0
	s_add_i32 s8, s8, -1
	v_sub_u32_e32 v7, v3, v7
	s_cmp_lg_u32 s8, 0
	v_mov_b32_e32 v3, v5
	v_mad_u64_u32 v[8:9], s[10:11], v7, s12, v[8:9]
	s_cbranch_scc1 .LBB133_77
.LBB133_78:
	s_cbranch_execnz .LBB133_81
.LBB133_79:
	s_load_dwordx4 s[8:11], s[4:5], 0x4
	s_load_dword s2, s[4:5], 0xc4
	s_cmp_lt_u32 s33, 2
	s_waitcnt lgkmcnt(0)
	v_mul_hi_u32 v3, s9, v1
	v_add_u32_e32 v3, v1, v3
	v_lshrrev_b32_e32 v3, s10, v3
	v_mul_lo_u32 v5, v3, s8
	v_sub_u32_e32 v1, v1, v5
	v_mul_lo_u32 v8, v1, s2
	s_cbranch_scc1 .LBB133_81
; %bb.80:
	s_load_dwordx4 s[8:11], s[4:5], 0x10
	s_load_dword s2, s[4:5], 0xc8
	s_waitcnt lgkmcnt(0)
	v_mul_hi_u32 v1, s9, v3
	v_add_u32_e32 v1, v3, v1
	v_lshrrev_b32_e32 v1, s10, v1
	v_mul_lo_u32 v1, v1, s8
	v_sub_u32_e32 v1, v3, v1
	v_mad_u64_u32 v[8:9], s[2:3], v1, s2, v[8:9]
.LBB133_81:
	s_and_b64 vcc, exec, s[0:1]
	v_add_u32_e32 v1, 0x280, v12
	s_cbranch_vccnz .LBB133_87
; %bb.82:
	s_mov_b32 s24, 0
	s_cmp_eq_u32 s33, 0
	v_mov_b32_e32 v10, 0
	s_cbranch_scc1 .LBB133_91
; %bb.83:
	s_min_u32 s25, s46, 15
	s_add_i32 s25, s25, 1
	s_cmp_eq_u32 s46, 2
	v_mov_b32_e32 v10, 0
	s_cbranch_scc1 .LBB133_88
; %bb.84:
	s_add_u32 s2, s4, 0xc4
	s_addc_u32 s3, s5, 0
	s_and_b32 s24, s25, 28
	s_mov_b32 s26, 0
	v_mov_b32_e32 v10, 0
	s_mov_b64 s[6:7], s[4:5]
	v_mov_b32_e32 v3, v1
.LBB133_85:                             ; =>This Inner Loop Header: Depth=1
	s_load_dwordx8 s[8:15], s[6:7], 0x4
	s_load_dwordx4 s[16:19], s[6:7], 0x24
	s_load_dwordx4 s[20:23], s[2:3], 0x0
	s_add_u32 s6, s6, 48
	s_addc_u32 s7, s7, 0
	s_waitcnt lgkmcnt(0)
	v_mul_hi_u32 v5, s9, v3
	v_add_u32_e32 v5, v3, v5
	v_lshrrev_b32_e32 v5, s10, v5
	v_mul_lo_u32 v7, v5, s8
	v_mul_hi_u32 v9, s12, v5
	v_sub_u32_e32 v3, v3, v7
	v_add_u32_e32 v7, v5, v9
	v_lshrrev_b32_e32 v7, s13, v7
	v_mul_lo_u32 v9, v7, s11
	v_mul_hi_u32 v11, s15, v7
	v_sub_u32_e32 v5, v5, v9
	v_add_u32_e32 v9, v7, v11
	v_mul_lo_u32 v3, v3, s20
	v_mul_lo_u32 v5, v5, s21
	v_lshrrev_b32_e32 v9, s16, v9
	v_add3_u32 v5, v3, v10, v5
	v_mul_lo_u32 v3, v9, s14
	v_mul_hi_u32 v10, s18, v9
	v_sub_u32_e32 v3, v7, v3
	v_add_u32_e32 v7, v9, v10
	v_mul_lo_u32 v10, v3, s22
	v_lshrrev_b32_e32 v3, s19, v7
	s_add_i32 s26, s26, 4
	v_mul_lo_u32 v7, v3, s17
	s_add_u32 s2, s2, 16
	v_sub_u32_e32 v7, v9, v7
	s_addc_u32 s3, s3, 0
	v_mul_lo_u32 v7, v7, s23
	s_cmp_lg_u32 s24, s26
	v_add3_u32 v10, v10, v5, v7
	s_cbranch_scc1 .LBB133_85
; %bb.86:
	s_and_b32 s8, s25, 3
	s_cmp_eq_u32 s8, 0
	s_cbranch_scc0 .LBB133_89
	s_branch .LBB133_91
.LBB133_87:
                                        ; implicit-def: $vgpr10
	s_branch .LBB133_92
.LBB133_88:
	v_mov_b32_e32 v3, v1
	s_and_b32 s8, s25, 3
	s_cmp_eq_u32 s8, 0
	s_cbranch_scc1 .LBB133_91
.LBB133_89:
	s_lshl_b32 s2, s24, 2
	s_add_u32 s2, s2, s4
	s_addc_u32 s3, 0, s5
	s_add_u32 s2, s2, 0xc4
	s_addc_u32 s3, s3, 0
	s_mul_i32 s6, s24, 12
	s_add_u32 s6, s4, s6
	s_addc_u32 s7, 0, s5
.LBB133_90:                             ; =>This Inner Loop Header: Depth=1
	s_load_dwordx2 s[10:11], s[6:7], 0x4
	s_load_dword s9, s[6:7], 0xc
	s_load_dword s12, s[2:3], 0x0
	s_add_u32 s6, s6, 12
	s_addc_u32 s7, s7, 0
	s_waitcnt lgkmcnt(0)
	v_mul_hi_u32 v5, s11, v3
	v_add_u32_e32 v5, v3, v5
	v_lshrrev_b32_e32 v5, s9, v5
	s_add_u32 s2, s2, 4
	v_mul_lo_u32 v7, v5, s10
	s_addc_u32 s3, s3, 0
	s_add_i32 s8, s8, -1
	v_sub_u32_e32 v7, v3, v7
	s_cmp_lg_u32 s8, 0
	v_mov_b32_e32 v3, v5
	v_mad_u64_u32 v[10:11], s[10:11], v7, s12, v[10:11]
	s_cbranch_scc1 .LBB133_90
.LBB133_91:
	s_cbranch_execnz .LBB133_94
.LBB133_92:
	s_load_dwordx4 s[8:11], s[4:5], 0x4
	s_load_dword s2, s[4:5], 0xc4
	s_cmp_lt_u32 s33, 2
	s_waitcnt lgkmcnt(0)
	v_mul_hi_u32 v3, s9, v1
	v_add_u32_e32 v3, v1, v3
	v_lshrrev_b32_e32 v3, s10, v3
	v_mul_lo_u32 v5, v3, s8
	v_sub_u32_e32 v1, v1, v5
	v_mul_lo_u32 v10, v1, s2
	s_cbranch_scc1 .LBB133_94
; %bb.93:
	s_load_dwordx4 s[8:11], s[4:5], 0x10
	s_load_dword s2, s[4:5], 0xc8
	s_waitcnt lgkmcnt(0)
	v_mul_hi_u32 v1, s9, v3
	v_add_u32_e32 v1, v3, v1
	v_lshrrev_b32_e32 v1, s10, v1
	v_mul_lo_u32 v1, v1, s8
	v_sub_u32_e32 v1, v3, v1
	v_mad_u64_u32 v[10:11], s[2:3], v1, s2, v[10:11]
.LBB133_94:
	s_and_b64 vcc, exec, s[0:1]
	v_add_u32_e32 v1, 0x300, v12
	s_cbranch_vccnz .LBB133_100
; %bb.95:
	s_mov_b32 s24, 0
	s_cmp_eq_u32 s33, 0
	v_mov_b32_e32 v12, 0
	s_cbranch_scc1 .LBB133_104
; %bb.96:
	s_min_u32 s25, s46, 15
	s_add_i32 s25, s25, 1
	s_cmp_eq_u32 s46, 2
	v_mov_b32_e32 v12, 0
	s_cbranch_scc1 .LBB133_101
; %bb.97:
	s_add_u32 s2, s4, 0xc4
	s_addc_u32 s3, s5, 0
	s_and_b32 s24, s25, 28
	s_mov_b32 s26, 0
	v_mov_b32_e32 v12, 0
	s_mov_b64 s[6:7], s[4:5]
	v_mov_b32_e32 v3, v1
.LBB133_98:                             ; =>This Inner Loop Header: Depth=1
	s_load_dwordx8 s[8:15], s[6:7], 0x4
	s_load_dwordx4 s[16:19], s[6:7], 0x24
	s_load_dwordx4 s[20:23], s[2:3], 0x0
	s_add_u32 s6, s6, 48
	s_addc_u32 s7, s7, 0
	s_waitcnt lgkmcnt(0)
	v_mul_hi_u32 v5, s9, v3
	v_add_u32_e32 v5, v3, v5
	v_lshrrev_b32_e32 v5, s10, v5
	v_mul_lo_u32 v7, v5, s8
	v_mul_hi_u32 v9, s12, v5
	v_sub_u32_e32 v3, v3, v7
	v_add_u32_e32 v7, v5, v9
	v_lshrrev_b32_e32 v7, s13, v7
	v_mul_lo_u32 v9, v7, s11
	v_mul_hi_u32 v11, s15, v7
	v_sub_u32_e32 v5, v5, v9
	v_add_u32_e32 v9, v7, v11
	v_mul_lo_u32 v3, v3, s20
	v_mul_lo_u32 v5, v5, s21
	v_lshrrev_b32_e32 v9, s16, v9
	v_add3_u32 v5, v3, v12, v5
	v_mul_lo_u32 v3, v9, s14
	v_mul_hi_u32 v11, s18, v9
	v_sub_u32_e32 v3, v7, v3
	v_add_u32_e32 v7, v9, v11
	v_mul_lo_u32 v11, v3, s22
	v_lshrrev_b32_e32 v3, s19, v7
	s_add_i32 s26, s26, 4
	v_mul_lo_u32 v7, v3, s17
	s_add_u32 s2, s2, 16
	v_sub_u32_e32 v7, v9, v7
	s_addc_u32 s3, s3, 0
	v_mul_lo_u32 v7, v7, s23
	s_cmp_lg_u32 s24, s26
	v_add3_u32 v12, v11, v5, v7
	s_cbranch_scc1 .LBB133_98
; %bb.99:
	s_and_b32 s8, s25, 3
	s_cmp_eq_u32 s8, 0
	s_cbranch_scc0 .LBB133_102
	s_branch .LBB133_104
.LBB133_100:
                                        ; implicit-def: $vgpr12
	s_branch .LBB133_105
.LBB133_101:
	v_mov_b32_e32 v3, v1
	s_and_b32 s8, s25, 3
	s_cmp_eq_u32 s8, 0
	s_cbranch_scc1 .LBB133_104
.LBB133_102:
	s_lshl_b32 s2, s24, 2
	s_add_u32 s2, s2, s4
	s_addc_u32 s3, 0, s5
	s_add_u32 s2, s2, 0xc4
	s_addc_u32 s3, s3, 0
	s_mul_i32 s6, s24, 12
	s_add_u32 s6, s4, s6
	s_addc_u32 s7, 0, s5
.LBB133_103:                            ; =>This Inner Loop Header: Depth=1
	s_load_dwordx2 s[10:11], s[6:7], 0x4
	s_load_dword s9, s[6:7], 0xc
	s_load_dword s12, s[2:3], 0x0
	s_add_u32 s6, s6, 12
	s_addc_u32 s7, s7, 0
	s_waitcnt lgkmcnt(0)
	v_mul_hi_u32 v5, s11, v3
	v_add_u32_e32 v5, v3, v5
	v_lshrrev_b32_e32 v5, s9, v5
	s_add_u32 s2, s2, 4
	v_mul_lo_u32 v7, v5, s10
	s_addc_u32 s3, s3, 0
	s_add_i32 s8, s8, -1
	v_sub_u32_e32 v7, v3, v7
	s_cmp_lg_u32 s8, 0
	v_mov_b32_e32 v3, v5
	v_mad_u64_u32 v[12:13], s[10:11], v7, s12, v[12:13]
	s_cbranch_scc1 .LBB133_103
.LBB133_104:
	s_cbranch_execnz .LBB133_107
.LBB133_105:
	s_load_dwordx4 s[8:11], s[4:5], 0x4
	s_load_dword s2, s[4:5], 0xc4
	s_cmp_lt_u32 s33, 2
	s_waitcnt lgkmcnt(0)
	v_mul_hi_u32 v3, s9, v1
	v_add_u32_e32 v3, v1, v3
	v_lshrrev_b32_e32 v3, s10, v3
	v_mul_lo_u32 v5, v3, s8
	v_sub_u32_e32 v1, v1, v5
	v_mul_lo_u32 v12, v1, s2
	s_cbranch_scc1 .LBB133_107
; %bb.106:
	s_load_dwordx4 s[8:11], s[4:5], 0x10
	s_load_dword s2, s[4:5], 0xc8
	s_waitcnt lgkmcnt(0)
	v_mul_hi_u32 v1, s9, v3
	v_add_u32_e32 v1, v3, v1
	v_lshrrev_b32_e32 v1, s10, v1
	v_mul_lo_u32 v1, v1, s8
	v_sub_u32_e32 v1, v3, v1
	v_mad_u64_u32 v[12:13], s[2:3], v1, s2, v[12:13]
.LBB133_107:
	s_and_b64 vcc, exec, s[0:1]
	s_cbranch_vccnz .LBB133_113
; %bb.108:
	s_mov_b32 s22, 0
	s_cmp_eq_u32 s33, 0
	v_mov_b32_e32 v14, 0
	s_cbranch_scc1 .LBB133_117
; %bb.109:
	s_min_u32 s23, s46, 15
	s_add_i32 s23, s23, 1
	s_cmp_eq_u32 s46, 2
	v_mov_b32_e32 v14, 0
	s_cbranch_scc1 .LBB133_114
; %bb.110:
	s_add_u32 s6, s4, 0xc4
	s_addc_u32 s7, s5, 0
	s_and_b32 s22, s23, 28
	s_mov_b32 s24, 0
	v_mov_b32_e32 v14, 0
	s_mov_b64 s[20:21], s[4:5]
	v_mov_b32_e32 v1, v16
.LBB133_111:                            ; =>This Inner Loop Header: Depth=1
	s_load_dwordx8 s[8:15], s[20:21], 0x4
	s_load_dwordx4 s[0:3], s[20:21], 0x24
	s_load_dwordx4 s[16:19], s[6:7], 0x0
	s_add_u32 s20, s20, 48
	s_addc_u32 s21, s21, 0
	s_waitcnt lgkmcnt(0)
	v_mul_hi_u32 v3, s9, v1
	v_add_u32_e32 v3, v1, v3
	v_lshrrev_b32_e32 v3, s10, v3
	v_mul_lo_u32 v5, v3, s8
	v_mul_hi_u32 v7, s12, v3
	v_sub_u32_e32 v1, v1, v5
	v_add_u32_e32 v5, v3, v7
	v_lshrrev_b32_e32 v5, s13, v5
	v_mul_lo_u32 v7, v5, s11
	v_mul_hi_u32 v9, s15, v5
	v_sub_u32_e32 v3, v3, v7
	v_add_u32_e32 v7, v5, v9
	v_mul_lo_u32 v1, v1, s16
	v_mul_lo_u32 v3, v3, s17
	v_lshrrev_b32_e32 v7, s0, v7
	v_add3_u32 v3, v1, v14, v3
	v_mul_lo_u32 v1, v7, s14
	v_mul_hi_u32 v9, s2, v7
	v_sub_u32_e32 v1, v5, v1
	v_add_u32_e32 v5, v7, v9
	v_mul_lo_u32 v9, v1, s18
	v_lshrrev_b32_e32 v1, s3, v5
	s_add_i32 s24, s24, 4
	v_mul_lo_u32 v5, v1, s1
	s_add_u32 s6, s6, 16
	v_sub_u32_e32 v5, v7, v5
	s_addc_u32 s7, s7, 0
	v_mul_lo_u32 v5, v5, s19
	s_cmp_lg_u32 s22, s24
	v_add3_u32 v14, v9, v3, v5
	s_cbranch_scc1 .LBB133_111
; %bb.112:
	s_and_b32 s6, s23, 3
	s_cmp_eq_u32 s6, 0
	s_cbranch_scc0 .LBB133_115
	s_branch .LBB133_117
.LBB133_113:
                                        ; implicit-def: $vgpr14
	s_branch .LBB133_118
.LBB133_114:
	v_mov_b32_e32 v1, v16
	s_and_b32 s6, s23, 3
	s_cmp_eq_u32 s6, 0
	s_cbranch_scc1 .LBB133_117
.LBB133_115:
	s_lshl_b32 s0, s22, 2
	s_add_u32 s0, s0, s4
	s_addc_u32 s1, 0, s5
	s_add_u32 s0, s0, 0xc4
	s_addc_u32 s1, s1, 0
	s_mul_i32 s2, s22, 12
	s_add_u32 s2, s4, s2
	s_addc_u32 s3, 0, s5
.LBB133_116:                            ; =>This Inner Loop Header: Depth=1
	s_load_dwordx2 s[8:9], s[2:3], 0x4
	s_load_dword s7, s[2:3], 0xc
	s_load_dword s10, s[0:1], 0x0
	s_add_u32 s2, s2, 12
	s_addc_u32 s3, s3, 0
	s_waitcnt lgkmcnt(0)
	v_mul_hi_u32 v3, s9, v1
	v_add_u32_e32 v3, v1, v3
	v_lshrrev_b32_e32 v3, s7, v3
	s_add_u32 s0, s0, 4
	v_mul_lo_u32 v5, v3, s8
	s_addc_u32 s1, s1, 0
	s_add_i32 s6, s6, -1
	v_sub_u32_e32 v5, v1, v5
	s_cmp_lg_u32 s6, 0
	v_mov_b32_e32 v1, v3
	v_mad_u64_u32 v[14:15], s[8:9], v5, s10, v[14:15]
	s_cbranch_scc1 .LBB133_116
.LBB133_117:
	s_cbranch_execnz .LBB133_120
.LBB133_118:
	s_load_dwordx4 s[0:3], s[4:5], 0x4
	s_waitcnt lgkmcnt(0)
	s_load_dword s3, s[4:5], 0xc4
	s_cmp_lt_u32 s33, 2
	v_mul_hi_u32 v1, s1, v16
	v_add_u32_e32 v1, v16, v1
	v_lshrrev_b32_e32 v1, s2, v1
	v_mul_lo_u32 v3, v1, s0
	v_sub_u32_e32 v3, v16, v3
	s_waitcnt lgkmcnt(0)
	v_mul_lo_u32 v14, v3, s3
	s_cbranch_scc1 .LBB133_120
; %bb.119:
	s_load_dwordx4 s[0:3], s[4:5], 0x10
	s_waitcnt lgkmcnt(0)
	s_load_dword s3, s[4:5], 0xc8
	v_mul_hi_u32 v3, s1, v1
	v_add_u32_e32 v3, v1, v3
	v_lshrrev_b32_e32 v3, s2, v3
	v_mul_lo_u32 v3, v3, s0
	v_sub_u32_e32 v1, v1, v3
	s_waitcnt lgkmcnt(0)
	v_mad_u64_u32 v[14:15], s[0:1], v1, s3, v[14:15]
.LBB133_120:
	s_load_dword s2, s[4:5], 0x110
	s_load_dwordx2 s[0:1], s[4:5], 0x108
	s_waitcnt lgkmcnt(0)
	v_mov_b32_e32 v1, s2
	s_nop 0
	global_store_byte v0, v1, s[0:1]
	global_store_byte v2, v1, s[0:1]
	;; [unrolled: 1-line block ×8, first 2 shown]
	s_endpgm
.LBB133_121:
	v_mov_b32_e32 v0, 0
	s_branch .LBB133_127
.LBB133_122:
	v_mov_b32_e32 v0, 0
	s_branch .LBB133_143
.LBB133_123:
	v_mov_b32_e32 v2, v12
.LBB133_124:
	s_and_b32 s12, s51, 3
	s_cmp_eq_u32 s12, 0
	s_cbranch_scc1 .LBB133_127
; %bb.125:
	s_lshl_b32 s8, s50, 2
	s_add_u32 s8, s8, s4
	s_addc_u32 s9, s5, 0
	s_add_u32 s8, s8, 0xc4
	s_addc_u32 s9, s9, 0
	s_mul_i32 s10, s50, 12
	s_add_u32 s10, s4, s10
	s_addc_u32 s11, s5, 0
.LBB133_126:                            ; =>This Inner Loop Header: Depth=1
	s_load_dwordx2 s[14:15], s[10:11], 0x4
	s_load_dword s13, s[10:11], 0xc
	s_load_dword s16, s[8:9], 0x0
	s_add_u32 s10, s10, 12
	s_addc_u32 s11, s11, 0
	s_waitcnt lgkmcnt(0)
	v_mul_hi_u32 v1, s15, v2
	v_add_u32_e32 v1, v2, v1
	v_lshrrev_b32_e32 v1, s13, v1
	s_add_u32 s8, s8, 4
	v_mul_lo_u32 v3, v1, s14
	s_addc_u32 s9, s9, 0
	s_add_i32 s12, s12, -1
	v_sub_u32_e32 v3, v2, v3
	s_cmp_lg_u32 s12, 0
	v_mov_b32_e32 v2, v1
	v_mad_u64_u32 v[0:1], s[14:15], v3, s16, v[0:1]
	s_cbranch_scc1 .LBB133_126
.LBB133_127:
	s_cbranch_execnz .LBB133_130
.LBB133_128:
	s_waitcnt lgkmcnt(0)
	v_mul_hi_u32 v0, s1, v12
	v_add_u32_e32 v0, v12, v0
	v_lshrrev_b32_e32 v1, s2, v0
	v_mul_lo_u32 v0, v1, s0
	v_sub_u32_e32 v0, v12, v0
	s_andn2_b64 vcc, exec, s[34:35]
	v_mul_lo_u32 v0, v0, s28
	s_cbranch_vccnz .LBB133_130
; %bb.129:
	v_mul_hi_u32 v2, s30, v1
	v_add_u32_e32 v2, v1, v2
	v_lshrrev_b32_e32 v2, s31, v2
	v_mul_lo_u32 v2, v2, s3
	v_sub_u32_e32 v1, v1, v2
	v_mad_u64_u32 v[0:1], s[8:9], v1, s29, v[0:1]
.LBB133_130:
	s_waitcnt lgkmcnt(0)
	v_mov_b32_e32 v1, s47
	v_add_u32_e32 v12, 0x80, v12
	global_store_byte v0, v1, s[26:27]
	s_or_b64 exec, exec, s[40:41]
	v_cmp_gt_i32_e32 vcc, s48, v12
	s_and_saveexec_b64 s[40:41], vcc
	s_cbranch_execnz .LBB133_15
.LBB133_131:
	s_or_b64 exec, exec, s[40:41]
	v_cmp_gt_i32_e32 vcc, s48, v12
	s_and_saveexec_b64 s[40:41], vcc
	s_cbranch_execz .LBB133_147
.LBB133_132:
	s_andn2_b64 vcc, exec, s[6:7]
	s_cbranch_vccnz .LBB133_137
; %bb.133:
	s_andn2_b64 vcc, exec, s[38:39]
	s_cbranch_vccnz .LBB133_138
; %bb.134:
	s_add_i32 s51, s49, 1
	s_mov_b32 s50, 0
	s_cmp_eq_u32 s46, 2
	v_mov_b32_e32 v0, 0
	s_cbranch_scc1 .LBB133_155
; %bb.135:
	s_and_b32 s50, s51, 28
	s_mov_b32 s52, 0
	v_mov_b32_e32 v0, 0
	s_mov_b64 s[42:43], s[4:5]
	s_mov_b64 s[44:45], s[36:37]
	v_mov_b32_e32 v2, v12
.LBB133_136:                            ; =>This Inner Loop Header: Depth=1
	s_load_dwordx8 s[8:15], s[42:43], 0x4
	s_load_dwordx4 s[16:19], s[42:43], 0x24
	s_load_dwordx4 s[20:23], s[44:45], 0x0
	s_add_u32 s42, s42, 48
	s_addc_u32 s43, s43, 0
	s_waitcnt lgkmcnt(0)
	v_mul_hi_u32 v1, s9, v2
	v_add_u32_e32 v1, v2, v1
	v_lshrrev_b32_e32 v1, s10, v1
	v_mul_lo_u32 v3, v1, s8
	v_mul_hi_u32 v4, s12, v1
	v_sub_u32_e32 v2, v2, v3
	v_add_u32_e32 v3, v1, v4
	v_lshrrev_b32_e32 v3, s13, v3
	v_mul_lo_u32 v4, v3, s11
	v_mul_hi_u32 v5, s15, v3
	v_sub_u32_e32 v1, v1, v4
	v_add_u32_e32 v4, v3, v5
	v_mul_lo_u32 v2, v2, s20
	v_mul_lo_u32 v1, v1, s21
	v_lshrrev_b32_e32 v4, s16, v4
	v_add3_u32 v0, v2, v0, v1
	v_mul_hi_u32 v2, s18, v4
	v_add_u32_e32 v2, v4, v2
	v_mul_lo_u32 v1, v4, s14
	v_lshrrev_b32_e32 v2, s19, v2
	s_add_i32 s52, s52, 4
	v_sub_u32_e32 v1, v3, v1
	v_mul_lo_u32 v3, v2, s17
	s_add_u32 s44, s44, 16
	v_sub_u32_e32 v3, v4, v3
	s_addc_u32 s45, s45, 0
	v_mul_lo_u32 v1, v1, s22
	v_mul_lo_u32 v3, v3, s23
	s_cmp_eq_u32 s50, s52
	v_add3_u32 v0, v1, v0, v3
	s_cbranch_scc0 .LBB133_136
	s_branch .LBB133_156
.LBB133_137:
                                        ; implicit-def: $vgpr0
	s_branch .LBB133_160
.LBB133_138:
	v_mov_b32_e32 v0, 0
	s_branch .LBB133_159
.LBB133_139:
	v_mov_b32_e32 v2, v12
.LBB133_140:
	s_and_b32 s12, s51, 3
	s_cmp_eq_u32 s12, 0
	s_cbranch_scc1 .LBB133_143
; %bb.141:
	s_lshl_b32 s8, s50, 2
	s_add_u32 s8, s8, s4
	s_addc_u32 s9, s5, 0
	s_add_u32 s8, s8, 0xc4
	s_addc_u32 s9, s9, 0
	s_mul_i32 s10, s50, 12
	s_add_u32 s10, s4, s10
	s_addc_u32 s11, s5, 0
.LBB133_142:                            ; =>This Inner Loop Header: Depth=1
	s_load_dwordx2 s[14:15], s[10:11], 0x4
	s_load_dword s13, s[10:11], 0xc
	s_load_dword s16, s[8:9], 0x0
	s_add_u32 s10, s10, 12
	s_addc_u32 s11, s11, 0
	s_waitcnt lgkmcnt(0)
	v_mul_hi_u32 v1, s15, v2
	v_add_u32_e32 v1, v2, v1
	v_lshrrev_b32_e32 v1, s13, v1
	s_add_u32 s8, s8, 4
	v_mul_lo_u32 v3, v1, s14
	s_addc_u32 s9, s9, 0
	s_add_i32 s12, s12, -1
	v_sub_u32_e32 v3, v2, v3
	s_cmp_lg_u32 s12, 0
	v_mov_b32_e32 v2, v1
	v_mad_u64_u32 v[0:1], s[14:15], v3, s16, v[0:1]
	s_cbranch_scc1 .LBB133_142
.LBB133_143:
	s_cbranch_execnz .LBB133_146
.LBB133_144:
	s_waitcnt lgkmcnt(0)
	v_mul_hi_u32 v0, s1, v12
	v_add_u32_e32 v0, v12, v0
	v_lshrrev_b32_e32 v1, s2, v0
	v_mul_lo_u32 v0, v1, s0
	v_sub_u32_e32 v0, v12, v0
	s_andn2_b64 vcc, exec, s[34:35]
	v_mul_lo_u32 v0, v0, s28
	s_cbranch_vccnz .LBB133_146
; %bb.145:
	v_mul_hi_u32 v2, s30, v1
	v_add_u32_e32 v2, v1, v2
	v_lshrrev_b32_e32 v2, s31, v2
	v_mul_lo_u32 v2, v2, s3
	v_sub_u32_e32 v1, v1, v2
	v_mad_u64_u32 v[0:1], s[8:9], v1, s29, v[0:1]
.LBB133_146:
	s_waitcnt lgkmcnt(0)
	v_mov_b32_e32 v1, s47
	v_add_u32_e32 v12, 0x80, v12
	global_store_byte v0, v1, s[26:27]
	s_or_b64 exec, exec, s[40:41]
	v_cmp_gt_i32_e32 vcc, s48, v12
	s_and_saveexec_b64 s[40:41], vcc
	s_cbranch_execnz .LBB133_132
.LBB133_147:
	s_or_b64 exec, exec, s[40:41]
	v_cmp_gt_i32_e32 vcc, s48, v12
	s_and_saveexec_b64 s[40:41], vcc
	s_cbranch_execz .LBB133_163
.LBB133_148:
	s_andn2_b64 vcc, exec, s[6:7]
	s_cbranch_vccnz .LBB133_153
; %bb.149:
	s_andn2_b64 vcc, exec, s[38:39]
	s_cbranch_vccnz .LBB133_154
; %bb.150:
	s_add_i32 s51, s49, 1
	s_mov_b32 s50, 0
	s_cmp_eq_u32 s46, 2
	v_mov_b32_e32 v0, 0
	s_cbranch_scc1 .LBB133_171
; %bb.151:
	s_and_b32 s50, s51, 28
	s_mov_b32 s52, 0
	v_mov_b32_e32 v0, 0
	s_mov_b64 s[42:43], s[4:5]
	s_mov_b64 s[44:45], s[36:37]
	v_mov_b32_e32 v2, v12
.LBB133_152:                            ; =>This Inner Loop Header: Depth=1
	s_load_dwordx8 s[8:15], s[42:43], 0x4
	s_load_dwordx4 s[16:19], s[42:43], 0x24
	s_load_dwordx4 s[20:23], s[44:45], 0x0
	s_add_u32 s42, s42, 48
	s_addc_u32 s43, s43, 0
	s_waitcnt lgkmcnt(0)
	v_mul_hi_u32 v1, s9, v2
	v_add_u32_e32 v1, v2, v1
	v_lshrrev_b32_e32 v1, s10, v1
	v_mul_lo_u32 v3, v1, s8
	v_mul_hi_u32 v4, s12, v1
	v_sub_u32_e32 v2, v2, v3
	v_add_u32_e32 v3, v1, v4
	v_lshrrev_b32_e32 v3, s13, v3
	v_mul_lo_u32 v4, v3, s11
	v_mul_hi_u32 v5, s15, v3
	v_sub_u32_e32 v1, v1, v4
	v_add_u32_e32 v4, v3, v5
	v_mul_lo_u32 v2, v2, s20
	v_mul_lo_u32 v1, v1, s21
	v_lshrrev_b32_e32 v4, s16, v4
	v_add3_u32 v0, v2, v0, v1
	v_mul_hi_u32 v2, s18, v4
	v_add_u32_e32 v2, v4, v2
	v_mul_lo_u32 v1, v4, s14
	v_lshrrev_b32_e32 v2, s19, v2
	s_add_i32 s52, s52, 4
	v_sub_u32_e32 v1, v3, v1
	v_mul_lo_u32 v3, v2, s17
	s_add_u32 s44, s44, 16
	v_sub_u32_e32 v3, v4, v3
	s_addc_u32 s45, s45, 0
	v_mul_lo_u32 v1, v1, s22
	v_mul_lo_u32 v3, v3, s23
	s_cmp_eq_u32 s50, s52
	v_add3_u32 v0, v1, v0, v3
	s_cbranch_scc0 .LBB133_152
	s_branch .LBB133_172
.LBB133_153:
                                        ; implicit-def: $vgpr0
	s_branch .LBB133_176
.LBB133_154:
	v_mov_b32_e32 v0, 0
	s_branch .LBB133_175
.LBB133_155:
	v_mov_b32_e32 v2, v12
.LBB133_156:
	s_and_b32 s12, s51, 3
	s_cmp_eq_u32 s12, 0
	s_cbranch_scc1 .LBB133_159
; %bb.157:
	s_lshl_b32 s8, s50, 2
	s_add_u32 s8, s8, s4
	s_addc_u32 s9, s5, 0
	s_add_u32 s8, s8, 0xc4
	s_addc_u32 s9, s9, 0
	s_mul_i32 s10, s50, 12
	s_add_u32 s10, s4, s10
	s_addc_u32 s11, s5, 0
.LBB133_158:                            ; =>This Inner Loop Header: Depth=1
	s_load_dwordx2 s[14:15], s[10:11], 0x4
	s_load_dword s13, s[10:11], 0xc
	s_load_dword s16, s[8:9], 0x0
	s_add_u32 s10, s10, 12
	s_addc_u32 s11, s11, 0
	s_waitcnt lgkmcnt(0)
	v_mul_hi_u32 v1, s15, v2
	v_add_u32_e32 v1, v2, v1
	v_lshrrev_b32_e32 v1, s13, v1
	s_add_u32 s8, s8, 4
	v_mul_lo_u32 v3, v1, s14
	s_addc_u32 s9, s9, 0
	s_add_i32 s12, s12, -1
	v_sub_u32_e32 v3, v2, v3
	s_cmp_lg_u32 s12, 0
	v_mov_b32_e32 v2, v1
	v_mad_u64_u32 v[0:1], s[14:15], v3, s16, v[0:1]
	s_cbranch_scc1 .LBB133_158
.LBB133_159:
	s_cbranch_execnz .LBB133_162
.LBB133_160:
	s_waitcnt lgkmcnt(0)
	v_mul_hi_u32 v0, s1, v12
	v_add_u32_e32 v0, v12, v0
	v_lshrrev_b32_e32 v1, s2, v0
	v_mul_lo_u32 v0, v1, s0
	v_sub_u32_e32 v0, v12, v0
	s_andn2_b64 vcc, exec, s[34:35]
	v_mul_lo_u32 v0, v0, s28
	s_cbranch_vccnz .LBB133_162
; %bb.161:
	v_mul_hi_u32 v2, s30, v1
	v_add_u32_e32 v2, v1, v2
	v_lshrrev_b32_e32 v2, s31, v2
	v_mul_lo_u32 v2, v2, s3
	v_sub_u32_e32 v1, v1, v2
	v_mad_u64_u32 v[0:1], s[8:9], v1, s29, v[0:1]
.LBB133_162:
	s_waitcnt lgkmcnt(0)
	v_mov_b32_e32 v1, s47
	v_add_u32_e32 v12, 0x80, v12
	global_store_byte v0, v1, s[26:27]
	s_or_b64 exec, exec, s[40:41]
	v_cmp_gt_i32_e32 vcc, s48, v12
	s_and_saveexec_b64 s[40:41], vcc
	s_cbranch_execnz .LBB133_148
.LBB133_163:
	s_or_b64 exec, exec, s[40:41]
	v_cmp_gt_i32_e32 vcc, s48, v12
	s_and_saveexec_b64 s[40:41], vcc
	s_cbranch_execz .LBB133_179
.LBB133_164:
	s_andn2_b64 vcc, exec, s[6:7]
	s_cbranch_vccnz .LBB133_169
; %bb.165:
	s_andn2_b64 vcc, exec, s[38:39]
	s_cbranch_vccnz .LBB133_170
; %bb.166:
	s_add_i32 s51, s49, 1
	s_mov_b32 s50, 0
	s_cmp_eq_u32 s46, 2
	v_mov_b32_e32 v0, 0
	s_cbranch_scc1 .LBB133_187
; %bb.167:
	s_and_b32 s50, s51, 28
	s_mov_b32 s52, 0
	v_mov_b32_e32 v0, 0
	s_mov_b64 s[42:43], s[4:5]
	s_mov_b64 s[44:45], s[36:37]
	v_mov_b32_e32 v2, v12
.LBB133_168:                            ; =>This Inner Loop Header: Depth=1
	s_load_dwordx8 s[8:15], s[42:43], 0x4
	s_load_dwordx4 s[16:19], s[42:43], 0x24
	s_load_dwordx4 s[20:23], s[44:45], 0x0
	s_add_u32 s42, s42, 48
	s_addc_u32 s43, s43, 0
	s_waitcnt lgkmcnt(0)
	v_mul_hi_u32 v1, s9, v2
	v_add_u32_e32 v1, v2, v1
	v_lshrrev_b32_e32 v1, s10, v1
	v_mul_lo_u32 v3, v1, s8
	v_mul_hi_u32 v4, s12, v1
	v_sub_u32_e32 v2, v2, v3
	v_add_u32_e32 v3, v1, v4
	v_lshrrev_b32_e32 v3, s13, v3
	v_mul_lo_u32 v4, v3, s11
	v_mul_hi_u32 v5, s15, v3
	v_sub_u32_e32 v1, v1, v4
	v_add_u32_e32 v4, v3, v5
	v_mul_lo_u32 v2, v2, s20
	v_mul_lo_u32 v1, v1, s21
	v_lshrrev_b32_e32 v4, s16, v4
	v_add3_u32 v0, v2, v0, v1
	v_mul_hi_u32 v2, s18, v4
	v_add_u32_e32 v2, v4, v2
	v_mul_lo_u32 v1, v4, s14
	v_lshrrev_b32_e32 v2, s19, v2
	s_add_i32 s52, s52, 4
	v_sub_u32_e32 v1, v3, v1
	v_mul_lo_u32 v3, v2, s17
	s_add_u32 s44, s44, 16
	v_sub_u32_e32 v3, v4, v3
	s_addc_u32 s45, s45, 0
	v_mul_lo_u32 v1, v1, s22
	v_mul_lo_u32 v3, v3, s23
	s_cmp_eq_u32 s50, s52
	v_add3_u32 v0, v1, v0, v3
	s_cbranch_scc0 .LBB133_168
	s_branch .LBB133_188
.LBB133_169:
                                        ; implicit-def: $vgpr0
	s_branch .LBB133_192
.LBB133_170:
	v_mov_b32_e32 v0, 0
	s_branch .LBB133_191
.LBB133_171:
	v_mov_b32_e32 v2, v12
.LBB133_172:
	s_and_b32 s12, s51, 3
	s_cmp_eq_u32 s12, 0
	s_cbranch_scc1 .LBB133_175
; %bb.173:
	s_lshl_b32 s8, s50, 2
	s_add_u32 s8, s8, s4
	s_addc_u32 s9, s5, 0
	s_add_u32 s8, s8, 0xc4
	s_addc_u32 s9, s9, 0
	s_mul_i32 s10, s50, 12
	s_add_u32 s10, s4, s10
	s_addc_u32 s11, s5, 0
.LBB133_174:                            ; =>This Inner Loop Header: Depth=1
	s_load_dwordx2 s[14:15], s[10:11], 0x4
	s_load_dword s13, s[10:11], 0xc
	s_load_dword s16, s[8:9], 0x0
	s_add_u32 s10, s10, 12
	s_addc_u32 s11, s11, 0
	s_waitcnt lgkmcnt(0)
	v_mul_hi_u32 v1, s15, v2
	v_add_u32_e32 v1, v2, v1
	v_lshrrev_b32_e32 v1, s13, v1
	s_add_u32 s8, s8, 4
	v_mul_lo_u32 v3, v1, s14
	s_addc_u32 s9, s9, 0
	s_add_i32 s12, s12, -1
	v_sub_u32_e32 v3, v2, v3
	s_cmp_lg_u32 s12, 0
	v_mov_b32_e32 v2, v1
	v_mad_u64_u32 v[0:1], s[14:15], v3, s16, v[0:1]
	s_cbranch_scc1 .LBB133_174
.LBB133_175:
	s_cbranch_execnz .LBB133_178
.LBB133_176:
	s_waitcnt lgkmcnt(0)
	v_mul_hi_u32 v0, s1, v12
	v_add_u32_e32 v0, v12, v0
	v_lshrrev_b32_e32 v1, s2, v0
	v_mul_lo_u32 v0, v1, s0
	v_sub_u32_e32 v0, v12, v0
	s_andn2_b64 vcc, exec, s[34:35]
	v_mul_lo_u32 v0, v0, s28
	s_cbranch_vccnz .LBB133_178
; %bb.177:
	v_mul_hi_u32 v2, s30, v1
	v_add_u32_e32 v2, v1, v2
	v_lshrrev_b32_e32 v2, s31, v2
	v_mul_lo_u32 v2, v2, s3
	v_sub_u32_e32 v1, v1, v2
	v_mad_u64_u32 v[0:1], s[8:9], v1, s29, v[0:1]
.LBB133_178:
	s_waitcnt lgkmcnt(0)
	v_mov_b32_e32 v1, s47
	v_add_u32_e32 v12, 0x80, v12
	global_store_byte v0, v1, s[26:27]
	s_or_b64 exec, exec, s[40:41]
	v_cmp_gt_i32_e32 vcc, s48, v12
	s_and_saveexec_b64 s[40:41], vcc
	s_cbranch_execnz .LBB133_164
.LBB133_179:
	s_or_b64 exec, exec, s[40:41]
	v_cmp_gt_i32_e32 vcc, s48, v12
	s_and_saveexec_b64 s[40:41], vcc
	s_cbranch_execz .LBB133_195
.LBB133_180:
	s_andn2_b64 vcc, exec, s[6:7]
	s_cbranch_vccnz .LBB133_185
; %bb.181:
	s_andn2_b64 vcc, exec, s[38:39]
	s_cbranch_vccnz .LBB133_186
; %bb.182:
	s_add_i32 s51, s49, 1
	s_mov_b32 s50, 0
	s_cmp_eq_u32 s46, 2
	v_mov_b32_e32 v0, 0
	s_cbranch_scc1 .LBB133_203
; %bb.183:
	s_and_b32 s50, s51, 28
	s_mov_b32 s52, 0
	v_mov_b32_e32 v0, 0
	s_mov_b64 s[42:43], s[4:5]
	s_mov_b64 s[44:45], s[36:37]
	v_mov_b32_e32 v2, v12
.LBB133_184:                            ; =>This Inner Loop Header: Depth=1
	s_load_dwordx8 s[8:15], s[42:43], 0x4
	s_load_dwordx4 s[16:19], s[42:43], 0x24
	s_load_dwordx4 s[20:23], s[44:45], 0x0
	s_add_u32 s42, s42, 48
	s_addc_u32 s43, s43, 0
	s_waitcnt lgkmcnt(0)
	v_mul_hi_u32 v1, s9, v2
	v_add_u32_e32 v1, v2, v1
	v_lshrrev_b32_e32 v1, s10, v1
	v_mul_lo_u32 v3, v1, s8
	v_mul_hi_u32 v4, s12, v1
	v_sub_u32_e32 v2, v2, v3
	v_add_u32_e32 v3, v1, v4
	v_lshrrev_b32_e32 v3, s13, v3
	v_mul_lo_u32 v4, v3, s11
	v_mul_hi_u32 v5, s15, v3
	v_sub_u32_e32 v1, v1, v4
	v_add_u32_e32 v4, v3, v5
	v_mul_lo_u32 v2, v2, s20
	v_mul_lo_u32 v1, v1, s21
	v_lshrrev_b32_e32 v4, s16, v4
	v_add3_u32 v0, v2, v0, v1
	v_mul_hi_u32 v2, s18, v4
	v_add_u32_e32 v2, v4, v2
	v_mul_lo_u32 v1, v4, s14
	v_lshrrev_b32_e32 v2, s19, v2
	s_add_i32 s52, s52, 4
	v_sub_u32_e32 v1, v3, v1
	v_mul_lo_u32 v3, v2, s17
	s_add_u32 s44, s44, 16
	v_sub_u32_e32 v3, v4, v3
	s_addc_u32 s45, s45, 0
	v_mul_lo_u32 v1, v1, s22
	v_mul_lo_u32 v3, v3, s23
	s_cmp_eq_u32 s50, s52
	v_add3_u32 v0, v1, v0, v3
	s_cbranch_scc0 .LBB133_184
	s_branch .LBB133_204
.LBB133_185:
                                        ; implicit-def: $vgpr0
	s_branch .LBB133_208
.LBB133_186:
	v_mov_b32_e32 v0, 0
	s_branch .LBB133_207
.LBB133_187:
	v_mov_b32_e32 v2, v12
.LBB133_188:
	s_and_b32 s12, s51, 3
	s_cmp_eq_u32 s12, 0
	s_cbranch_scc1 .LBB133_191
; %bb.189:
	s_lshl_b32 s8, s50, 2
	s_add_u32 s8, s8, s4
	s_addc_u32 s9, s5, 0
	s_add_u32 s8, s8, 0xc4
	s_addc_u32 s9, s9, 0
	s_mul_i32 s10, s50, 12
	s_add_u32 s10, s4, s10
	s_addc_u32 s11, s5, 0
.LBB133_190:                            ; =>This Inner Loop Header: Depth=1
	s_load_dwordx2 s[14:15], s[10:11], 0x4
	s_load_dword s13, s[10:11], 0xc
	s_load_dword s16, s[8:9], 0x0
	s_add_u32 s10, s10, 12
	s_addc_u32 s11, s11, 0
	s_waitcnt lgkmcnt(0)
	v_mul_hi_u32 v1, s15, v2
	v_add_u32_e32 v1, v2, v1
	v_lshrrev_b32_e32 v1, s13, v1
	s_add_u32 s8, s8, 4
	v_mul_lo_u32 v3, v1, s14
	s_addc_u32 s9, s9, 0
	s_add_i32 s12, s12, -1
	v_sub_u32_e32 v3, v2, v3
	s_cmp_lg_u32 s12, 0
	v_mov_b32_e32 v2, v1
	v_mad_u64_u32 v[0:1], s[14:15], v3, s16, v[0:1]
	s_cbranch_scc1 .LBB133_190
.LBB133_191:
	s_cbranch_execnz .LBB133_194
.LBB133_192:
	s_waitcnt lgkmcnt(0)
	v_mul_hi_u32 v0, s1, v12
	v_add_u32_e32 v0, v12, v0
	v_lshrrev_b32_e32 v1, s2, v0
	v_mul_lo_u32 v0, v1, s0
	v_sub_u32_e32 v0, v12, v0
	s_andn2_b64 vcc, exec, s[34:35]
	v_mul_lo_u32 v0, v0, s28
	s_cbranch_vccnz .LBB133_194
; %bb.193:
	v_mul_hi_u32 v2, s30, v1
	v_add_u32_e32 v2, v1, v2
	v_lshrrev_b32_e32 v2, s31, v2
	v_mul_lo_u32 v2, v2, s3
	v_sub_u32_e32 v1, v1, v2
	v_mad_u64_u32 v[0:1], s[8:9], v1, s29, v[0:1]
.LBB133_194:
	s_waitcnt lgkmcnt(0)
	v_mov_b32_e32 v1, s47
	v_add_u32_e32 v12, 0x80, v12
	global_store_byte v0, v1, s[26:27]
	s_or_b64 exec, exec, s[40:41]
	v_cmp_gt_i32_e32 vcc, s48, v12
	s_and_saveexec_b64 s[40:41], vcc
	s_cbranch_execnz .LBB133_180
.LBB133_195:
	s_or_b64 exec, exec, s[40:41]
	v_cmp_gt_i32_e32 vcc, s48, v12
	s_and_saveexec_b64 s[40:41], vcc
	s_cbranch_execz .LBB133_211
.LBB133_196:
	s_andn2_b64 vcc, exec, s[6:7]
	s_cbranch_vccnz .LBB133_201
; %bb.197:
	s_andn2_b64 vcc, exec, s[38:39]
	s_cbranch_vccnz .LBB133_202
; %bb.198:
	s_add_i32 s51, s49, 1
	s_mov_b32 s50, 0
	s_cmp_eq_u32 s46, 2
	v_mov_b32_e32 v0, 0
	s_cbranch_scc1 .LBB133_214
; %bb.199:
	s_and_b32 s50, s51, 28
	s_mov_b32 s52, 0
	v_mov_b32_e32 v0, 0
	s_mov_b64 s[42:43], s[4:5]
	s_mov_b64 s[44:45], s[36:37]
	v_mov_b32_e32 v2, v12
.LBB133_200:                            ; =>This Inner Loop Header: Depth=1
	s_load_dwordx8 s[8:15], s[42:43], 0x4
	s_load_dwordx4 s[16:19], s[42:43], 0x24
	s_load_dwordx4 s[20:23], s[44:45], 0x0
	s_add_u32 s42, s42, 48
	s_addc_u32 s43, s43, 0
	s_waitcnt lgkmcnt(0)
	v_mul_hi_u32 v1, s9, v2
	v_add_u32_e32 v1, v2, v1
	v_lshrrev_b32_e32 v1, s10, v1
	v_mul_lo_u32 v3, v1, s8
	v_mul_hi_u32 v4, s12, v1
	v_sub_u32_e32 v2, v2, v3
	v_add_u32_e32 v3, v1, v4
	v_lshrrev_b32_e32 v3, s13, v3
	v_mul_lo_u32 v4, v3, s11
	v_mul_hi_u32 v5, s15, v3
	v_sub_u32_e32 v1, v1, v4
	v_add_u32_e32 v4, v3, v5
	v_mul_lo_u32 v2, v2, s20
	v_mul_lo_u32 v1, v1, s21
	v_lshrrev_b32_e32 v4, s16, v4
	v_add3_u32 v0, v2, v0, v1
	v_mul_hi_u32 v2, s18, v4
	v_add_u32_e32 v2, v4, v2
	v_mul_lo_u32 v1, v4, s14
	v_lshrrev_b32_e32 v2, s19, v2
	s_add_i32 s52, s52, 4
	v_sub_u32_e32 v1, v3, v1
	v_mul_lo_u32 v3, v2, s17
	s_add_u32 s44, s44, 16
	v_sub_u32_e32 v3, v4, v3
	s_addc_u32 s45, s45, 0
	v_mul_lo_u32 v1, v1, s22
	v_mul_lo_u32 v3, v3, s23
	s_cmp_eq_u32 s50, s52
	v_add3_u32 v0, v1, v0, v3
	s_cbranch_scc0 .LBB133_200
	s_branch .LBB133_215
.LBB133_201:
                                        ; implicit-def: $vgpr0
	s_branch .LBB133_219
.LBB133_202:
	v_mov_b32_e32 v0, 0
	s_branch .LBB133_218
.LBB133_203:
	v_mov_b32_e32 v2, v12
.LBB133_204:
	s_and_b32 s12, s51, 3
	s_cmp_eq_u32 s12, 0
	s_cbranch_scc1 .LBB133_207
; %bb.205:
	s_lshl_b32 s8, s50, 2
	s_add_u32 s8, s8, s4
	s_addc_u32 s9, s5, 0
	s_add_u32 s8, s8, 0xc4
	s_addc_u32 s9, s9, 0
	s_mul_i32 s10, s50, 12
	s_add_u32 s10, s4, s10
	s_addc_u32 s11, s5, 0
.LBB133_206:                            ; =>This Inner Loop Header: Depth=1
	s_load_dwordx2 s[14:15], s[10:11], 0x4
	s_load_dword s13, s[10:11], 0xc
	s_load_dword s16, s[8:9], 0x0
	s_add_u32 s10, s10, 12
	s_addc_u32 s11, s11, 0
	s_waitcnt lgkmcnt(0)
	v_mul_hi_u32 v1, s15, v2
	v_add_u32_e32 v1, v2, v1
	v_lshrrev_b32_e32 v1, s13, v1
	s_add_u32 s8, s8, 4
	v_mul_lo_u32 v3, v1, s14
	s_addc_u32 s9, s9, 0
	s_add_i32 s12, s12, -1
	v_sub_u32_e32 v3, v2, v3
	s_cmp_lg_u32 s12, 0
	v_mov_b32_e32 v2, v1
	v_mad_u64_u32 v[0:1], s[14:15], v3, s16, v[0:1]
	s_cbranch_scc1 .LBB133_206
.LBB133_207:
	s_cbranch_execnz .LBB133_210
.LBB133_208:
	s_waitcnt lgkmcnt(0)
	v_mul_hi_u32 v0, s1, v12
	v_add_u32_e32 v0, v12, v0
	v_lshrrev_b32_e32 v1, s2, v0
	v_mul_lo_u32 v0, v1, s0
	v_sub_u32_e32 v0, v12, v0
	s_andn2_b64 vcc, exec, s[34:35]
	v_mul_lo_u32 v0, v0, s28
	s_cbranch_vccnz .LBB133_210
; %bb.209:
	v_mul_hi_u32 v2, s30, v1
	v_add_u32_e32 v2, v1, v2
	v_lshrrev_b32_e32 v2, s31, v2
	v_mul_lo_u32 v2, v2, s3
	v_sub_u32_e32 v1, v1, v2
	v_mad_u64_u32 v[0:1], s[8:9], v1, s29, v[0:1]
.LBB133_210:
	s_waitcnt lgkmcnt(0)
	v_mov_b32_e32 v1, s47
	v_add_u32_e32 v12, 0x80, v12
	global_store_byte v0, v1, s[26:27]
	s_or_b64 exec, exec, s[40:41]
	v_cmp_gt_i32_e32 vcc, s48, v12
	s_and_saveexec_b64 s[40:41], vcc
	s_cbranch_execnz .LBB133_196
.LBB133_211:
	s_or_b64 exec, exec, s[40:41]
	v_cmp_gt_i32_e32 vcc, s48, v12
	s_and_saveexec_b64 s[40:41], vcc
	s_cbranch_execnz .LBB133_222
.LBB133_212:
	s_or_b64 exec, exec, s[40:41]
                                        ; implicit-def: $vgpr16
                                        ; implicit-def: $vgpr12
	s_waitcnt lgkmcnt(0)
	s_andn2_saveexec_b64 s[0:1], s[24:25]
	s_cbranch_execnz .LBB133_8
.LBB133_213:
	s_endpgm
.LBB133_214:
	v_mov_b32_e32 v2, v12
.LBB133_215:
	s_and_b32 s12, s51, 3
	s_cmp_eq_u32 s12, 0
	s_cbranch_scc1 .LBB133_218
; %bb.216:
	s_lshl_b32 s8, s50, 2
	s_add_u32 s8, s8, s4
	s_addc_u32 s9, s5, 0
	s_add_u32 s8, s8, 0xc4
	s_addc_u32 s9, s9, 0
	s_mul_i32 s10, s50, 12
	s_add_u32 s10, s4, s10
	s_addc_u32 s11, s5, 0
.LBB133_217:                            ; =>This Inner Loop Header: Depth=1
	s_load_dwordx2 s[14:15], s[10:11], 0x4
	s_load_dword s13, s[10:11], 0xc
	s_load_dword s16, s[8:9], 0x0
	s_add_u32 s10, s10, 12
	s_addc_u32 s11, s11, 0
	s_waitcnt lgkmcnt(0)
	v_mul_hi_u32 v1, s15, v2
	v_add_u32_e32 v1, v2, v1
	v_lshrrev_b32_e32 v1, s13, v1
	s_add_u32 s8, s8, 4
	v_mul_lo_u32 v3, v1, s14
	s_addc_u32 s9, s9, 0
	s_add_i32 s12, s12, -1
	v_sub_u32_e32 v3, v2, v3
	s_cmp_lg_u32 s12, 0
	v_mov_b32_e32 v2, v1
	v_mad_u64_u32 v[0:1], s[14:15], v3, s16, v[0:1]
	s_cbranch_scc1 .LBB133_217
.LBB133_218:
	s_cbranch_execnz .LBB133_221
.LBB133_219:
	s_waitcnt lgkmcnt(0)
	v_mul_hi_u32 v0, s1, v12
	v_add_u32_e32 v0, v12, v0
	v_lshrrev_b32_e32 v1, s2, v0
	v_mul_lo_u32 v0, v1, s0
	v_sub_u32_e32 v0, v12, v0
	s_andn2_b64 vcc, exec, s[34:35]
	v_mul_lo_u32 v0, v0, s28
	s_cbranch_vccnz .LBB133_221
; %bb.220:
	v_mul_hi_u32 v2, s30, v1
	v_add_u32_e32 v2, v1, v2
	v_lshrrev_b32_e32 v2, s31, v2
	v_mul_lo_u32 v2, v2, s3
	v_sub_u32_e32 v1, v1, v2
	v_mad_u64_u32 v[0:1], s[8:9], v1, s29, v[0:1]
.LBB133_221:
	s_waitcnt lgkmcnt(0)
	v_mov_b32_e32 v1, s47
	v_add_u32_e32 v12, 0x80, v12
	global_store_byte v0, v1, s[26:27]
	s_or_b64 exec, exec, s[40:41]
	v_cmp_gt_i32_e32 vcc, s48, v12
	s_and_saveexec_b64 s[40:41], vcc
	s_cbranch_execz .LBB133_212
.LBB133_222:
	s_andn2_b64 vcc, exec, s[6:7]
	s_cbranch_vccnz .LBB133_227
; %bb.223:
	s_andn2_b64 vcc, exec, s[38:39]
	s_cbranch_vccnz .LBB133_228
; %bb.224:
	s_add_i32 s49, s49, 1
	s_mov_b32 s42, 0
	s_cmp_eq_u32 s46, 2
	v_mov_b32_e32 v0, 0
	s_cbranch_scc1 .LBB133_229
; %bb.225:
	s_and_b32 s42, s49, 28
	s_mov_b32 s43, 0
	v_mov_b32_e32 v0, 0
	s_mov_b64 s[38:39], s[4:5]
	v_mov_b32_e32 v2, v12
.LBB133_226:                            ; =>This Inner Loop Header: Depth=1
	s_load_dwordx8 s[8:15], s[38:39], 0x4
	s_load_dwordx4 s[16:19], s[38:39], 0x24
	s_load_dwordx4 s[20:23], s[36:37], 0x0
	s_add_u32 s38, s38, 48
	s_addc_u32 s39, s39, 0
	s_waitcnt lgkmcnt(0)
	v_mul_hi_u32 v1, s9, v2
	v_add_u32_e32 v1, v2, v1
	v_lshrrev_b32_e32 v1, s10, v1
	v_mul_lo_u32 v3, v1, s8
	v_mul_hi_u32 v4, s12, v1
	v_sub_u32_e32 v2, v2, v3
	v_add_u32_e32 v3, v1, v4
	v_lshrrev_b32_e32 v3, s13, v3
	v_mul_lo_u32 v4, v3, s11
	v_mul_hi_u32 v5, s15, v3
	v_sub_u32_e32 v1, v1, v4
	v_add_u32_e32 v4, v3, v5
	v_mul_lo_u32 v2, v2, s20
	v_mul_lo_u32 v1, v1, s21
	v_lshrrev_b32_e32 v4, s16, v4
	v_add3_u32 v0, v2, v0, v1
	v_mul_hi_u32 v2, s18, v4
	v_add_u32_e32 v2, v4, v2
	v_mul_lo_u32 v1, v4, s14
	v_lshrrev_b32_e32 v2, s19, v2
	s_add_i32 s43, s43, 4
	v_sub_u32_e32 v1, v3, v1
	v_mul_lo_u32 v3, v2, s17
	s_add_u32 s36, s36, 16
	v_sub_u32_e32 v3, v4, v3
	s_addc_u32 s37, s37, 0
	v_mul_lo_u32 v1, v1, s22
	v_mul_lo_u32 v3, v3, s23
	s_cmp_eq_u32 s42, s43
	v_add3_u32 v0, v1, v0, v3
	s_cbranch_scc0 .LBB133_226
	s_branch .LBB133_230
.LBB133_227:
                                        ; implicit-def: $vgpr0
	s_branch .LBB133_234
.LBB133_228:
	v_mov_b32_e32 v0, 0
	s_branch .LBB133_233
.LBB133_229:
	v_mov_b32_e32 v2, v12
.LBB133_230:
	s_and_b32 s12, s49, 3
	s_cmp_eq_u32 s12, 0
	s_cbranch_scc1 .LBB133_233
; %bb.231:
	s_lshl_b32 s8, s42, 2
	s_add_u32 s8, s8, s4
	s_addc_u32 s9, s5, 0
	s_add_u32 s8, s8, 0xc4
	s_addc_u32 s9, s9, 0
	s_mul_i32 s10, s42, 12
	s_add_u32 s10, s4, s10
	s_addc_u32 s11, s5, 0
.LBB133_232:                            ; =>This Inner Loop Header: Depth=1
	s_load_dwordx2 s[14:15], s[10:11], 0x4
	s_load_dword s13, s[10:11], 0xc
	s_load_dword s16, s[8:9], 0x0
	s_add_u32 s10, s10, 12
	s_addc_u32 s11, s11, 0
	s_waitcnt lgkmcnt(0)
	v_mul_hi_u32 v1, s15, v2
	v_add_u32_e32 v1, v2, v1
	v_lshrrev_b32_e32 v1, s13, v1
	s_add_u32 s8, s8, 4
	v_mul_lo_u32 v3, v1, s14
	s_addc_u32 s9, s9, 0
	s_add_i32 s12, s12, -1
	v_sub_u32_e32 v3, v2, v3
	s_cmp_lg_u32 s12, 0
	v_mov_b32_e32 v2, v1
	v_mad_u64_u32 v[0:1], s[14:15], v3, s16, v[0:1]
	s_cbranch_scc1 .LBB133_232
.LBB133_233:
	s_cbranch_execnz .LBB133_236
.LBB133_234:
	s_waitcnt lgkmcnt(0)
	v_mul_hi_u32 v0, s1, v12
	v_add_u32_e32 v0, v12, v0
	v_lshrrev_b32_e32 v1, s2, v0
	v_mul_lo_u32 v0, v1, s0
	v_sub_u32_e32 v0, v12, v0
	s_andn2_b64 vcc, exec, s[34:35]
	v_mul_lo_u32 v0, v0, s28
	s_cbranch_vccnz .LBB133_236
; %bb.235:
	v_mul_hi_u32 v2, s30, v1
	v_add_u32_e32 v2, v1, v2
	v_lshrrev_b32_e32 v2, s31, v2
	v_mul_lo_u32 v2, v2, s3
	v_sub_u32_e32 v1, v1, v2
	v_mad_u64_u32 v[0:1], s[0:1], v1, s29, v[0:1]
.LBB133_236:
	s_waitcnt lgkmcnt(0)
	v_mov_b32_e32 v1, s47
	global_store_byte v0, v1, s[26:27]
	s_or_b64 exec, exec, s[40:41]
                                        ; implicit-def: $vgpr16
                                        ; implicit-def: $vgpr12
	s_andn2_saveexec_b64 s[0:1], s[24:25]
	s_cbranch_execz .LBB133_213
	s_branch .LBB133_8
	.section	.rodata,"a",@progbits
	.p2align	6, 0x0
	.amdhsa_kernel _ZN2at6native32elementwise_kernel_manual_unrollILi128ELi8EZNS0_22gpu_kernel_impl_nocastINS0_11FillFunctorIN3c1013Float8_e4m3fnEEEEEvRNS_18TensorIteratorBaseERKT_EUlibE_EEviT1_
		.amdhsa_group_segment_fixed_size 0
		.amdhsa_private_segment_fixed_size 0
		.amdhsa_kernarg_size 288
		.amdhsa_user_sgpr_count 6
		.amdhsa_user_sgpr_private_segment_buffer 1
		.amdhsa_user_sgpr_dispatch_ptr 0
		.amdhsa_user_sgpr_queue_ptr 0
		.amdhsa_user_sgpr_kernarg_segment_ptr 1
		.amdhsa_user_sgpr_dispatch_id 0
		.amdhsa_user_sgpr_flat_scratch_init 0
		.amdhsa_user_sgpr_kernarg_preload_length 0
		.amdhsa_user_sgpr_kernarg_preload_offset 0
		.amdhsa_user_sgpr_private_segment_size 0
		.amdhsa_uses_dynamic_stack 0
		.amdhsa_system_sgpr_private_segment_wavefront_offset 0
		.amdhsa_system_sgpr_workgroup_id_x 1
		.amdhsa_system_sgpr_workgroup_id_y 0
		.amdhsa_system_sgpr_workgroup_id_z 0
		.amdhsa_system_sgpr_workgroup_info 0
		.amdhsa_system_vgpr_workitem_id 0
		.amdhsa_next_free_vgpr 17
		.amdhsa_next_free_sgpr 53
		.amdhsa_accum_offset 20
		.amdhsa_reserve_vcc 1
		.amdhsa_reserve_flat_scratch 0
		.amdhsa_float_round_mode_32 0
		.amdhsa_float_round_mode_16_64 0
		.amdhsa_float_denorm_mode_32 3
		.amdhsa_float_denorm_mode_16_64 3
		.amdhsa_dx10_clamp 1
		.amdhsa_ieee_mode 1
		.amdhsa_fp16_overflow 0
		.amdhsa_tg_split 0
		.amdhsa_exception_fp_ieee_invalid_op 0
		.amdhsa_exception_fp_denorm_src 0
		.amdhsa_exception_fp_ieee_div_zero 0
		.amdhsa_exception_fp_ieee_overflow 0
		.amdhsa_exception_fp_ieee_underflow 0
		.amdhsa_exception_fp_ieee_inexact 0
		.amdhsa_exception_int_div_zero 0
	.end_amdhsa_kernel
	.section	.text._ZN2at6native32elementwise_kernel_manual_unrollILi128ELi8EZNS0_22gpu_kernel_impl_nocastINS0_11FillFunctorIN3c1013Float8_e4m3fnEEEEEvRNS_18TensorIteratorBaseERKT_EUlibE_EEviT1_,"axG",@progbits,_ZN2at6native32elementwise_kernel_manual_unrollILi128ELi8EZNS0_22gpu_kernel_impl_nocastINS0_11FillFunctorIN3c1013Float8_e4m3fnEEEEEvRNS_18TensorIteratorBaseERKT_EUlibE_EEviT1_,comdat
.Lfunc_end133:
	.size	_ZN2at6native32elementwise_kernel_manual_unrollILi128ELi8EZNS0_22gpu_kernel_impl_nocastINS0_11FillFunctorIN3c1013Float8_e4m3fnEEEEEvRNS_18TensorIteratorBaseERKT_EUlibE_EEviT1_, .Lfunc_end133-_ZN2at6native32elementwise_kernel_manual_unrollILi128ELi8EZNS0_22gpu_kernel_impl_nocastINS0_11FillFunctorIN3c1013Float8_e4m3fnEEEEEvRNS_18TensorIteratorBaseERKT_EUlibE_EEviT1_
                                        ; -- End function
	.section	.AMDGPU.csdata,"",@progbits
; Kernel info:
; codeLenInByte = 9664
; NumSgprs: 57
; NumVgprs: 17
; NumAgprs: 0
; TotalNumVgprs: 17
; ScratchSize: 0
; MemoryBound: 0
; FloatMode: 240
; IeeeMode: 1
; LDSByteSize: 0 bytes/workgroup (compile time only)
; SGPRBlocks: 7
; VGPRBlocks: 2
; NumSGPRsForWavesPerEU: 57
; NumVGPRsForWavesPerEU: 17
; AccumOffset: 20
; Occupancy: 8
; WaveLimiterHint : 1
; COMPUTE_PGM_RSRC2:SCRATCH_EN: 0
; COMPUTE_PGM_RSRC2:USER_SGPR: 6
; COMPUTE_PGM_RSRC2:TRAP_HANDLER: 0
; COMPUTE_PGM_RSRC2:TGID_X_EN: 1
; COMPUTE_PGM_RSRC2:TGID_Y_EN: 0
; COMPUTE_PGM_RSRC2:TGID_Z_EN: 0
; COMPUTE_PGM_RSRC2:TIDIG_COMP_CNT: 0
; COMPUTE_PGM_RSRC3_GFX90A:ACCUM_OFFSET: 4
; COMPUTE_PGM_RSRC3_GFX90A:TG_SPLIT: 0
	.section	.text._ZN2at6native32elementwise_kernel_manual_unrollILi128ELi4EZNS0_15gpu_kernel_implINS0_11FillFunctorIN3c1013Float8_e4m3fnEEEEEvRNS_18TensorIteratorBaseERKT_EUlibE_EEviT1_,"axG",@progbits,_ZN2at6native32elementwise_kernel_manual_unrollILi128ELi4EZNS0_15gpu_kernel_implINS0_11FillFunctorIN3c1013Float8_e4m3fnEEEEEvRNS_18TensorIteratorBaseERKT_EUlibE_EEviT1_,comdat
	.protected	_ZN2at6native32elementwise_kernel_manual_unrollILi128ELi4EZNS0_15gpu_kernel_implINS0_11FillFunctorIN3c1013Float8_e4m3fnEEEEEvRNS_18TensorIteratorBaseERKT_EUlibE_EEviT1_ ; -- Begin function _ZN2at6native32elementwise_kernel_manual_unrollILi128ELi4EZNS0_15gpu_kernel_implINS0_11FillFunctorIN3c1013Float8_e4m3fnEEEEEvRNS_18TensorIteratorBaseERKT_EUlibE_EEviT1_
	.globl	_ZN2at6native32elementwise_kernel_manual_unrollILi128ELi4EZNS0_15gpu_kernel_implINS0_11FillFunctorIN3c1013Float8_e4m3fnEEEEEvRNS_18TensorIteratorBaseERKT_EUlibE_EEviT1_
	.p2align	8
	.type	_ZN2at6native32elementwise_kernel_manual_unrollILi128ELi4EZNS0_15gpu_kernel_implINS0_11FillFunctorIN3c1013Float8_e4m3fnEEEEEvRNS_18TensorIteratorBaseERKT_EUlibE_EEviT1_,@function
_ZN2at6native32elementwise_kernel_manual_unrollILi128ELi4EZNS0_15gpu_kernel_implINS0_11FillFunctorIN3c1013Float8_e4m3fnEEEEEvRNS_18TensorIteratorBaseERKT_EUlibE_EEviT1_: ; @_ZN2at6native32elementwise_kernel_manual_unrollILi128ELi4EZNS0_15gpu_kernel_implINS0_11FillFunctorIN3c1013Float8_e4m3fnEEEEEvRNS_18TensorIteratorBaseERKT_EUlibE_EEviT1_
; %bb.0:
	s_load_dwordx4 s[8:11], s[4:5], 0x8
	s_load_dword s44, s[4:5], 0x0
	v_lshl_or_b32 v18, s6, 9, v0
	v_or_b32_e32 v0, 0x180, v18
	s_mov_b64 s[12:13], 0
	s_waitcnt lgkmcnt(0)
	v_lshrrev_b16_e64 v10, 8, s11
	v_cmp_le_i32_e32 vcc, s44, v0
	s_mov_b64 s[2:3], 0
	s_and_saveexec_b64 s[0:1], vcc
	s_xor_b64 s[6:7], exec, s[0:1]
	s_cbranch_execz .LBB134_404
; %bb.1:
	s_lshl_b32 s0, s11, 24
	s_and_b32 s2, s0, 0x80000000
	s_and_b32 s0, s0, 0x7f000000
	s_flbit_i32_b32 s1, s0
	s_min_u32 s1, s1, 32
	v_sub_u32_e64 v0, s1, 4 clamp
	s_add_i32 s1, s0, 0x1000000
	s_ashr_i32 s1, s1, 8
	s_and_b32 s30, s1, 0x7f800000
	v_readfirstlane_b32 s1, v0
	s_lshl_b32 s3, s0, s1
	s_lshr_b32 s3, s3, 4
	s_lshl_b32 s1, s1, 23
	s_sub_i32 s1, s3, s1
	s_add_i32 s31, s1, 0x3c000000
	s_or_b32 s3, s31, s30
	s_cmp_lg_u32 s0, 0
	s_cselect_b64 s[26:27], -1, 0
	s_and_b64 s[0:1], s[26:27], exec
	s_cselect_b32 s28, s3, 0
	s_or_b32 s33, s28, s2
	s_lshr_b32 s14, s28, 23
	s_cmpk_eq_i32 s14, 0xff
	s_cselect_b64 s[4:5], -1, 0
	s_bitcmp1_b32 s28, 22
	s_cselect_b64 s[0:1], -1, 0
	s_and_b32 s2, s28, 0x3fffff
	s_or_b32 s2, s14, s2
	s_cmp_lg_u32 s2, 0
	s_cselect_b64 s[2:3], -1, 0
	v_trunc_f32_e32 v2, s33
	s_and_b64 s[0:1], s[0:1], s[2:3]
	s_and_b32 s29, s33, 0x7fffffff
	v_mul_f32_e32 v0, 0x2f800000, v2
	s_cmp_lt_u32 s29, 0x43800000
	v_floor_f32_e32 v0, v0
	v_mov_b32_e32 v1, v2
	s_cselect_b64 s[22:23], -1, 0
	s_cmp_gt_u32 s29, 0x3bffffff
	v_fmac_f32_e32 v1, 0xcf800000, v0
	v_cvt_u32_f32_e32 v7, v0
	v_cndmask_b32_e64 v0, 0, 1, s[0:1]
	s_cselect_b64 s[2:3], -1, 0
	s_bfe_u32 s0, s28, 0x10014
	v_add_u32_e32 v17, s14, v0
	s_add_i32 s0, s33, s0
	v_mov_b32_e32 v0, 0x46000000
	s_add_i32 s0, s0, 0x487ffff
	v_add_f32_e64 v15, |s33|, v0
	s_lshr_b32 s54, s0, 20
	v_readfirstlane_b32 s0, v15
	s_and_b32 s0, s0, 0xff
	s_cmp_lg_u32 s0, 0
	s_cselect_b64 s[24:25], -1, 0
	s_lshr_b32 s0, s33, 24
	s_and_b32 s49, s0, 0x80
	s_cmp_gt_u32 s29, 0x477fffff
	s_cselect_b64 s[14:15], -1, 0
	s_cmp_lt_u32 s29, 0x47800000
	s_cselect_b64 s[18:19], -1, 0
	s_cmp_gt_u32 s29, 0x37ffffff
	s_cselect_b64 s[0:1], -1, 0
	s_bfe_u32 s16, s28, 0x10015
	s_add_i32 s36, s33, s16
	v_mov_b32_e32 v0, 0x42800000
	s_add_i32 s16, s36, 0x88fffff
	v_add_f32_e64 v14, |s33|, v0
	s_lshr_b32 s53, s16, 21
	v_readfirstlane_b32 s16, v14
	s_and_b32 s16, s16, 0xff
	s_cmp_lg_u32 s16, 0
	s_cselect_b64 s[20:21], -1, 0
	s_cmp_lt_u32 s29, 0x38800000
	s_cselect_b64 s[16:17], -1, 0
	s_add_i32 s36, s36, 0x80fffff
	s_lshr_b32 s50, s36, 21
	s_mov_b32 s34, 0x2f800000
	s_cmp_gt_u32 s29, 0x7f800000
	s_movk_i32 s29, 0x7f
	s_cselect_b32 s52, s29, 0x7c
	s_bfe_u32 s28, s28, 0x10010
	v_mul_f32_e64 v3, |v2|, s34
	s_mov_b32 s35, 0xcf800000
	s_add_i32 s28, s33, s28
	v_floor_f32_e32 v3, v3
	s_addk_i32 s28, 0x7fff
	v_fma_f32 v4, v3, s35, |v2|
	s_lshr_b32 s36, s28, 16
	v_cmp_o_f32_e64 s[28:29], s33, s33
	v_cvt_u32_f32_e32 v4, v4
	s_and_b64 s[28:29], s[28:29], exec
	v_cvt_u32_f32_e32 v3, v3
	s_cselect_b32 s48, s36, 0x7fc0
	s_and_b32 s28, s31, 0x7ff00000
	s_or_b32 s28, s28, s30
	v_ashrrev_i32_e32 v2, 31, v2
	v_cvt_u32_f32_e32 v6, v1
	v_cvt_u32_f32_e32 v16, s33
	s_cmp_lg_u32 s28, 0
	v_cvt_f16_f32_e32 v12, s33
	v_xor_b32_e32 v4, v4, v2
	v_cvt_i32_f32_e32 v11, s33
	v_mov_b32_e32 v0, 0x43000000
	s_cselect_b64 s[28:29], -1, 0
	v_xor_b32_e32 v3, v3, v2
	v_sub_co_u32_e32 v4, vcc, v4, v2
	v_add_f32_e64 v0, |s33|, v0
	s_and_b64 s[26:27], s[26:27], s[28:29]
	v_subb_co_u32_e32 v5, vcc, v3, v2, vcc
	v_readfirstlane_b32 s51, v0
	v_cndmask_b32_e64 v13, 0, 1, s[26:27]
	v_cvt_f64_f32_e32 v[0:1], s33
	v_cmp_gt_i32_e32 vcc, s44, v18
	s_mov_b64 s[30:31], -1
	s_mov_b64 s[34:35], 0
	s_mov_b64 s[26:27], 0
	s_and_saveexec_b64 s[28:29], vcc
	s_cbranch_execz .LBB134_100
; %bb.2:
	v_mul_lo_u32 v2, v18, s10
	v_ashrrev_i32_e32 v3, 31, v2
	v_mov_b32_e32 v9, s9
	v_add_co_u32_e32 v8, vcc, s8, v2
	v_addc_co_u32_e32 v9, vcc, v9, v3, vcc
	v_cmp_gt_i16_e32 vcc, 11, v10
	s_cbranch_vccnz .LBB134_9
; %bb.3:
	v_cmp_lt_i16_e32 vcc, 25, v10
	s_cbranch_vccz .LBB134_12
; %bb.4:
	v_cmp_lt_i16_e32 vcc, 28, v10
	s_cbranch_vccz .LBB134_13
	;; [unrolled: 3-line block ×4, first 2 shown]
; %bb.7:
	v_cmp_eq_u16_e32 vcc, 46, v10
	s_mov_b64 s[36:37], 0
	s_mov_b64 s[26:27], -1
	s_mov_b64 s[30:31], 0
	s_cbranch_vccz .LBB134_16
; %bb.8:
	v_mov_b32_e32 v2, s48
	global_store_dword v[8:9], v2, off
	s_mov_b64 s[30:31], -1
	s_mov_b64 s[26:27], 0
	s_branch .LBB134_16
.LBB134_9:
	s_mov_b64 s[30:31], 0
	s_cbranch_execnz .LBB134_60
.LBB134_10:
	s_andn2_b64 vcc, exec, s[30:31]
	s_cbranch_vccnz .LBB134_98
.LBB134_11:
	v_add_u32_e32 v18, 0x80, v18
	s_mov_b64 s[30:31], -1
	s_branch .LBB134_99
.LBB134_12:
	s_mov_b64 s[30:31], 0
	s_cbranch_execnz .LBB134_38
	s_branch .LBB134_59
.LBB134_13:
	s_mov_b64 s[36:37], -1
	s_mov_b64 s[30:31], 0
	s_branch .LBB134_24
.LBB134_14:
	s_mov_b64 s[36:37], -1
	s_mov_b64 s[30:31], 0
	s_branch .LBB134_20
.LBB134_15:
	s_mov_b64 s[36:37], -1
	s_mov_b64 s[30:31], 0
.LBB134_16:
	s_and_b64 vcc, exec, s[36:37]
	s_cbranch_vccz .LBB134_19
; %bb.17:
	v_cmp_eq_u16_e32 vcc, 44, v10
	s_mov_b64 s[26:27], -1
	s_cbranch_vccz .LBB134_19
; %bb.18:
	v_mov_b32_e32 v2, 0xff
	v_cndmask_b32_e64 v2, v17, v2, s[4:5]
	global_store_byte v[8:9], v2, off
	s_mov_b64 s[30:31], -1
	s_mov_b64 s[26:27], 0
.LBB134_19:
	s_mov_b64 s[36:37], 0
.LBB134_20:
	s_and_b64 vcc, exec, s[36:37]
	s_cbranch_vccz .LBB134_23
; %bb.21:
	v_cmp_eq_u16_e32 vcc, 29, v10
	s_mov_b64 s[26:27], -1
	s_cbranch_vccz .LBB134_23
; %bb.22:
	global_store_dwordx2 v[8:9], v[6:7], off
	s_mov_b64 s[30:31], -1
	s_mov_b64 s[26:27], 0
.LBB134_23:
	s_mov_b64 s[36:37], 0
.LBB134_24:
	s_and_b64 vcc, exec, s[36:37]
	s_cbranch_vccz .LBB134_37
; %bb.25:
	v_cmp_gt_i16_e32 vcc, 27, v10
	s_mov_b64 s[30:31], -1
	s_cbranch_vccnz .LBB134_31
; %bb.26:
	v_cmp_lt_i16_e32 vcc, 27, v10
	s_cbranch_vccz .LBB134_28
; %bb.27:
	s_mov_b64 s[30:31], 0
	global_store_dword v[8:9], v16, off
.LBB134_28:
	s_andn2_b64 vcc, exec, s[30:31]
	s_cbranch_vccnz .LBB134_30
; %bb.29:
	global_store_short v[8:9], v16, off
.LBB134_30:
	s_mov_b64 s[30:31], 0
.LBB134_31:
	s_andn2_b64 vcc, exec, s[30:31]
	s_cbranch_vccnz .LBB134_36
; %bb.32:
	s_andn2_b64 vcc, exec, s[22:23]
	v_mov_b32_e32 v2, 0x80
	s_cbranch_vccnz .LBB134_35
; %bb.33:
	s_or_b64 s[30:31], s[2:3], s[24:25]
	s_andn2_b64 vcc, exec, s[30:31]
	v_mov_b32_e32 v2, 0
	s_cbranch_vccnz .LBB134_35
; %bb.34:
	v_mov_b32_e32 v2, s54
	v_cndmask_b32_e64 v2, v15, v2, s[2:3]
	v_or_b32_e32 v2, s49, v2
.LBB134_35:
	global_store_byte v[8:9], v2, off
.LBB134_36:
	s_mov_b64 s[30:31], -1
.LBB134_37:
	s_branch .LBB134_59
.LBB134_38:
	v_cmp_lt_i16_e32 vcc, 22, v10
	s_mov_b64 s[36:37], -1
	s_cbranch_vccz .LBB134_51
; %bb.39:
	v_cmp_gt_i16_e32 vcc, 24, v10
	s_mov_b64 s[30:31], -1
	s_cbranch_vccnz .LBB134_48
; %bb.40:
	v_cmp_lt_i16_e32 vcc, 24, v10
	s_cbranch_vccz .LBB134_45
; %bb.41:
	s_andn2_b64 vcc, exec, s[18:19]
	v_mov_b32_e32 v2, 0x80
	s_cbranch_vccnz .LBB134_44
; %bb.42:
	s_or_b64 s[30:31], s[0:1], s[20:21]
	s_andn2_b64 vcc, exec, s[30:31]
	v_mov_b32_e32 v2, 0
	s_cbranch_vccnz .LBB134_44
; %bb.43:
	v_mov_b32_e32 v2, s53
	v_cndmask_b32_e64 v2, v14, v2, s[0:1]
	v_or_b32_e32 v2, s49, v2
.LBB134_44:
	s_mov_b64 s[30:31], 0
	global_store_byte v[8:9], v2, off
.LBB134_45:
	s_and_b64 vcc, exec, s[30:31]
	s_cbranch_vccz .LBB134_47
; %bb.46:
	v_mov_b32_e32 v2, s11
	global_store_byte v[8:9], v2, off
.LBB134_47:
	s_mov_b64 s[30:31], 0
.LBB134_48:
	s_andn2_b64 vcc, exec, s[30:31]
	s_cbranch_vccnz .LBB134_50
; %bb.49:
	s_and_b64 s[30:31], s[16:17], exec
	s_cselect_b32 s36, s51, s50
	s_and_b64 s[30:31], s[14:15], exec
	s_cselect_b32 s30, s52, s36
	s_or_b32 s30, s30, s49
	v_mov_b32_e32 v2, s30
	global_store_byte v[8:9], v2, off
.LBB134_50:
	s_mov_b64 s[36:37], 0
	s_mov_b64 s[30:31], -1
.LBB134_51:
	s_andn2_b64 vcc, exec, s[36:37]
	s_cbranch_vccnz .LBB134_59
; %bb.52:
	v_cmp_lt_i16_e32 vcc, 14, v10
	s_mov_b64 s[36:37], -1
	s_cbranch_vccz .LBB134_56
; %bb.53:
	v_cmp_eq_u16_e32 vcc, 15, v10
	s_mov_b64 s[26:27], -1
	s_cbranch_vccz .LBB134_55
; %bb.54:
	v_mov_b32_e32 v2, s48
	global_store_short v[8:9], v2, off
	s_mov_b64 s[30:31], -1
	s_mov_b64 s[26:27], 0
.LBB134_55:
	s_mov_b64 s[36:37], 0
.LBB134_56:
	s_and_b64 vcc, exec, s[36:37]
	s_cbranch_vccz .LBB134_59
; %bb.57:
	v_cmp_eq_u16_e32 vcc, 11, v10
	s_mov_b64 s[26:27], -1
	s_cbranch_vccz .LBB134_59
; %bb.58:
	s_mov_b64 s[30:31], -1
	s_mov_b64 s[26:27], 0
	global_store_byte v[8:9], v13, off
.LBB134_59:
	s_branch .LBB134_10
.LBB134_60:
	v_cmp_gt_i16_e32 vcc, 5, v10
	s_mov_b64 s[30:31], -1
	s_cbranch_vccnz .LBB134_81
; %bb.61:
	v_cmp_gt_i16_e32 vcc, 8, v10
	s_cbranch_vccnz .LBB134_71
; %bb.62:
	v_cmp_gt_i16_e32 vcc, 9, v10
	s_cbranch_vccnz .LBB134_68
; %bb.63:
	v_cmp_lt_i16_e32 vcc, 9, v10
	s_cbranch_vccz .LBB134_65
; %bb.64:
	v_mov_b32_e32 v2, 0
	v_mov_b32_e32 v3, v2
	global_store_dwordx4 v[8:9], v[0:3], off
	s_mov_b64 s[30:31], 0
.LBB134_65:
	s_andn2_b64 vcc, exec, s[30:31]
	s_cbranch_vccnz .LBB134_67
; %bb.66:
	v_mov_b32_e32 v2, s33
	v_mov_b32_e32 v3, 0
	global_store_dwordx2 v[8:9], v[2:3], off
.LBB134_67:
	s_mov_b64 s[30:31], 0
.LBB134_68:
	s_andn2_b64 vcc, exec, s[30:31]
	s_cbranch_vccnz .LBB134_70
; %bb.69:
	global_store_dword v[8:9], v12, off
.LBB134_70:
	s_mov_b64 s[30:31], 0
.LBB134_71:
	s_andn2_b64 vcc, exec, s[30:31]
	s_cbranch_vccnz .LBB134_80
; %bb.72:
	v_cmp_gt_i16_e32 vcc, 6, v10
	s_mov_b64 s[30:31], -1
	s_cbranch_vccnz .LBB134_78
; %bb.73:
	v_cmp_lt_i16_e32 vcc, 6, v10
	s_cbranch_vccz .LBB134_75
; %bb.74:
	global_store_dwordx2 v[8:9], v[0:1], off
	s_mov_b64 s[30:31], 0
.LBB134_75:
	s_andn2_b64 vcc, exec, s[30:31]
	s_cbranch_vccnz .LBB134_77
; %bb.76:
	v_mov_b32_e32 v2, s33
	global_store_dword v[8:9], v2, off
.LBB134_77:
	s_mov_b64 s[30:31], 0
.LBB134_78:
	s_andn2_b64 vcc, exec, s[30:31]
	s_cbranch_vccnz .LBB134_80
; %bb.79:
	global_store_short v[8:9], v12, off
.LBB134_80:
	s_mov_b64 s[30:31], 0
.LBB134_81:
	s_andn2_b64 vcc, exec, s[30:31]
	s_cbranch_vccnz .LBB134_97
; %bb.82:
	v_cmp_gt_i16_e32 vcc, 2, v10
	s_mov_b64 s[30:31], -1
	s_cbranch_vccnz .LBB134_92
; %bb.83:
	v_cmp_gt_i16_e32 vcc, 3, v10
	s_cbranch_vccnz .LBB134_89
; %bb.84:
	v_cmp_lt_i16_e32 vcc, 3, v10
	s_cbranch_vccz .LBB134_86
; %bb.85:
	global_store_dwordx2 v[8:9], v[4:5], off
	s_mov_b64 s[30:31], 0
.LBB134_86:
	s_andn2_b64 vcc, exec, s[30:31]
	s_cbranch_vccnz .LBB134_88
; %bb.87:
	global_store_dword v[8:9], v11, off
.LBB134_88:
	s_mov_b64 s[30:31], 0
.LBB134_89:
	s_andn2_b64 vcc, exec, s[30:31]
	s_cbranch_vccnz .LBB134_91
; %bb.90:
	global_store_short v[8:9], v11, off
.LBB134_91:
	s_mov_b64 s[30:31], 0
.LBB134_92:
	s_andn2_b64 vcc, exec, s[30:31]
	s_cbranch_vccnz .LBB134_97
; %bb.93:
	v_cmp_lt_i16_e32 vcc, 0, v10
	s_mov_b64 s[30:31], -1
	s_cbranch_vccz .LBB134_95
; %bb.94:
	global_store_byte v[8:9], v11, off
	s_mov_b64 s[30:31], 0
.LBB134_95:
	s_andn2_b64 vcc, exec, s[30:31]
	s_cbranch_vccnz .LBB134_97
; %bb.96:
	global_store_byte v[8:9], v4, off
.LBB134_97:
	s_branch .LBB134_11
.LBB134_98:
	s_mov_b64 s[30:31], 0
                                        ; implicit-def: $vgpr18
.LBB134_99:
	s_and_b64 s[26:27], s[26:27], exec
	s_orn2_b64 s[30:31], s[30:31], exec
.LBB134_100:
	s_or_b64 exec, exec, s[28:29]
	s_mov_b64 s[36:37], 0
                                        ; implicit-def: $vgpr8_vgpr9
	s_and_saveexec_b64 s[28:29], s[30:31]
	s_cbranch_execz .LBB134_109
; %bb.101:
	v_cmp_gt_i32_e32 vcc, s44, v18
	s_mov_b64 s[38:39], -1
	s_mov_b64 s[30:31], s[26:27]
	s_and_saveexec_b64 s[34:35], vcc
	s_cbranch_execz .LBB134_204
; %bb.102:
	v_mul_lo_u32 v2, v18, s10
	v_ashrrev_i32_e32 v3, 31, v2
	v_mov_b32_e32 v9, s9
	v_add_co_u32_e32 v8, vcc, s8, v2
	v_addc_co_u32_e32 v9, vcc, v9, v3, vcc
	v_cmp_gt_i16_e32 vcc, 11, v10
	s_cbranch_vccnz .LBB134_112
; %bb.103:
	v_cmp_lt_i16_e32 vcc, 25, v10
	s_cbranch_vccz .LBB134_115
; %bb.104:
	v_cmp_lt_i16_e32 vcc, 28, v10
	s_cbranch_vccz .LBB134_116
	;; [unrolled: 3-line block ×4, first 2 shown]
; %bb.107:
	v_cmp_eq_u16_e32 vcc, 46, v10
	s_mov_b64 s[38:39], 0
	s_mov_b64 s[30:31], -1
	s_cbranch_vccz .LBB134_119
; %bb.108:
	v_mov_b32_e32 v2, s48
	global_store_dword v[8:9], v2, off
	s_mov_b64 s[36:37], -1
	s_mov_b64 s[30:31], 0
	s_branch .LBB134_119
.LBB134_109:
	s_or_b64 exec, exec, s[28:29]
	s_mov_b64 s[0:1], 0
	s_and_saveexec_b64 s[2:3], s[26:27]
	s_cbranch_execnz .LBB134_364
.LBB134_110:
	s_or_b64 exec, exec, s[2:3]
	s_and_saveexec_b64 s[2:3], s[34:35]
	s_xor_b64 s[2:3], exec, s[2:3]
	s_cbranch_execz .LBB134_365
.LBB134_111:
	global_store_byte v[8:9], v13, off
	s_or_b64 exec, exec, s[2:3]
	s_and_saveexec_b64 s[2:3], s[36:37]
	s_xor_b64 s[2:3], exec, s[2:3]
	s_cbranch_execz .LBB134_403
	s_branch .LBB134_366
.LBB134_112:
	s_mov_b64 s[30:31], s[26:27]
	s_and_b64 vcc, exec, s[38:39]
	s_cbranch_vccnz .LBB134_164
.LBB134_113:
	s_andn2_b64 vcc, exec, s[36:37]
	s_cbranch_vccnz .LBB134_202
.LBB134_114:
	v_add_u32_e32 v18, 0x80, v18
	s_mov_b64 s[36:37], -1
	s_branch .LBB134_203
.LBB134_115:
	s_mov_b64 s[30:31], s[26:27]
	s_branch .LBB134_141
.LBB134_116:
	s_mov_b64 s[30:31], s[26:27]
	s_branch .LBB134_127
.LBB134_117:
	s_mov_b64 s[30:31], s[26:27]
	s_branch .LBB134_123
.LBB134_118:
	s_mov_b64 s[30:31], s[26:27]
.LBB134_119:
	s_and_b64 vcc, exec, s[38:39]
	s_cbranch_vccz .LBB134_122
; %bb.120:
	v_cmp_eq_u16_e32 vcc, 44, v10
	s_mov_b64 s[30:31], -1
	s_cbranch_vccz .LBB134_122
; %bb.121:
	v_mov_b32_e32 v2, 0xff
	v_cndmask_b32_e64 v2, v17, v2, s[4:5]
	s_mov_b64 s[36:37], -1
	s_mov_b64 s[30:31], 0
	global_store_byte v[8:9], v2, off
.LBB134_122:
	s_mov_b64 s[38:39], 0
.LBB134_123:
	s_and_b64 vcc, exec, s[38:39]
	s_cbranch_vccz .LBB134_126
; %bb.124:
	v_cmp_eq_u16_e32 vcc, 29, v10
	s_mov_b64 s[30:31], -1
	s_cbranch_vccz .LBB134_126
; %bb.125:
	global_store_dwordx2 v[8:9], v[6:7], off
	s_mov_b64 s[36:37], -1
	s_mov_b64 s[30:31], 0
.LBB134_126:
	s_mov_b64 s[38:39], 0
.LBB134_127:
	s_and_b64 vcc, exec, s[38:39]
	s_cbranch_vccz .LBB134_140
; %bb.128:
	v_cmp_gt_i16_e32 vcc, 27, v10
	s_mov_b64 s[36:37], -1
	s_cbranch_vccnz .LBB134_134
; %bb.129:
	v_cmp_lt_i16_e32 vcc, 27, v10
	s_cbranch_vccz .LBB134_131
; %bb.130:
	s_mov_b64 s[36:37], 0
	global_store_dword v[8:9], v16, off
.LBB134_131:
	s_andn2_b64 vcc, exec, s[36:37]
	s_cbranch_vccnz .LBB134_133
; %bb.132:
	global_store_short v[8:9], v16, off
.LBB134_133:
	s_mov_b64 s[36:37], 0
.LBB134_134:
	s_andn2_b64 vcc, exec, s[36:37]
	s_cbranch_vccnz .LBB134_139
; %bb.135:
	s_andn2_b64 vcc, exec, s[22:23]
	v_mov_b32_e32 v2, 0x80
	s_cbranch_vccnz .LBB134_138
; %bb.136:
	s_or_b64 s[36:37], s[2:3], s[24:25]
	s_andn2_b64 vcc, exec, s[36:37]
	v_mov_b32_e32 v2, 0
	s_cbranch_vccnz .LBB134_138
; %bb.137:
	v_mov_b32_e32 v2, s54
	v_cndmask_b32_e64 v2, v15, v2, s[2:3]
	v_or_b32_e32 v2, s49, v2
.LBB134_138:
	global_store_byte v[8:9], v2, off
.LBB134_139:
	s_mov_b64 s[36:37], -1
.LBB134_140:
	s_mov_b64 s[38:39], 0
.LBB134_141:
	s_and_b64 vcc, exec, s[38:39]
	s_cbranch_vccz .LBB134_163
; %bb.142:
	v_cmp_lt_i16_e32 vcc, 22, v10
	s_mov_b64 s[38:39], -1
	s_cbranch_vccz .LBB134_155
; %bb.143:
	v_cmp_gt_i16_e32 vcc, 24, v10
	s_mov_b64 s[36:37], -1
	s_cbranch_vccnz .LBB134_152
; %bb.144:
	v_cmp_lt_i16_e32 vcc, 24, v10
	s_cbranch_vccz .LBB134_149
; %bb.145:
	s_andn2_b64 vcc, exec, s[18:19]
	v_mov_b32_e32 v2, 0x80
	s_cbranch_vccnz .LBB134_148
; %bb.146:
	s_or_b64 s[36:37], s[0:1], s[20:21]
	s_andn2_b64 vcc, exec, s[36:37]
	v_mov_b32_e32 v2, 0
	s_cbranch_vccnz .LBB134_148
; %bb.147:
	v_mov_b32_e32 v2, s53
	v_cndmask_b32_e64 v2, v14, v2, s[0:1]
	v_or_b32_e32 v2, s49, v2
.LBB134_148:
	s_mov_b64 s[36:37], 0
	global_store_byte v[8:9], v2, off
.LBB134_149:
	s_and_b64 vcc, exec, s[36:37]
	s_cbranch_vccz .LBB134_151
; %bb.150:
	v_mov_b32_e32 v2, s11
	global_store_byte v[8:9], v2, off
.LBB134_151:
	s_mov_b64 s[36:37], 0
.LBB134_152:
	s_andn2_b64 vcc, exec, s[36:37]
	s_cbranch_vccnz .LBB134_154
; %bb.153:
	s_and_b64 s[36:37], s[16:17], exec
	s_cselect_b32 s38, s51, s50
	s_and_b64 s[36:37], s[14:15], exec
	s_cselect_b32 s36, s52, s38
	s_or_b32 s36, s36, s49
	v_mov_b32_e32 v2, s36
	global_store_byte v[8:9], v2, off
.LBB134_154:
	s_mov_b64 s[38:39], 0
	s_mov_b64 s[36:37], -1
.LBB134_155:
	s_andn2_b64 vcc, exec, s[38:39]
	s_cbranch_vccnz .LBB134_163
; %bb.156:
	v_cmp_lt_i16_e32 vcc, 14, v10
	s_mov_b64 s[38:39], -1
	s_cbranch_vccz .LBB134_160
; %bb.157:
	v_cmp_eq_u16_e32 vcc, 15, v10
	s_mov_b64 s[30:31], -1
	s_cbranch_vccz .LBB134_159
; %bb.158:
	v_mov_b32_e32 v2, s48
	global_store_short v[8:9], v2, off
	s_mov_b64 s[36:37], -1
	s_mov_b64 s[30:31], 0
.LBB134_159:
	s_mov_b64 s[38:39], 0
.LBB134_160:
	s_and_b64 vcc, exec, s[38:39]
	s_cbranch_vccz .LBB134_163
; %bb.161:
	v_cmp_eq_u16_e32 vcc, 11, v10
	s_mov_b64 s[30:31], -1
	s_cbranch_vccz .LBB134_163
; %bb.162:
	s_mov_b64 s[36:37], -1
	s_mov_b64 s[30:31], 0
	global_store_byte v[8:9], v13, off
.LBB134_163:
	s_branch .LBB134_113
.LBB134_164:
	v_cmp_gt_i16_e32 vcc, 5, v10
	s_mov_b64 s[36:37], -1
	s_cbranch_vccnz .LBB134_185
; %bb.165:
	v_cmp_gt_i16_e32 vcc, 8, v10
	s_cbranch_vccnz .LBB134_175
; %bb.166:
	v_cmp_gt_i16_e32 vcc, 9, v10
	s_cbranch_vccnz .LBB134_172
; %bb.167:
	v_cmp_lt_i16_e32 vcc, 9, v10
	s_cbranch_vccz .LBB134_169
; %bb.168:
	v_mov_b32_e32 v2, 0
	v_mov_b32_e32 v3, v2
	s_mov_b64 s[36:37], 0
	global_store_dwordx4 v[8:9], v[0:3], off
.LBB134_169:
	s_andn2_b64 vcc, exec, s[36:37]
	s_cbranch_vccnz .LBB134_171
; %bb.170:
	v_mov_b32_e32 v2, s33
	v_mov_b32_e32 v3, 0
	global_store_dwordx2 v[8:9], v[2:3], off
.LBB134_171:
	s_mov_b64 s[36:37], 0
.LBB134_172:
	s_andn2_b64 vcc, exec, s[36:37]
	s_cbranch_vccnz .LBB134_174
; %bb.173:
	global_store_dword v[8:9], v12, off
.LBB134_174:
	s_mov_b64 s[36:37], 0
.LBB134_175:
	s_andn2_b64 vcc, exec, s[36:37]
	s_cbranch_vccnz .LBB134_184
; %bb.176:
	v_cmp_gt_i16_e32 vcc, 6, v10
	s_mov_b64 s[36:37], -1
	s_cbranch_vccnz .LBB134_182
; %bb.177:
	v_cmp_lt_i16_e32 vcc, 6, v10
	s_cbranch_vccz .LBB134_179
; %bb.178:
	s_mov_b64 s[36:37], 0
	global_store_dwordx2 v[8:9], v[0:1], off
.LBB134_179:
	s_andn2_b64 vcc, exec, s[36:37]
	s_cbranch_vccnz .LBB134_181
; %bb.180:
	v_mov_b32_e32 v2, s33
	global_store_dword v[8:9], v2, off
.LBB134_181:
	s_mov_b64 s[36:37], 0
.LBB134_182:
	s_andn2_b64 vcc, exec, s[36:37]
	s_cbranch_vccnz .LBB134_184
; %bb.183:
	global_store_short v[8:9], v12, off
.LBB134_184:
	s_mov_b64 s[36:37], 0
.LBB134_185:
	s_andn2_b64 vcc, exec, s[36:37]
	s_cbranch_vccnz .LBB134_201
; %bb.186:
	v_cmp_gt_i16_e32 vcc, 2, v10
	s_mov_b64 s[36:37], -1
	s_cbranch_vccnz .LBB134_196
; %bb.187:
	v_cmp_gt_i16_e32 vcc, 3, v10
	s_cbranch_vccnz .LBB134_193
; %bb.188:
	v_cmp_lt_i16_e32 vcc, 3, v10
	s_cbranch_vccz .LBB134_190
; %bb.189:
	s_mov_b64 s[36:37], 0
	global_store_dwordx2 v[8:9], v[4:5], off
.LBB134_190:
	s_andn2_b64 vcc, exec, s[36:37]
	s_cbranch_vccnz .LBB134_192
; %bb.191:
	global_store_dword v[8:9], v11, off
.LBB134_192:
	s_mov_b64 s[36:37], 0
.LBB134_193:
	s_andn2_b64 vcc, exec, s[36:37]
	s_cbranch_vccnz .LBB134_195
; %bb.194:
	global_store_short v[8:9], v11, off
.LBB134_195:
	s_mov_b64 s[36:37], 0
.LBB134_196:
	s_andn2_b64 vcc, exec, s[36:37]
	s_cbranch_vccnz .LBB134_201
; %bb.197:
	v_cmp_lt_i16_e32 vcc, 0, v10
	s_mov_b64 s[36:37], -1
	s_cbranch_vccz .LBB134_199
; %bb.198:
	s_mov_b64 s[36:37], 0
	global_store_byte v[8:9], v11, off
.LBB134_199:
	s_andn2_b64 vcc, exec, s[36:37]
	s_cbranch_vccnz .LBB134_201
; %bb.200:
	global_store_byte v[8:9], v4, off
.LBB134_201:
	s_branch .LBB134_114
.LBB134_202:
	s_mov_b64 s[36:37], 0
                                        ; implicit-def: $vgpr18
.LBB134_203:
	s_andn2_b64 s[38:39], s[26:27], exec
	s_and_b64 s[30:31], s[30:31], exec
	s_or_b64 s[30:31], s[38:39], s[30:31]
	s_orn2_b64 s[38:39], s[36:37], exec
.LBB134_204:
	s_or_b64 exec, exec, s[34:35]
	s_mov_b64 s[40:41], 0
	s_mov_b64 s[36:37], 0
                                        ; implicit-def: $vgpr8_vgpr9
	s_and_saveexec_b64 s[34:35], s[38:39]
	s_cbranch_execz .LBB134_363
; %bb.205:
	v_cmp_gt_i32_e32 vcc, s44, v18
	s_mov_b64 s[42:43], -1
	s_mov_b64 s[38:39], s[30:31]
	s_and_saveexec_b64 s[36:37], vcc
	s_cbranch_execz .LBB134_306
; %bb.206:
	v_mul_lo_u32 v2, v18, s10
	v_ashrrev_i32_e32 v3, 31, v2
	v_mov_b32_e32 v9, s9
	v_add_co_u32_e32 v8, vcc, s8, v2
	v_addc_co_u32_e32 v9, vcc, v9, v3, vcc
	v_cmp_gt_i16_e32 vcc, 11, v10
	s_cbranch_vccnz .LBB134_213
; %bb.207:
	v_cmp_lt_i16_e32 vcc, 25, v10
	s_cbranch_vccz .LBB134_214
; %bb.208:
	v_cmp_lt_i16_e32 vcc, 28, v10
	s_cbranch_vccz .LBB134_215
	;; [unrolled: 3-line block ×4, first 2 shown]
; %bb.211:
	v_cmp_eq_u16_e32 vcc, 46, v10
	s_mov_b64 s[42:43], 0
	s_mov_b64 s[38:39], -1
	s_cbranch_vccz .LBB134_218
; %bb.212:
	v_mov_b32_e32 v2, s48
	global_store_dword v[8:9], v2, off
	s_mov_b64 s[40:41], -1
	s_mov_b64 s[38:39], 0
	s_branch .LBB134_218
.LBB134_213:
	s_mov_b64 s[38:39], s[30:31]
	s_branch .LBB134_263
.LBB134_214:
	s_mov_b64 s[38:39], s[30:31]
	s_branch .LBB134_240
.LBB134_215:
	s_mov_b64 s[38:39], s[30:31]
	s_branch .LBB134_226
.LBB134_216:
	s_mov_b64 s[38:39], s[30:31]
	s_branch .LBB134_222
.LBB134_217:
	s_mov_b64 s[38:39], s[30:31]
.LBB134_218:
	s_and_b64 vcc, exec, s[42:43]
	s_cbranch_vccz .LBB134_221
; %bb.219:
	v_cmp_eq_u16_e32 vcc, 44, v10
	s_mov_b64 s[38:39], -1
	s_cbranch_vccz .LBB134_221
; %bb.220:
	v_mov_b32_e32 v2, 0xff
	v_cndmask_b32_e64 v2, v17, v2, s[4:5]
	s_mov_b64 s[40:41], -1
	s_mov_b64 s[38:39], 0
	global_store_byte v[8:9], v2, off
.LBB134_221:
	s_mov_b64 s[42:43], 0
.LBB134_222:
	s_and_b64 vcc, exec, s[42:43]
	s_cbranch_vccz .LBB134_225
; %bb.223:
	v_cmp_eq_u16_e32 vcc, 29, v10
	s_mov_b64 s[38:39], -1
	s_cbranch_vccz .LBB134_225
; %bb.224:
	global_store_dwordx2 v[8:9], v[6:7], off
	s_mov_b64 s[40:41], -1
	s_mov_b64 s[38:39], 0
.LBB134_225:
	s_mov_b64 s[42:43], 0
.LBB134_226:
	s_and_b64 vcc, exec, s[42:43]
	s_cbranch_vccz .LBB134_239
; %bb.227:
	v_cmp_gt_i16_e32 vcc, 27, v10
	s_mov_b64 s[40:41], -1
	s_cbranch_vccnz .LBB134_233
; %bb.228:
	v_cmp_lt_i16_e32 vcc, 27, v10
	s_cbranch_vccz .LBB134_230
; %bb.229:
	s_mov_b64 s[40:41], 0
	global_store_dword v[8:9], v16, off
.LBB134_230:
	s_andn2_b64 vcc, exec, s[40:41]
	s_cbranch_vccnz .LBB134_232
; %bb.231:
	global_store_short v[8:9], v16, off
.LBB134_232:
	s_mov_b64 s[40:41], 0
.LBB134_233:
	s_andn2_b64 vcc, exec, s[40:41]
	s_cbranch_vccnz .LBB134_238
; %bb.234:
	s_andn2_b64 vcc, exec, s[22:23]
	v_mov_b32_e32 v2, 0x80
	s_cbranch_vccnz .LBB134_237
; %bb.235:
	s_or_b64 s[40:41], s[2:3], s[24:25]
	s_andn2_b64 vcc, exec, s[40:41]
	v_mov_b32_e32 v2, 0
	s_cbranch_vccnz .LBB134_237
; %bb.236:
	v_mov_b32_e32 v2, s54
	v_cndmask_b32_e64 v2, v15, v2, s[2:3]
	v_or_b32_e32 v2, s49, v2
.LBB134_237:
	global_store_byte v[8:9], v2, off
.LBB134_238:
	s_mov_b64 s[40:41], -1
.LBB134_239:
	s_mov_b64 s[42:43], 0
.LBB134_240:
	s_and_b64 vcc, exec, s[42:43]
	s_cbranch_vccz .LBB134_262
; %bb.241:
	v_cmp_lt_i16_e32 vcc, 22, v10
	s_mov_b64 s[42:43], -1
	s_cbranch_vccz .LBB134_254
; %bb.242:
	v_cmp_gt_i16_e32 vcc, 24, v10
	s_mov_b64 s[40:41], -1
	s_cbranch_vccnz .LBB134_251
; %bb.243:
	v_cmp_lt_i16_e32 vcc, 24, v10
	s_cbranch_vccz .LBB134_248
; %bb.244:
	s_andn2_b64 vcc, exec, s[18:19]
	v_mov_b32_e32 v2, 0x80
	s_cbranch_vccnz .LBB134_247
; %bb.245:
	s_or_b64 s[40:41], s[0:1], s[20:21]
	s_andn2_b64 vcc, exec, s[40:41]
	v_mov_b32_e32 v2, 0
	s_cbranch_vccnz .LBB134_247
; %bb.246:
	v_mov_b32_e32 v2, s53
	v_cndmask_b32_e64 v2, v14, v2, s[0:1]
	v_or_b32_e32 v2, s49, v2
.LBB134_247:
	s_mov_b64 s[40:41], 0
	global_store_byte v[8:9], v2, off
.LBB134_248:
	s_and_b64 vcc, exec, s[40:41]
	s_cbranch_vccz .LBB134_250
; %bb.249:
	v_mov_b32_e32 v2, s11
	global_store_byte v[8:9], v2, off
.LBB134_250:
	s_mov_b64 s[40:41], 0
.LBB134_251:
	s_andn2_b64 vcc, exec, s[40:41]
	s_cbranch_vccnz .LBB134_253
; %bb.252:
	s_and_b64 s[40:41], s[16:17], exec
	s_cselect_b32 s42, s51, s50
	s_and_b64 s[40:41], s[14:15], exec
	s_cselect_b32 s40, s52, s42
	s_or_b32 s40, s40, s49
	v_mov_b32_e32 v2, s40
	global_store_byte v[8:9], v2, off
.LBB134_253:
	s_mov_b64 s[42:43], 0
	s_mov_b64 s[40:41], -1
.LBB134_254:
	s_andn2_b64 vcc, exec, s[42:43]
	s_cbranch_vccnz .LBB134_262
; %bb.255:
	v_cmp_lt_i16_e32 vcc, 14, v10
	s_mov_b64 s[42:43], -1
	s_cbranch_vccz .LBB134_259
; %bb.256:
	v_cmp_eq_u16_e32 vcc, 15, v10
	s_mov_b64 s[38:39], -1
	s_cbranch_vccz .LBB134_258
; %bb.257:
	v_mov_b32_e32 v2, s48
	global_store_short v[8:9], v2, off
	s_mov_b64 s[40:41], -1
	s_mov_b64 s[38:39], 0
.LBB134_258:
	s_mov_b64 s[42:43], 0
.LBB134_259:
	s_and_b64 vcc, exec, s[42:43]
	s_cbranch_vccz .LBB134_262
; %bb.260:
	v_cmp_eq_u16_e32 vcc, 11, v10
	s_mov_b64 s[38:39], -1
	s_cbranch_vccz .LBB134_262
; %bb.261:
	s_mov_b64 s[40:41], -1
	s_mov_b64 s[38:39], 0
	global_store_byte v[8:9], v13, off
.LBB134_262:
	s_mov_b64 s[42:43], 0
.LBB134_263:
	s_and_b64 vcc, exec, s[42:43]
	s_cbranch_vccz .LBB134_302
; %bb.264:
	v_cmp_gt_i16_e32 vcc, 5, v10
	s_mov_b64 s[40:41], -1
	s_cbranch_vccnz .LBB134_285
; %bb.265:
	v_cmp_gt_i16_e32 vcc, 8, v10
	s_cbranch_vccnz .LBB134_275
; %bb.266:
	v_cmp_gt_i16_e32 vcc, 9, v10
	s_cbranch_vccnz .LBB134_272
; %bb.267:
	v_cmp_lt_i16_e32 vcc, 9, v10
	s_cbranch_vccz .LBB134_269
; %bb.268:
	v_mov_b32_e32 v2, 0
	v_mov_b32_e32 v3, v2
	s_mov_b64 s[40:41], 0
	global_store_dwordx4 v[8:9], v[0:3], off
.LBB134_269:
	s_andn2_b64 vcc, exec, s[40:41]
	s_cbranch_vccnz .LBB134_271
; %bb.270:
	v_mov_b32_e32 v2, s33
	v_mov_b32_e32 v3, 0
	global_store_dwordx2 v[8:9], v[2:3], off
.LBB134_271:
	s_mov_b64 s[40:41], 0
.LBB134_272:
	s_andn2_b64 vcc, exec, s[40:41]
	s_cbranch_vccnz .LBB134_274
; %bb.273:
	global_store_dword v[8:9], v12, off
.LBB134_274:
	s_mov_b64 s[40:41], 0
.LBB134_275:
	s_andn2_b64 vcc, exec, s[40:41]
	s_cbranch_vccnz .LBB134_284
; %bb.276:
	v_cmp_gt_i16_e32 vcc, 6, v10
	s_mov_b64 s[40:41], -1
	s_cbranch_vccnz .LBB134_282
; %bb.277:
	v_cmp_lt_i16_e32 vcc, 6, v10
	s_cbranch_vccz .LBB134_279
; %bb.278:
	s_mov_b64 s[40:41], 0
	global_store_dwordx2 v[8:9], v[0:1], off
.LBB134_279:
	s_andn2_b64 vcc, exec, s[40:41]
	s_cbranch_vccnz .LBB134_281
; %bb.280:
	v_mov_b32_e32 v2, s33
	global_store_dword v[8:9], v2, off
.LBB134_281:
	s_mov_b64 s[40:41], 0
.LBB134_282:
	s_andn2_b64 vcc, exec, s[40:41]
	s_cbranch_vccnz .LBB134_284
; %bb.283:
	global_store_short v[8:9], v12, off
.LBB134_284:
	s_mov_b64 s[40:41], 0
.LBB134_285:
	s_andn2_b64 vcc, exec, s[40:41]
	s_cbranch_vccnz .LBB134_301
; %bb.286:
	v_cmp_gt_i16_e32 vcc, 2, v10
	s_mov_b64 s[40:41], -1
	s_cbranch_vccnz .LBB134_296
; %bb.287:
	v_cmp_gt_i16_e32 vcc, 3, v10
	s_cbranch_vccnz .LBB134_293
; %bb.288:
	v_cmp_lt_i16_e32 vcc, 3, v10
	s_cbranch_vccz .LBB134_290
; %bb.289:
	s_mov_b64 s[40:41], 0
	global_store_dwordx2 v[8:9], v[4:5], off
.LBB134_290:
	s_andn2_b64 vcc, exec, s[40:41]
	s_cbranch_vccnz .LBB134_292
; %bb.291:
	global_store_dword v[8:9], v11, off
.LBB134_292:
	s_mov_b64 s[40:41], 0
.LBB134_293:
	s_andn2_b64 vcc, exec, s[40:41]
	s_cbranch_vccnz .LBB134_295
; %bb.294:
	global_store_short v[8:9], v11, off
.LBB134_295:
	s_mov_b64 s[40:41], 0
.LBB134_296:
	s_andn2_b64 vcc, exec, s[40:41]
	s_cbranch_vccnz .LBB134_301
; %bb.297:
	v_cmp_lt_i16_e32 vcc, 0, v10
	s_mov_b64 s[40:41], -1
	s_cbranch_vccz .LBB134_299
; %bb.298:
	s_mov_b64 s[40:41], 0
	global_store_byte v[8:9], v11, off
.LBB134_299:
	s_andn2_b64 vcc, exec, s[40:41]
	s_cbranch_vccnz .LBB134_301
; %bb.300:
	global_store_byte v[8:9], v4, off
.LBB134_301:
	s_mov_b64 s[40:41], -1
.LBB134_302:
	s_andn2_b64 vcc, exec, s[40:41]
	s_cbranch_vccnz .LBB134_304
; %bb.303:
	v_add_u32_e32 v18, 0x80, v18
	s_mov_b64 s[40:41], -1
	s_branch .LBB134_305
.LBB134_304:
	s_mov_b64 s[40:41], 0
                                        ; implicit-def: $vgpr18
.LBB134_305:
	s_andn2_b64 s[42:43], s[30:31], exec
	s_and_b64 s[38:39], s[38:39], exec
	s_or_b64 s[38:39], s[42:43], s[38:39]
	s_orn2_b64 s[42:43], s[40:41], exec
.LBB134_306:
	s_or_b64 exec, exec, s[36:37]
	s_mov_b64 s[40:41], 0
	s_mov_b64 s[46:47], 0
                                        ; implicit-def: $vgpr8_vgpr9
	s_and_saveexec_b64 s[36:37], s[42:43]
	s_cbranch_execz .LBB134_362
; %bb.307:
	v_cmp_gt_i32_e32 vcc, s44, v18
	s_mov_b64 s[44:45], 0
	s_mov_b64 s[42:43], s[38:39]
                                        ; implicit-def: $vgpr8_vgpr9
	s_and_saveexec_b64 s[40:41], vcc
	s_cbranch_execz .LBB134_361
; %bb.308:
	v_mul_lo_u32 v2, v18, s10
	v_ashrrev_i32_e32 v3, 31, v2
	v_mov_b32_e32 v9, s9
	v_add_co_u32_e32 v8, vcc, s8, v2
	v_addc_co_u32_e32 v9, vcc, v9, v3, vcc
	v_cmp_gt_i16_e32 vcc, 11, v10
	s_cbranch_vccnz .LBB134_358
; %bb.309:
	v_cmp_lt_i16_e32 vcc, 25, v10
	s_mov_b64 s[44:45], -1
	s_mov_b64 s[42:43], s[38:39]
	s_cbranch_vccz .LBB134_337
; %bb.310:
	v_cmp_lt_i16_e32 vcc, 28, v10
	s_mov_b64 s[42:43], s[38:39]
	s_cbranch_vccz .LBB134_324
; %bb.311:
	v_cmp_lt_i16_e32 vcc, 43, v10
	;; [unrolled: 4-line block ×3, first 2 shown]
	s_mov_b64 s[42:43], s[38:39]
	s_cbranch_vccz .LBB134_316
; %bb.313:
	v_cmp_eq_u16_e32 vcc, 46, v10
	s_mov_b64 s[42:43], -1
	s_cbranch_vccz .LBB134_315
; %bb.314:
	v_mov_b32_e32 v2, s48
	global_store_dword v[8:9], v2, off
	s_mov_b64 s[42:43], 0
.LBB134_315:
	s_mov_b64 s[44:45], 0
.LBB134_316:
	s_and_b64 vcc, exec, s[44:45]
	s_cbranch_vccz .LBB134_319
; %bb.317:
	v_cmp_eq_u16_e32 vcc, 44, v10
	s_mov_b64 s[42:43], -1
	s_cbranch_vccz .LBB134_319
; %bb.318:
	v_mov_b32_e32 v2, 0xff
	v_cndmask_b32_e64 v2, v17, v2, s[4:5]
	global_store_byte v[8:9], v2, off
	s_mov_b64 s[42:43], 0
.LBB134_319:
	s_mov_b64 s[44:45], 0
.LBB134_320:
	s_and_b64 vcc, exec, s[44:45]
	s_cbranch_vccz .LBB134_323
; %bb.321:
	v_cmp_eq_u16_e32 vcc, 29, v10
	s_mov_b64 s[42:43], -1
	s_cbranch_vccz .LBB134_323
; %bb.322:
	global_store_dwordx2 v[8:9], v[6:7], off
	s_mov_b64 s[42:43], 0
.LBB134_323:
	s_mov_b64 s[44:45], 0
.LBB134_324:
	s_and_b64 vcc, exec, s[44:45]
	s_cbranch_vccz .LBB134_336
; %bb.325:
	v_cmp_gt_i16_e32 vcc, 27, v10
	s_mov_b64 s[4:5], -1
	s_cbranch_vccnz .LBB134_331
; %bb.326:
	v_cmp_lt_i16_e32 vcc, 27, v10
	s_cbranch_vccz .LBB134_328
; %bb.327:
	s_mov_b64 s[4:5], 0
	global_store_dword v[8:9], v16, off
.LBB134_328:
	s_andn2_b64 vcc, exec, s[4:5]
	s_cbranch_vccnz .LBB134_330
; %bb.329:
	global_store_short v[8:9], v16, off
.LBB134_330:
	s_mov_b64 s[4:5], 0
.LBB134_331:
	s_andn2_b64 vcc, exec, s[4:5]
	s_cbranch_vccnz .LBB134_336
; %bb.332:
	s_andn2_b64 vcc, exec, s[22:23]
	v_mov_b32_e32 v2, 0x80
	s_cbranch_vccnz .LBB134_335
; %bb.333:
	s_or_b64 s[4:5], s[2:3], s[24:25]
	s_andn2_b64 vcc, exec, s[4:5]
	v_mov_b32_e32 v2, 0
	s_cbranch_vccnz .LBB134_335
; %bb.334:
	v_mov_b32_e32 v2, s54
	v_cndmask_b32_e64 v2, v15, v2, s[2:3]
	v_or_b32_e32 v2, s49, v2
.LBB134_335:
	global_store_byte v[8:9], v2, off
.LBB134_336:
	s_mov_b64 s[44:45], 0
.LBB134_337:
	s_mov_b64 s[2:3], 0
	s_and_b64 vcc, exec, s[44:45]
	s_cbranch_vccz .LBB134_359
; %bb.338:
	v_cmp_lt_i16_e32 vcc, 22, v10
	s_mov_b64 s[4:5], -1
	s_cbranch_vccz .LBB134_351
; %bb.339:
	v_cmp_gt_i16_e32 vcc, 24, v10
	s_cbranch_vccnz .LBB134_348
; %bb.340:
	v_cmp_lt_i16_e32 vcc, 24, v10
	s_cbranch_vccz .LBB134_345
; %bb.341:
	s_andn2_b64 vcc, exec, s[18:19]
	v_mov_b32_e32 v2, 0x80
	s_cbranch_vccnz .LBB134_344
; %bb.342:
	s_or_b64 s[4:5], s[0:1], s[20:21]
	s_andn2_b64 vcc, exec, s[4:5]
	v_mov_b32_e32 v2, 0
	s_cbranch_vccnz .LBB134_344
; %bb.343:
	v_mov_b32_e32 v2, s53
	v_cndmask_b32_e64 v2, v14, v2, s[0:1]
	v_or_b32_e32 v2, s49, v2
.LBB134_344:
	s_mov_b64 s[4:5], 0
	global_store_byte v[8:9], v2, off
.LBB134_345:
	s_and_b64 vcc, exec, s[4:5]
	s_cbranch_vccz .LBB134_347
; %bb.346:
	v_mov_b32_e32 v2, s11
	global_store_byte v[8:9], v2, off
.LBB134_347:
	s_mov_b64 s[4:5], 0
.LBB134_348:
	s_andn2_b64 vcc, exec, s[4:5]
	s_cbranch_vccnz .LBB134_350
; %bb.349:
	s_and_b64 s[0:1], s[16:17], exec
	s_cselect_b32 s4, s51, s50
	s_and_b64 s[0:1], s[14:15], exec
	s_cselect_b32 s0, s52, s4
	s_or_b32 s0, s0, s49
	v_mov_b32_e32 v2, s0
	global_store_byte v[8:9], v2, off
.LBB134_350:
	s_mov_b64 s[4:5], 0
.LBB134_351:
	s_andn2_b64 vcc, exec, s[4:5]
	s_mov_b64 s[0:1], 0
	s_cbranch_vccnz .LBB134_360
; %bb.352:
	v_cmp_lt_i16_e32 vcc, 14, v10
	s_mov_b64 s[4:5], -1
	s_cbranch_vccz .LBB134_356
; %bb.353:
	v_cmp_eq_u16_e32 vcc, 15, v10
	s_mov_b64 s[42:43], -1
	s_cbranch_vccz .LBB134_355
; %bb.354:
	v_mov_b32_e32 v2, s48
	global_store_short v[8:9], v2, off
	s_mov_b64 s[42:43], 0
.LBB134_355:
	s_mov_b64 s[4:5], 0
.LBB134_356:
	s_and_b64 vcc, exec, s[4:5]
	s_cbranch_vccz .LBB134_360
; %bb.357:
	v_cmp_ne_u16_e32 vcc, 11, v10
	s_andn2_b64 s[4:5], s[42:43], exec
	s_and_b64 s[14:15], vcc, exec
	s_mov_b64 s[0:1], -1
	s_or_b64 s[42:43], s[4:5], s[14:15]
	s_branch .LBB134_360
.LBB134_358:
	s_mov_b64 s[0:1], 0
	s_mov_b64 s[2:3], -1
	s_mov_b64 s[42:43], s[38:39]
	s_branch .LBB134_360
.LBB134_359:
	s_mov_b64 s[0:1], 0
.LBB134_360:
	s_and_b64 s[46:47], s[2:3], exec
	s_and_b64 s[44:45], s[0:1], exec
	s_andn2_b64 s[0:1], s[38:39], exec
	s_and_b64 s[2:3], s[42:43], exec
	s_or_b64 s[42:43], s[0:1], s[2:3]
.LBB134_361:
	s_or_b64 exec, exec, s[40:41]
	s_andn2_b64 s[0:1], s[38:39], exec
	s_and_b64 s[2:3], s[42:43], exec
	s_and_b64 s[46:47], s[46:47], exec
	s_and_b64 s[40:41], s[44:45], exec
	s_or_b64 s[38:39], s[0:1], s[2:3]
.LBB134_362:
	s_or_b64 exec, exec, s[36:37]
	s_andn2_b64 s[0:1], s[30:31], exec
	s_and_b64 s[2:3], s[38:39], exec
	s_and_b64 s[36:37], s[46:47], exec
	;; [unrolled: 1-line block ×3, first 2 shown]
	s_or_b64 s[30:31], s[0:1], s[2:3]
.LBB134_363:
	s_or_b64 exec, exec, s[34:35]
	s_andn2_b64 s[0:1], s[26:27], exec
	s_and_b64 s[2:3], s[30:31], exec
	s_and_b64 s[36:37], s[36:37], exec
	;; [unrolled: 1-line block ×3, first 2 shown]
	s_or_b64 s[26:27], s[0:1], s[2:3]
	s_or_b64 exec, exec, s[28:29]
	s_mov_b64 s[0:1], 0
	s_and_saveexec_b64 s[2:3], s[26:27]
	s_cbranch_execz .LBB134_110
.LBB134_364:
	s_mov_b64 s[0:1], exec
	s_andn2_b64 s[34:35], s[34:35], exec
	s_trap 2
	s_or_b64 exec, exec, s[2:3]
	s_and_saveexec_b64 s[2:3], s[34:35]
	s_xor_b64 s[2:3], exec, s[2:3]
	s_cbranch_execnz .LBB134_111
.LBB134_365:
	s_or_b64 exec, exec, s[2:3]
	s_and_saveexec_b64 s[2:3], s[36:37]
	s_xor_b64 s[2:3], exec, s[2:3]
	s_cbranch_execz .LBB134_403
.LBB134_366:
	v_cmp_gt_i16_e32 vcc, 5, v10
	s_mov_b64 s[4:5], -1
	s_cbranch_vccnz .LBB134_387
; %bb.367:
	v_cmp_gt_i16_e32 vcc, 8, v10
	s_cbranch_vccnz .LBB134_377
; %bb.368:
	v_cmp_gt_i16_e32 vcc, 9, v10
	s_cbranch_vccnz .LBB134_374
; %bb.369:
	v_cmp_lt_i16_e32 vcc, 9, v10
	s_cbranch_vccz .LBB134_371
; %bb.370:
	v_mov_b32_e32 v2, 0
	v_mov_b32_e32 v3, v2
	s_mov_b64 s[4:5], 0
	global_store_dwordx4 v[8:9], v[0:3], off
.LBB134_371:
	s_andn2_b64 vcc, exec, s[4:5]
	s_cbranch_vccnz .LBB134_373
; %bb.372:
	v_mov_b32_e32 v2, s33
	v_mov_b32_e32 v3, 0
	global_store_dwordx2 v[8:9], v[2:3], off
.LBB134_373:
	s_mov_b64 s[4:5], 0
.LBB134_374:
	s_andn2_b64 vcc, exec, s[4:5]
	s_cbranch_vccnz .LBB134_376
; %bb.375:
	global_store_dword v[8:9], v12, off
.LBB134_376:
	s_mov_b64 s[4:5], 0
.LBB134_377:
	s_andn2_b64 vcc, exec, s[4:5]
	s_cbranch_vccnz .LBB134_386
; %bb.378:
	v_cmp_gt_i16_e32 vcc, 6, v10
	s_mov_b64 s[4:5], -1
	s_cbranch_vccnz .LBB134_384
; %bb.379:
	v_cmp_lt_i16_e32 vcc, 6, v10
	s_cbranch_vccz .LBB134_381
; %bb.380:
	s_mov_b64 s[4:5], 0
	global_store_dwordx2 v[8:9], v[0:1], off
.LBB134_381:
	s_andn2_b64 vcc, exec, s[4:5]
	s_cbranch_vccnz .LBB134_383
; %bb.382:
	v_mov_b32_e32 v0, s33
	global_store_dword v[8:9], v0, off
.LBB134_383:
	s_mov_b64 s[4:5], 0
.LBB134_384:
	s_andn2_b64 vcc, exec, s[4:5]
	s_cbranch_vccnz .LBB134_386
; %bb.385:
	global_store_short v[8:9], v12, off
.LBB134_386:
	s_mov_b64 s[4:5], 0
.LBB134_387:
	s_andn2_b64 vcc, exec, s[4:5]
	s_cbranch_vccnz .LBB134_403
; %bb.388:
	v_cmp_gt_i16_e32 vcc, 2, v10
	s_mov_b64 s[4:5], -1
	s_cbranch_vccnz .LBB134_398
; %bb.389:
	v_cmp_gt_i16_e32 vcc, 3, v10
	s_cbranch_vccnz .LBB134_395
; %bb.390:
	v_cmp_lt_i16_e32 vcc, 3, v10
	s_cbranch_vccz .LBB134_392
; %bb.391:
	s_mov_b64 s[4:5], 0
	global_store_dwordx2 v[8:9], v[4:5], off
.LBB134_392:
	s_andn2_b64 vcc, exec, s[4:5]
	s_cbranch_vccnz .LBB134_394
; %bb.393:
	global_store_dword v[8:9], v11, off
.LBB134_394:
	s_mov_b64 s[4:5], 0
.LBB134_395:
	s_andn2_b64 vcc, exec, s[4:5]
	s_cbranch_vccnz .LBB134_397
; %bb.396:
	global_store_short v[8:9], v11, off
.LBB134_397:
	s_mov_b64 s[4:5], 0
.LBB134_398:
	s_andn2_b64 vcc, exec, s[4:5]
	s_cbranch_vccnz .LBB134_403
; %bb.399:
	v_cmp_lt_i16_e32 vcc, 0, v10
	s_mov_b64 s[4:5], -1
	s_cbranch_vccz .LBB134_401
; %bb.400:
	s_mov_b64 s[4:5], 0
	global_store_byte v[8:9], v11, off
.LBB134_401:
	s_andn2_b64 vcc, exec, s[4:5]
	s_cbranch_vccnz .LBB134_403
; %bb.402:
	global_store_byte v[8:9], v4, off
.LBB134_403:
	s_or_b64 exec, exec, s[2:3]
	s_and_b64 s[2:3], s[0:1], exec
                                        ; implicit-def: $vgpr10
                                        ; implicit-def: $vgpr18
.LBB134_404:
	s_or_saveexec_b64 s[4:5], s[6:7]
	s_mov_b64 s[0:1], 0
                                        ; implicit-def: $vgpr0_vgpr1
	s_xor_b64 exec, exec, s[4:5]
	s_cbranch_execz .LBB134_433
; %bb.405:
	v_mul_lo_u32 v2, s10, v18
	v_ashrrev_i32_e32 v1, 31, v2
	v_mov_b32_e32 v3, s9
	v_add_co_u32_e32 v0, vcc, s8, v2
	v_addc_co_u32_e32 v1, vcc, v3, v1, vcc
	v_cmp_gt_i16_e64 s[0:1], 11, v10
	s_and_b64 vcc, exec, s[0:1]
	s_cbranch_vccnz .LBB134_436
; %bb.406:
	v_cmp_lt_i16_e32 vcc, 25, v10
	s_mov_b64 s[16:17], -1
	s_mov_b64 s[14:15], 0
	s_mov_b64 s[6:7], 0
	s_cbranch_vccz .LBB134_446
; %bb.407:
	v_cmp_lt_i16_e32 vcc, 28, v10
	s_cbranch_vccz .LBB134_422
; %bb.408:
	v_cmp_lt_i16_e32 vcc, 43, v10
	;; [unrolled: 3-line block ×3, first 2 shown]
	s_cbranch_vccz .LBB134_412
; %bb.410:
	v_cmp_eq_u16_e32 vcc, 46, v10
	s_mov_b64 s[6:7], -1
	s_mov_b64 s[16:17], 0
	s_cbranch_vccz .LBB134_412
; %bb.411:
	s_lshl_b32 s6, s11, 24
	s_and_b32 s7, s6, 0x80000000
	s_and_b32 s6, s6, 0x7f000000
	s_flbit_i32_b32 s14, s6
	s_min_u32 s14, s14, 32
	v_sub_u32_e64 v3, s14, 4 clamp
	v_readfirstlane_b32 s15, v3
	s_lshl_b32 s18, s6, s15
	s_add_i32 s14, s6, 0x1000000
	s_lshr_b32 s18, s18, 4
	s_lshl_b32 s15, s15, 23
	s_ashr_i32 s14, s14, 8
	s_sub_i32 s15, s18, s15
	s_and_b32 s14, s14, 0x7f800000
	s_add_i32 s15, s15, 0x3c000000
	s_or_b32 s14, s15, s14
	s_cmp_lg_u32 s6, 0
	s_cselect_b32 s6, s14, 0
	s_or_b32 s7, s6, s7
	s_bfe_u32 s6, s6, 0x10010
	s_add_i32 s6, s7, s6
	s_addk_i32 s6, 0x7fff
	s_lshr_b32 s14, s6, 16
	v_cmp_o_f32_e64 s[6:7], s7, s7
	s_and_b64 s[6:7], s[6:7], exec
	s_cselect_b32 s6, s14, 0x7fc0
	v_mov_b32_e32 v3, s6
	global_store_dword v[0:1], v3, off
	s_mov_b64 s[6:7], 0
	s_mov_b64 s[14:15], -1
.LBB134_412:
	s_and_b64 vcc, exec, s[16:17]
	s_cbranch_vccz .LBB134_417
; %bb.413:
	v_cmp_eq_u16_e32 vcc, 44, v10
	s_mov_b64 s[6:7], -1
	s_cbranch_vccz .LBB134_417
; %bb.414:
	s_lshl_b32 s6, s11, 24
	s_and_b32 s6, s6, 0x7f000000
	s_flbit_i32_b32 s7, s6
	s_min_u32 s7, s7, 32
	v_sub_u32_e64 v3, s7, 4 clamp
	v_readfirstlane_b32 s14, v3
	s_lshl_b32 s15, s6, s14
	s_add_i32 s7, s6, 0x1000000
	s_lshr_b32 s15, s15, 4
	s_lshl_b32 s14, s14, 23
	s_ashr_i32 s7, s7, 8
	s_sub_i32 s14, s15, s14
	s_and_b32 s7, s7, 0x7f800000
	s_add_i32 s14, s14, 0x3c000000
	s_or_b32 s7, s14, s7
	s_cmp_lg_u32 s6, 0
	s_cselect_b32 s7, s7, 0
	s_lshr_b32 s6, s7, 23
	s_cmpk_eq_i32 s6, 0xff
	v_mov_b32_e32 v3, 0xff
	s_cbranch_scc1 .LBB134_416
; %bb.415:
	s_bitcmp1_b32 s7, 22
	s_cselect_b64 s[14:15], -1, 0
	s_and_b32 s7, s7, 0x3fffff
	s_or_b32 s7, s6, s7
	s_cmp_lg_u32 s7, 0
	s_cselect_b64 s[16:17], -1, 0
	s_and_b64 s[14:15], s[14:15], s[16:17]
	v_cndmask_b32_e64 v3, 0, 1, s[14:15]
	v_add_u32_e32 v3, s6, v3
.LBB134_416:
	s_mov_b64 s[6:7], 0
	s_mov_b64 s[14:15], -1
	global_store_byte v[0:1], v3, off
.LBB134_417:
	s_mov_b64 s[16:17], 0
.LBB134_418:
	s_and_b64 vcc, exec, s[16:17]
	s_cbranch_vccz .LBB134_421
; %bb.419:
	v_cmp_eq_u16_e32 vcc, 29, v10
	s_mov_b64 s[6:7], -1
	s_cbranch_vccz .LBB134_421
; %bb.420:
	s_lshl_b32 s6, s11, 24
	s_and_b32 s7, s6, 0x80000000
	s_and_b32 s6, s6, 0x7f000000
	s_flbit_i32_b32 s14, s6
	s_min_u32 s14, s14, 32
	v_sub_u32_e64 v3, s14, 4 clamp
	v_readfirstlane_b32 s15, v3
	s_lshl_b32 s16, s6, s15
	s_add_i32 s14, s6, 0x1000000
	s_lshr_b32 s16, s16, 4
	s_lshl_b32 s15, s15, 23
	s_ashr_i32 s14, s14, 8
	s_sub_i32 s15, s16, s15
	s_and_b32 s14, s14, 0x7f800000
	s_add_i32 s15, s15, 0x3c000000
	s_or_b32 s14, s15, s14
	s_cmp_lg_u32 s6, 0
	s_cselect_b32 s6, s14, 0
	s_or_b32 s6, s6, s7
	v_trunc_f32_e32 v3, s6
	v_mul_f32_e32 v4, 0x2f800000, v3
	v_floor_f32_e32 v5, v4
	v_fmac_f32_e32 v3, 0xcf800000, v5
	v_cvt_u32_f32_e32 v4, v3
	v_cvt_u32_f32_e32 v5, v5
	s_mov_b64 s[6:7], 0
	s_mov_b64 s[14:15], -1
	global_store_dwordx2 v[0:1], v[4:5], off
.LBB134_421:
	s_mov_b64 s[16:17], 0
.LBB134_422:
	s_and_b64 vcc, exec, s[16:17]
	s_cbranch_vccz .LBB134_445
; %bb.423:
	v_cmp_gt_i16_e32 vcc, 27, v10
	s_mov_b64 s[14:15], -1
	s_cbranch_vccnz .LBB134_429
; %bb.424:
	v_cmp_lt_i16_e32 vcc, 27, v10
	s_cbranch_vccz .LBB134_426
; %bb.425:
	s_lshl_b32 s14, s11, 24
	s_and_b32 s15, s14, 0x80000000
	s_and_b32 s14, s14, 0x7f000000
	s_flbit_i32_b32 s16, s14
	s_min_u32 s16, s16, 32
	v_sub_u32_e64 v3, s16, 4 clamp
	v_readfirstlane_b32 s17, v3
	s_lshl_b32 s18, s14, s17
	s_add_i32 s16, s14, 0x1000000
	s_lshr_b32 s18, s18, 4
	s_lshl_b32 s17, s17, 23
	s_ashr_i32 s16, s16, 8
	s_sub_i32 s17, s18, s17
	s_and_b32 s16, s16, 0x7f800000
	s_add_i32 s17, s17, 0x3c000000
	s_or_b32 s16, s17, s16
	s_cmp_lg_u32 s14, 0
	s_cselect_b32 s14, s16, 0
	s_or_b32 s14, s14, s15
	v_cvt_u32_f32_e32 v3, s14
	s_mov_b64 s[14:15], 0
	global_store_dword v[0:1], v3, off
.LBB134_426:
	s_andn2_b64 vcc, exec, s[14:15]
	s_cbranch_vccnz .LBB134_428
; %bb.427:
	s_lshl_b32 s14, s11, 24
	s_and_b32 s15, s14, 0x80000000
	s_and_b32 s14, s14, 0x7f000000
	s_flbit_i32_b32 s16, s14
	s_min_u32 s16, s16, 32
	v_sub_u32_e64 v3, s16, 4 clamp
	v_readfirstlane_b32 s17, v3
	s_lshl_b32 s18, s14, s17
	s_add_i32 s16, s14, 0x1000000
	s_lshr_b32 s18, s18, 4
	s_lshl_b32 s17, s17, 23
	s_ashr_i32 s16, s16, 8
	s_sub_i32 s17, s18, s17
	s_and_b32 s16, s16, 0x7f800000
	s_add_i32 s17, s17, 0x3c000000
	s_or_b32 s16, s17, s16
	s_cmp_lg_u32 s14, 0
	s_cselect_b32 s14, s16, 0
	s_or_b32 s14, s14, s15
	v_cvt_u32_f32_e32 v3, s14
	global_store_short v[0:1], v3, off
.LBB134_428:
	s_mov_b64 s[14:15], 0
.LBB134_429:
	s_andn2_b64 vcc, exec, s[14:15]
	s_cbranch_vccnz .LBB134_444
; %bb.430:
	s_lshl_b32 s14, s11, 24
	s_and_b32 s15, s14, 0x80000000
	s_and_b32 s14, s14, 0x7f000000
	s_flbit_i32_b32 s16, s14
	s_min_u32 s16, s16, 32
	v_sub_u32_e64 v3, s16, 4 clamp
	v_readfirstlane_b32 s17, v3
	s_lshl_b32 s18, s14, s17
	s_add_i32 s16, s14, 0x1000000
	s_lshr_b32 s18, s18, 4
	s_lshl_b32 s17, s17, 23
	s_ashr_i32 s16, s16, 8
	s_sub_i32 s17, s18, s17
	s_and_b32 s16, s16, 0x7f800000
	s_add_i32 s17, s17, 0x3c000000
	s_or_b32 s16, s17, s16
	s_cmp_lg_u32 s14, 0
	s_cselect_b32 s14, s16, 0
	s_or_b32 s18, s14, s15
	s_and_b32 s15, s18, 0x7fffffff
	s_cmp_gt_u32 s15, 0x437fffff
	v_mov_b32_e32 v4, 0x80
	s_cbranch_scc1 .LBB134_443
; %bb.431:
	s_cmp_gt_u32 s15, 0x3bffffff
	s_cbranch_scc0 .LBB134_438
; %bb.432:
	s_bfe_u32 s14, s14, 0x10014
	s_add_i32 s14, s18, s14
	s_add_i32 s14, s14, 0x487ffff
	s_lshr_b32 s19, s14, 20
	s_mov_b64 s[16:17], 0
	s_mov_b64 s[14:15], -1
	s_branch .LBB134_439
.LBB134_433:
	s_or_b64 exec, exec, s[4:5]
	s_and_saveexec_b64 s[4:5], s[2:3]
	s_cbranch_execz .LBB134_804
.LBB134_434:
	; divergent unreachable
	s_or_b64 exec, exec, s[4:5]
	s_and_saveexec_b64 s[2:3], s[12:13]
	s_xor_b64 s[2:3], exec, s[2:3]
	s_cbranch_execnz .LBB134_805
.LBB134_435:
	s_or_b64 exec, exec, s[2:3]
	s_and_saveexec_b64 s[2:3], s[0:1]
	s_cbranch_execnz .LBB134_806
	s_branch .LBB134_843
.LBB134_436:
	s_mov_b64 s[14:15], 0
	s_mov_b64 s[6:7], s[2:3]
	s_cbranch_execnz .LBB134_486
.LBB134_437:
	s_andn2_b64 vcc, exec, s[14:15]
	s_cbranch_vccz .LBB134_524
	s_branch .LBB134_802
.LBB134_438:
	s_mov_b64 s[16:17], -1
	s_mov_b64 s[14:15], 0
                                        ; implicit-def: $sgpr19
.LBB134_439:
	s_andn2_b64 vcc, exec, s[16:17]
	v_mov_b32_e32 v3, s19
                                        ; implicit-def: $sgpr16
	s_cbranch_vccnz .LBB134_441
; %bb.440:
	v_mov_b32_e32 v3, 0x46000000
	v_add_f32_e64 v3, |s18|, v3
	v_and_b32_e32 v3, 0xff, v3
	s_mov_b32 s16, 0
	v_cmp_ne_u32_e64 s[14:15], 0, v3
.LBB134_441:
	s_andn2_b64 vcc, exec, s[14:15]
	v_mov_b32_e32 v4, s16
	s_cbranch_vccnz .LBB134_443
; %bb.442:
	s_lshr_b32 s14, s18, 24
	s_and_b32 s14, s14, 0x80
	v_or_b32_e32 v4, s14, v3
.LBB134_443:
	global_store_byte v[0:1], v4, off
.LBB134_444:
	s_mov_b64 s[14:15], -1
.LBB134_445:
	s_mov_b64 s[16:17], 0
.LBB134_446:
	s_and_b64 vcc, exec, s[16:17]
	s_cbranch_vccz .LBB134_482
; %bb.447:
	v_cmp_lt_i16_e32 vcc, 22, v10
	s_mov_b64 s[12:13], -1
	s_cbranch_vccz .LBB134_475
; %bb.448:
	v_cmp_gt_i16_e32 vcc, 24, v10
	s_cbranch_vccnz .LBB134_462
; %bb.449:
	v_cmp_lt_i16_e32 vcc, 24, v10
	s_cbranch_vccz .LBB134_459
; %bb.450:
	s_lshl_b32 s12, s11, 24
	s_and_b32 s13, s12, 0x80000000
	s_and_b32 s12, s12, 0x7f000000
	s_flbit_i32_b32 s14, s12
	s_min_u32 s14, s14, 32
	v_sub_u32_e64 v3, s14, 4 clamp
	v_readfirstlane_b32 s15, v3
	s_lshl_b32 s16, s12, s15
	s_add_i32 s14, s12, 0x1000000
	s_lshr_b32 s16, s16, 4
	s_lshl_b32 s15, s15, 23
	s_ashr_i32 s14, s14, 8
	s_sub_i32 s15, s16, s15
	s_and_b32 s14, s14, 0x7f800000
	s_add_i32 s15, s15, 0x3c000000
	s_or_b32 s14, s15, s14
	s_cmp_lg_u32 s12, 0
	s_cselect_b32 s12, s14, 0
	s_or_b32 s16, s12, s13
	s_and_b32 s13, s16, 0x7fffffff
	s_cmp_gt_u32 s13, 0x477fffff
	v_mov_b32_e32 v4, 0x80
	s_cbranch_scc1 .LBB134_458
; %bb.451:
	s_cmp_gt_u32 s13, 0x37ffffff
	s_cbranch_scc0 .LBB134_453
; %bb.452:
	s_bfe_u32 s12, s12, 0x10015
	s_add_i32 s12, s16, s12
	s_add_i32 s12, s12, 0x88fffff
	s_lshr_b32 s17, s12, 21
	s_mov_b64 s[14:15], 0
	s_mov_b64 s[12:13], -1
	s_branch .LBB134_454
.LBB134_453:
	s_mov_b64 s[14:15], -1
	s_mov_b64 s[12:13], 0
                                        ; implicit-def: $sgpr17
.LBB134_454:
	s_andn2_b64 vcc, exec, s[14:15]
	v_mov_b32_e32 v3, s17
                                        ; implicit-def: $sgpr14
	s_cbranch_vccnz .LBB134_456
; %bb.455:
	v_mov_b32_e32 v3, 0x42800000
	v_add_f32_e64 v3, |s16|, v3
	v_and_b32_e32 v3, 0xff, v3
	s_mov_b32 s14, 0
	v_cmp_ne_u32_e64 s[12:13], 0, v3
.LBB134_456:
	s_andn2_b64 vcc, exec, s[12:13]
	v_mov_b32_e32 v4, s14
	s_cbranch_vccnz .LBB134_458
; %bb.457:
	s_lshr_b32 s12, s16, 24
	s_and_b32 s12, s12, 0x80
	v_or_b32_e32 v4, s12, v3
.LBB134_458:
	s_mov_b64 s[12:13], 0
	global_store_byte v[0:1], v4, off
.LBB134_459:
	s_and_b64 vcc, exec, s[12:13]
	s_cbranch_vccz .LBB134_461
; %bb.460:
	v_mov_b32_e32 v3, s11
	global_store_byte v[0:1], v3, off
.LBB134_461:
	s_mov_b64 s[12:13], 0
.LBB134_462:
	s_andn2_b64 vcc, exec, s[12:13]
	s_cbranch_vccnz .LBB134_474
; %bb.463:
	s_lshl_b32 s12, s11, 24
	s_and_b32 s13, s12, 0x80000000
	s_and_b32 s12, s12, 0x7f000000
	s_flbit_i32_b32 s14, s12
	s_min_u32 s14, s14, 32
	v_sub_u32_e64 v3, s14, 4 clamp
	v_readfirstlane_b32 s15, v3
	s_lshl_b32 s16, s12, s15
	s_add_i32 s14, s12, 0x1000000
	s_lshr_b32 s16, s16, 4
	s_lshl_b32 s15, s15, 23
	s_ashr_i32 s14, s14, 8
	s_sub_i32 s15, s16, s15
	s_and_b32 s14, s14, 0x7f800000
	s_add_i32 s15, s15, 0x3c000000
	s_or_b32 s14, s15, s14
	s_cmp_lg_u32 s12, 0
	s_cselect_b32 s12, s14, 0
	s_or_b32 s14, s12, s13
	s_and_b32 s15, s14, 0x7fffffff
	s_cmp_lt_u32 s15, 0x47800000
	s_cbranch_scc0 .LBB134_466
; %bb.464:
	s_cmp_gt_u32 s15, 0x387fffff
	s_cbranch_scc0 .LBB134_467
; %bb.465:
	s_bfe_u32 s12, s12, 0x10015
	s_add_i32 s12, s14, s12
	s_add_i32 s12, s12, 0x80fffff
	s_lshr_b32 s16, s12, 21
	s_mov_b64 s[12:13], 0
	s_branch .LBB134_468
.LBB134_466:
	s_mov_b64 s[12:13], -1
                                        ; implicit-def: $vgpr3
	s_branch .LBB134_471
.LBB134_467:
	s_mov_b64 s[12:13], -1
                                        ; implicit-def: $sgpr16
.LBB134_468:
	s_andn2_b64 vcc, exec, s[12:13]
	v_mov_b32_e32 v3, s16
	s_cbranch_vccnz .LBB134_470
; %bb.469:
	v_mov_b32_e32 v3, 0x43000000
	v_add_f32_e64 v3, |s14|, v3
.LBB134_470:
	s_mov_b64 s[12:13], 0
.LBB134_471:
	s_andn2_b64 vcc, exec, s[12:13]
	s_cbranch_vccnz .LBB134_473
; %bb.472:
	s_cmp_gt_u32 s15, 0x7f800000
	s_movk_i32 s12, 0x7f
	s_cselect_b32 s12, s12, 0x7c
	v_mov_b32_e32 v3, s12
.LBB134_473:
	s_lshr_b32 s12, s14, 24
	s_and_b32 s12, s12, 0x80
	v_or_b32_e32 v3, s12, v3
	global_store_byte v[0:1], v3, off
.LBB134_474:
	s_mov_b64 s[12:13], 0
	s_mov_b64 s[14:15], -1
.LBB134_475:
	s_andn2_b64 vcc, exec, s[12:13]
	s_mov_b64 s[12:13], 0
	s_cbranch_vccnz .LBB134_482
; %bb.476:
	v_cmp_lt_i16_e32 vcc, 14, v10
	s_mov_b64 s[16:17], -1
	s_cbranch_vccz .LBB134_480
; %bb.477:
	v_cmp_eq_u16_e32 vcc, 15, v10
	s_mov_b64 s[6:7], -1
	s_cbranch_vccz .LBB134_479
; %bb.478:
	s_lshl_b32 s6, s11, 24
	s_and_b32 s7, s6, 0x80000000
	s_and_b32 s6, s6, 0x7f000000
	s_flbit_i32_b32 s12, s6
	s_min_u32 s12, s12, 32
	v_sub_u32_e64 v3, s12, 4 clamp
	v_readfirstlane_b32 s13, v3
	s_lshl_b32 s14, s6, s13
	s_add_i32 s12, s6, 0x1000000
	s_lshr_b32 s14, s14, 4
	s_lshl_b32 s13, s13, 23
	s_ashr_i32 s12, s12, 8
	s_sub_i32 s13, s14, s13
	s_and_b32 s12, s12, 0x7f800000
	s_add_i32 s13, s13, 0x3c000000
	s_or_b32 s12, s13, s12
	s_cmp_lg_u32 s6, 0
	s_cselect_b32 s6, s12, 0
	s_or_b32 s7, s6, s7
	s_bfe_u32 s6, s6, 0x10010
	s_add_i32 s6, s7, s6
	s_addk_i32 s6, 0x7fff
	s_lshr_b32 s12, s6, 16
	v_cmp_o_f32_e64 s[6:7], s7, s7
	s_and_b64 s[6:7], s[6:7], exec
	s_cselect_b32 s6, s12, 0x7fc0
	v_mov_b32_e32 v3, s6
	global_store_short v[0:1], v3, off
	s_mov_b64 s[6:7], 0
	s_mov_b64 s[14:15], -1
.LBB134_479:
	s_mov_b64 s[16:17], 0
.LBB134_480:
	s_mov_b64 s[12:13], 0
	s_and_b64 vcc, exec, s[16:17]
	s_cbranch_vccz .LBB134_482
; %bb.481:
	v_cmp_ne_u16_e64 s[6:7], 11, v10
	s_mov_b64 s[12:13], -1
.LBB134_482:
	s_and_b64 vcc, exec, s[6:7]
	s_mov_b64 s[6:7], s[2:3]
	s_cbranch_vccnz .LBB134_554
; %bb.483:
	s_andn2_b64 vcc, exec, s[12:13]
	s_cbranch_vccnz .LBB134_485
.LBB134_484:
	s_lshl_b32 s12, s11, 24
	s_and_b32 s12, s12, 0x7f000000
	s_flbit_i32_b32 s13, s12
	s_min_u32 s13, s13, 32
	v_sub_u32_e64 v3, s13, 4 clamp
	s_add_i32 s13, s12, 0x1000000
	s_ashr_i32 s13, s13, 8
	s_and_b32 s14, s13, 0x7f800000
	v_readfirstlane_b32 s13, v3
	s_lshl_b32 s15, s12, s13
	s_lshr_b32 s15, s15, 4
	s_lshl_b32 s13, s13, 23
	s_sub_i32 s13, s15, s13
	s_add_i32 s15, s13, 0x3c000000
	s_cmp_lg_u32 s12, 0
	s_cselect_b64 s[12:13], -1, 0
	s_and_b32 s15, s15, 0x7ff00000
	s_or_b32 s14, s15, s14
	s_cmp_lg_u32 s14, 0
	s_cselect_b64 s[14:15], -1, 0
	s_and_b64 s[12:13], s[12:13], s[14:15]
	v_cndmask_b32_e64 v3, 0, 1, s[12:13]
	s_mov_b64 s[14:15], -1
	global_store_byte v[0:1], v3, off
.LBB134_485:
	s_branch .LBB134_437
.LBB134_486:
	v_cmp_gt_i16_e32 vcc, 5, v10
	s_mov_b64 s[12:13], -1
	s_cbranch_vccnz .LBB134_507
; %bb.487:
	v_cmp_gt_i16_e32 vcc, 8, v10
	s_cbranch_vccnz .LBB134_497
; %bb.488:
	v_cmp_gt_i16_e32 vcc, 9, v10
	s_cbranch_vccnz .LBB134_494
; %bb.489:
	v_cmp_lt_i16_e32 vcc, 9, v10
	s_cbranch_vccz .LBB134_491
; %bb.490:
	s_lshl_b32 s12, s11, 24
	s_and_b32 s13, s12, 0x80000000
	s_and_b32 s12, s12, 0x7f000000
	s_flbit_i32_b32 s14, s12
	s_min_u32 s14, s14, 32
	v_sub_u32_e64 v3, s14, 4 clamp
	v_readfirstlane_b32 s15, v3
	s_lshl_b32 s16, s12, s15
	s_add_i32 s14, s12, 0x1000000
	s_lshr_b32 s16, s16, 4
	s_lshl_b32 s15, s15, 23
	s_ashr_i32 s14, s14, 8
	s_sub_i32 s15, s16, s15
	s_and_b32 s14, s14, 0x7f800000
	s_add_i32 s15, s15, 0x3c000000
	s_or_b32 s14, s15, s14
	s_cmp_lg_u32 s12, 0
	s_cselect_b32 s12, s14, 0
	s_or_b32 s12, s12, s13
	v_mov_b32_e32 v6, 0
	v_cvt_f64_f32_e32 v[4:5], s12
	v_mov_b32_e32 v7, v6
	global_store_dwordx4 v[0:1], v[4:7], off
	s_mov_b64 s[12:13], 0
.LBB134_491:
	s_andn2_b64 vcc, exec, s[12:13]
	s_cbranch_vccnz .LBB134_493
; %bb.492:
	s_lshl_b32 s12, s11, 24
	s_and_b32 s13, s12, 0x80000000
	s_and_b32 s12, s12, 0x7f000000
	s_flbit_i32_b32 s14, s12
	s_min_u32 s14, s14, 32
	v_sub_u32_e64 v3, s14, 4 clamp
	v_readfirstlane_b32 s15, v3
	s_lshl_b32 s16, s12, s15
	s_add_i32 s14, s12, 0x1000000
	s_lshr_b32 s16, s16, 4
	s_lshl_b32 s15, s15, 23
	s_ashr_i32 s14, s14, 8
	s_sub_i32 s15, s16, s15
	s_and_b32 s14, s14, 0x7f800000
	s_add_i32 s15, s15, 0x3c000000
	s_or_b32 s14, s15, s14
	s_cmp_lg_u32 s12, 0
	s_cselect_b32 s12, s14, 0
	s_or_b32 s12, s12, s13
	v_mov_b32_e32 v4, s12
	v_mov_b32_e32 v5, 0
	global_store_dwordx2 v[0:1], v[4:5], off
.LBB134_493:
	s_mov_b64 s[12:13], 0
.LBB134_494:
	s_andn2_b64 vcc, exec, s[12:13]
	s_cbranch_vccnz .LBB134_496
; %bb.495:
	s_lshl_b32 s12, s11, 24
	s_and_b32 s13, s12, 0x80000000
	s_and_b32 s12, s12, 0x7f000000
	s_flbit_i32_b32 s14, s12
	s_min_u32 s14, s14, 32
	v_sub_u32_e64 v3, s14, 4 clamp
	v_readfirstlane_b32 s15, v3
	s_lshl_b32 s16, s12, s15
	s_add_i32 s14, s12, 0x1000000
	s_lshr_b32 s16, s16, 4
	s_lshl_b32 s15, s15, 23
	s_ashr_i32 s14, s14, 8
	s_sub_i32 s15, s16, s15
	s_and_b32 s14, s14, 0x7f800000
	s_add_i32 s15, s15, 0x3c000000
	s_or_b32 s14, s15, s14
	s_cmp_lg_u32 s12, 0
	s_cselect_b32 s12, s14, 0
	s_or_b32 s12, s12, s13
	v_cvt_f16_f32_e32 v3, s12
	global_store_dword v[0:1], v3, off
.LBB134_496:
	s_mov_b64 s[12:13], 0
.LBB134_497:
	s_andn2_b64 vcc, exec, s[12:13]
	s_cbranch_vccnz .LBB134_506
; %bb.498:
	v_cmp_gt_i16_e32 vcc, 6, v10
	s_mov_b64 s[12:13], -1
	s_cbranch_vccnz .LBB134_504
; %bb.499:
	v_cmp_lt_i16_e32 vcc, 6, v10
	s_cbranch_vccz .LBB134_501
; %bb.500:
	s_lshl_b32 s12, s11, 24
	s_and_b32 s13, s12, 0x80000000
	s_and_b32 s12, s12, 0x7f000000
	s_flbit_i32_b32 s14, s12
	s_min_u32 s14, s14, 32
	v_sub_u32_e64 v3, s14, 4 clamp
	v_readfirstlane_b32 s15, v3
	s_lshl_b32 s16, s12, s15
	s_add_i32 s14, s12, 0x1000000
	s_lshr_b32 s16, s16, 4
	s_lshl_b32 s15, s15, 23
	s_ashr_i32 s14, s14, 8
	s_sub_i32 s15, s16, s15
	s_and_b32 s14, s14, 0x7f800000
	s_add_i32 s15, s15, 0x3c000000
	s_or_b32 s14, s15, s14
	s_cmp_lg_u32 s12, 0
	s_cselect_b32 s12, s14, 0
	s_or_b32 s12, s12, s13
	v_cvt_f64_f32_e32 v[4:5], s12
	global_store_dwordx2 v[0:1], v[4:5], off
	s_mov_b64 s[12:13], 0
.LBB134_501:
	s_andn2_b64 vcc, exec, s[12:13]
	s_cbranch_vccnz .LBB134_503
; %bb.502:
	s_lshl_b32 s12, s11, 24
	s_and_b32 s13, s12, 0x80000000
	s_and_b32 s12, s12, 0x7f000000
	s_flbit_i32_b32 s14, s12
	s_min_u32 s14, s14, 32
	v_sub_u32_e64 v3, s14, 4 clamp
	v_readfirstlane_b32 s15, v3
	s_lshl_b32 s16, s12, s15
	s_add_i32 s14, s12, 0x1000000
	s_lshr_b32 s16, s16, 4
	s_lshl_b32 s15, s15, 23
	s_ashr_i32 s14, s14, 8
	s_sub_i32 s15, s16, s15
	s_and_b32 s14, s14, 0x7f800000
	s_add_i32 s15, s15, 0x3c000000
	s_or_b32 s14, s15, s14
	s_cmp_lg_u32 s12, 0
	s_cselect_b32 s12, s14, 0
	s_or_b32 s12, s12, s13
	v_mov_b32_e32 v3, s12
	global_store_dword v[0:1], v3, off
.LBB134_503:
	s_mov_b64 s[12:13], 0
.LBB134_504:
	s_andn2_b64 vcc, exec, s[12:13]
	s_cbranch_vccnz .LBB134_506
; %bb.505:
	s_lshl_b32 s12, s11, 24
	s_and_b32 s13, s12, 0x80000000
	s_and_b32 s12, s12, 0x7f000000
	s_flbit_i32_b32 s14, s12
	s_min_u32 s14, s14, 32
	v_sub_u32_e64 v3, s14, 4 clamp
	v_readfirstlane_b32 s15, v3
	s_lshl_b32 s16, s12, s15
	s_add_i32 s14, s12, 0x1000000
	s_lshr_b32 s16, s16, 4
	s_lshl_b32 s15, s15, 23
	s_ashr_i32 s14, s14, 8
	s_sub_i32 s15, s16, s15
	s_and_b32 s14, s14, 0x7f800000
	s_add_i32 s15, s15, 0x3c000000
	s_or_b32 s14, s15, s14
	s_cmp_lg_u32 s12, 0
	s_cselect_b32 s12, s14, 0
	s_or_b32 s12, s12, s13
	v_cvt_f16_f32_e32 v3, s12
	global_store_short v[0:1], v3, off
.LBB134_506:
	s_mov_b64 s[12:13], 0
.LBB134_507:
	s_andn2_b64 vcc, exec, s[12:13]
	s_cbranch_vccnz .LBB134_523
; %bb.508:
	v_cmp_gt_i16_e32 vcc, 2, v10
	s_mov_b64 s[12:13], -1
	s_cbranch_vccnz .LBB134_518
; %bb.509:
	v_cmp_gt_i16_e32 vcc, 3, v10
	s_cbranch_vccnz .LBB134_515
; %bb.510:
	v_cmp_lt_i16_e32 vcc, 3, v10
	s_cbranch_vccz .LBB134_512
; %bb.511:
	s_lshl_b32 s12, s11, 24
	s_and_b32 s13, s12, 0x80000000
	s_and_b32 s12, s12, 0x7f000000
	s_flbit_i32_b32 s14, s12
	s_min_u32 s14, s14, 32
	v_sub_u32_e64 v3, s14, 4 clamp
	v_readfirstlane_b32 s15, v3
	s_lshl_b32 s16, s12, s15
	s_add_i32 s14, s12, 0x1000000
	s_lshr_b32 s16, s16, 4
	s_lshl_b32 s15, s15, 23
	s_ashr_i32 s14, s14, 8
	s_sub_i32 s15, s16, s15
	s_and_b32 s14, s14, 0x7f800000
	s_add_i32 s15, s15, 0x3c000000
	s_or_b32 s14, s15, s14
	s_cmp_lg_u32 s12, 0
	s_cselect_b32 s12, s14, 0
	s_or_b32 s12, s12, s13
	v_trunc_f32_e32 v3, s12
	s_mov_b32 s12, 0x2f800000
	v_mul_f32_e64 v4, |v3|, s12
	v_floor_f32_e32 v4, v4
	s_mov_b32 s12, 0xcf800000
	v_fma_f32 v5, v4, s12, |v3|
	v_cvt_u32_f32_e32 v5, v5
	v_cvt_u32_f32_e32 v4, v4
	v_ashrrev_i32_e32 v3, 31, v3
	s_mov_b64 s[12:13], 0
	v_xor_b32_e32 v5, v5, v3
	v_xor_b32_e32 v6, v4, v3
	v_sub_co_u32_e32 v4, vcc, v5, v3
	v_subb_co_u32_e32 v5, vcc, v6, v3, vcc
	global_store_dwordx2 v[0:1], v[4:5], off
.LBB134_512:
	s_andn2_b64 vcc, exec, s[12:13]
	s_cbranch_vccnz .LBB134_514
; %bb.513:
	s_lshl_b32 s12, s11, 24
	s_and_b32 s13, s12, 0x80000000
	s_and_b32 s12, s12, 0x7f000000
	s_flbit_i32_b32 s14, s12
	s_min_u32 s14, s14, 32
	v_sub_u32_e64 v3, s14, 4 clamp
	v_readfirstlane_b32 s15, v3
	s_lshl_b32 s16, s12, s15
	s_add_i32 s14, s12, 0x1000000
	s_lshr_b32 s16, s16, 4
	s_lshl_b32 s15, s15, 23
	s_ashr_i32 s14, s14, 8
	s_sub_i32 s15, s16, s15
	s_and_b32 s14, s14, 0x7f800000
	s_add_i32 s15, s15, 0x3c000000
	s_or_b32 s14, s15, s14
	s_cmp_lg_u32 s12, 0
	s_cselect_b32 s12, s14, 0
	s_or_b32 s12, s12, s13
	v_cvt_i32_f32_e32 v3, s12
	global_store_dword v[0:1], v3, off
.LBB134_514:
	s_mov_b64 s[12:13], 0
.LBB134_515:
	s_andn2_b64 vcc, exec, s[12:13]
	s_cbranch_vccnz .LBB134_517
; %bb.516:
	s_lshl_b32 s12, s11, 24
	s_and_b32 s13, s12, 0x80000000
	s_and_b32 s12, s12, 0x7f000000
	s_flbit_i32_b32 s14, s12
	s_min_u32 s14, s14, 32
	v_sub_u32_e64 v3, s14, 4 clamp
	v_readfirstlane_b32 s15, v3
	s_lshl_b32 s16, s12, s15
	s_add_i32 s14, s12, 0x1000000
	s_lshr_b32 s16, s16, 4
	s_lshl_b32 s15, s15, 23
	s_ashr_i32 s14, s14, 8
	s_sub_i32 s15, s16, s15
	s_and_b32 s14, s14, 0x7f800000
	s_add_i32 s15, s15, 0x3c000000
	s_or_b32 s14, s15, s14
	s_cmp_lg_u32 s12, 0
	s_cselect_b32 s12, s14, 0
	s_or_b32 s12, s12, s13
	v_cvt_i32_f32_e32 v3, s12
	global_store_short v[0:1], v3, off
.LBB134_517:
	s_mov_b64 s[12:13], 0
.LBB134_518:
	s_andn2_b64 vcc, exec, s[12:13]
	s_cbranch_vccnz .LBB134_523
; %bb.519:
	v_cmp_lt_i16_e32 vcc, 0, v10
	s_mov_b64 s[12:13], -1
	s_cbranch_vccz .LBB134_521
; %bb.520:
	s_lshl_b32 s12, s11, 24
	s_and_b32 s13, s12, 0x80000000
	s_and_b32 s12, s12, 0x7f000000
	s_flbit_i32_b32 s14, s12
	s_min_u32 s14, s14, 32
	v_sub_u32_e64 v3, s14, 4 clamp
	v_readfirstlane_b32 s15, v3
	s_lshl_b32 s16, s12, s15
	s_add_i32 s14, s12, 0x1000000
	s_lshr_b32 s16, s16, 4
	s_lshl_b32 s15, s15, 23
	s_ashr_i32 s14, s14, 8
	s_sub_i32 s15, s16, s15
	s_and_b32 s14, s14, 0x7f800000
	s_add_i32 s15, s15, 0x3c000000
	s_or_b32 s14, s15, s14
	s_cmp_lg_u32 s12, 0
	s_cselect_b32 s12, s14, 0
	s_or_b32 s12, s12, s13
	v_cvt_i32_f32_e32 v3, s12
	s_mov_b64 s[12:13], 0
	global_store_byte v[0:1], v3, off
.LBB134_521:
	s_andn2_b64 vcc, exec, s[12:13]
	s_cbranch_vccnz .LBB134_523
; %bb.522:
	s_lshl_b32 s12, s11, 24
	s_and_b32 s13, s12, 0x80000000
	s_and_b32 s12, s12, 0x7f000000
	s_flbit_i32_b32 s14, s12
	s_min_u32 s14, s14, 32
	v_sub_u32_e64 v3, s14, 4 clamp
	v_readfirstlane_b32 s15, v3
	s_lshl_b32 s16, s12, s15
	s_add_i32 s14, s12, 0x1000000
	s_lshr_b32 s16, s16, 4
	s_lshl_b32 s15, s15, 23
	s_ashr_i32 s14, s14, 8
	s_sub_i32 s15, s16, s15
	s_and_b32 s14, s14, 0x7f800000
	s_add_i32 s15, s15, 0x3c000000
	s_or_b32 s14, s15, s14
	s_cmp_lg_u32 s12, 0
	s_cselect_b32 s12, s14, 0
	s_or_b32 s12, s12, s13
	v_trunc_f32_e32 v3, s12
	s_mov_b32 s12, 0x2f800000
	v_mul_f32_e64 v4, |v3|, s12
	v_floor_f32_e32 v4, v4
	s_mov_b32 s12, 0xcf800000
	v_fma_f32 v4, v4, s12, |v3|
	v_cvt_u32_f32_e32 v4, v4
	v_ashrrev_i32_e32 v3, 31, v3
	v_xor_b32_e32 v4, v4, v3
	v_sub_u32_e32 v3, v4, v3
	global_store_byte v[0:1], v3, off
.LBB134_523:
.LBB134_524:
	s_lshl_b32 s10, s10, 7
	v_add_u32_e32 v2, s10, v2
	v_ashrrev_i32_e32 v1, 31, v2
	v_mov_b32_e32 v3, s9
	v_add_co_u32_e32 v0, vcc, s8, v2
	v_addc_co_u32_e32 v1, vcc, v3, v1, vcc
	s_and_b64 vcc, exec, s[0:1]
	s_cbranch_vccnz .LBB134_552
; %bb.525:
	v_cmp_lt_i16_e32 vcc, 25, v10
	s_mov_b64 s[18:19], -1
	s_mov_b64 s[14:15], 0
	s_mov_b64 s[16:17], 0
	;; [unrolled: 1-line block ×3, first 2 shown]
	s_cbranch_vccz .LBB134_563
; %bb.526:
	v_cmp_lt_i16_e32 vcc, 28, v10
	s_cbranch_vccz .LBB134_541
; %bb.527:
	v_cmp_lt_i16_e32 vcc, 43, v10
	;; [unrolled: 3-line block ×3, first 2 shown]
	s_cbranch_vccz .LBB134_531
; %bb.529:
	v_cmp_eq_u16_e32 vcc, 46, v10
	s_mov_b64 s[12:13], -1
	s_mov_b64 s[18:19], 0
	s_cbranch_vccz .LBB134_531
; %bb.530:
	s_lshl_b32 s12, s11, 24
	s_and_b32 s13, s12, 0x80000000
	s_and_b32 s12, s12, 0x7f000000
	s_flbit_i32_b32 s16, s12
	s_min_u32 s16, s16, 32
	v_sub_u32_e64 v3, s16, 4 clamp
	v_readfirstlane_b32 s17, v3
	s_lshl_b32 s20, s12, s17
	s_add_i32 s16, s12, 0x1000000
	s_lshr_b32 s20, s20, 4
	s_lshl_b32 s17, s17, 23
	s_ashr_i32 s16, s16, 8
	s_sub_i32 s17, s20, s17
	s_and_b32 s16, s16, 0x7f800000
	s_add_i32 s17, s17, 0x3c000000
	s_or_b32 s16, s17, s16
	s_cmp_lg_u32 s12, 0
	s_cselect_b32 s12, s16, 0
	s_or_b32 s13, s12, s13
	s_bfe_u32 s12, s12, 0x10010
	s_add_i32 s12, s13, s12
	s_addk_i32 s12, 0x7fff
	s_lshr_b32 s16, s12, 16
	v_cmp_o_f32_e64 s[12:13], s13, s13
	s_and_b64 s[12:13], s[12:13], exec
	s_cselect_b32 s12, s16, 0x7fc0
	v_mov_b32_e32 v3, s12
	global_store_dword v[0:1], v3, off
	s_mov_b64 s[12:13], 0
	s_mov_b64 s[16:17], -1
.LBB134_531:
	s_and_b64 vcc, exec, s[18:19]
	s_cbranch_vccz .LBB134_536
; %bb.532:
	v_cmp_eq_u16_e32 vcc, 44, v10
	s_mov_b64 s[12:13], -1
	s_cbranch_vccz .LBB134_536
; %bb.533:
	s_lshl_b32 s12, s11, 24
	s_and_b32 s12, s12, 0x7f000000
	s_flbit_i32_b32 s13, s12
	s_min_u32 s13, s13, 32
	v_sub_u32_e64 v3, s13, 4 clamp
	v_readfirstlane_b32 s16, v3
	s_lshl_b32 s17, s12, s16
	s_add_i32 s13, s12, 0x1000000
	s_lshr_b32 s17, s17, 4
	s_lshl_b32 s16, s16, 23
	s_ashr_i32 s13, s13, 8
	s_sub_i32 s16, s17, s16
	s_and_b32 s13, s13, 0x7f800000
	s_add_i32 s16, s16, 0x3c000000
	s_or_b32 s13, s16, s13
	s_cmp_lg_u32 s12, 0
	s_cselect_b32 s13, s13, 0
	s_lshr_b32 s12, s13, 23
	s_cmpk_eq_i32 s12, 0xff
	v_mov_b32_e32 v3, 0xff
	s_cbranch_scc1 .LBB134_535
; %bb.534:
	s_bitcmp1_b32 s13, 22
	s_cselect_b64 s[16:17], -1, 0
	s_and_b32 s13, s13, 0x3fffff
	s_or_b32 s13, s12, s13
	s_cmp_lg_u32 s13, 0
	s_cselect_b64 s[18:19], -1, 0
	s_and_b64 s[16:17], s[16:17], s[18:19]
	v_cndmask_b32_e64 v3, 0, 1, s[16:17]
	v_add_u32_e32 v3, s12, v3
.LBB134_535:
	s_mov_b64 s[12:13], 0
	s_mov_b64 s[16:17], -1
	global_store_byte v[0:1], v3, off
.LBB134_536:
	s_mov_b64 s[18:19], 0
.LBB134_537:
	s_and_b64 vcc, exec, s[18:19]
	s_cbranch_vccz .LBB134_540
; %bb.538:
	v_cmp_eq_u16_e32 vcc, 29, v10
	s_mov_b64 s[12:13], -1
	s_cbranch_vccz .LBB134_540
; %bb.539:
	s_lshl_b32 s12, s11, 24
	s_and_b32 s13, s12, 0x80000000
	s_and_b32 s12, s12, 0x7f000000
	s_flbit_i32_b32 s16, s12
	s_min_u32 s16, s16, 32
	v_sub_u32_e64 v3, s16, 4 clamp
	v_readfirstlane_b32 s17, v3
	s_lshl_b32 s18, s12, s17
	s_add_i32 s16, s12, 0x1000000
	s_lshr_b32 s18, s18, 4
	s_lshl_b32 s17, s17, 23
	s_ashr_i32 s16, s16, 8
	s_sub_i32 s17, s18, s17
	s_and_b32 s16, s16, 0x7f800000
	s_add_i32 s17, s17, 0x3c000000
	s_or_b32 s16, s17, s16
	s_cmp_lg_u32 s12, 0
	s_cselect_b32 s12, s16, 0
	s_or_b32 s12, s12, s13
	v_trunc_f32_e32 v3, s12
	v_mul_f32_e32 v4, 0x2f800000, v3
	v_floor_f32_e32 v5, v4
	v_fmac_f32_e32 v3, 0xcf800000, v5
	v_cvt_u32_f32_e32 v4, v3
	v_cvt_u32_f32_e32 v5, v5
	s_mov_b64 s[12:13], 0
	s_mov_b64 s[16:17], -1
	global_store_dwordx2 v[0:1], v[4:5], off
.LBB134_540:
	s_mov_b64 s[18:19], 0
.LBB134_541:
	s_and_b64 vcc, exec, s[18:19]
	s_cbranch_vccz .LBB134_562
; %bb.542:
	v_cmp_gt_i16_e32 vcc, 27, v10
	s_mov_b64 s[16:17], -1
	s_cbranch_vccnz .LBB134_548
; %bb.543:
	v_cmp_lt_i16_e32 vcc, 27, v10
	s_cbranch_vccz .LBB134_545
; %bb.544:
	s_lshl_b32 s16, s11, 24
	s_and_b32 s17, s16, 0x80000000
	s_and_b32 s16, s16, 0x7f000000
	s_flbit_i32_b32 s18, s16
	s_min_u32 s18, s18, 32
	v_sub_u32_e64 v3, s18, 4 clamp
	v_readfirstlane_b32 s19, v3
	s_lshl_b32 s20, s16, s19
	s_add_i32 s18, s16, 0x1000000
	s_lshr_b32 s20, s20, 4
	s_lshl_b32 s19, s19, 23
	s_ashr_i32 s18, s18, 8
	s_sub_i32 s19, s20, s19
	s_and_b32 s18, s18, 0x7f800000
	s_add_i32 s19, s19, 0x3c000000
	s_or_b32 s18, s19, s18
	s_cmp_lg_u32 s16, 0
	s_cselect_b32 s16, s18, 0
	s_or_b32 s16, s16, s17
	v_cvt_u32_f32_e32 v3, s16
	s_mov_b64 s[16:17], 0
	global_store_dword v[0:1], v3, off
.LBB134_545:
	s_andn2_b64 vcc, exec, s[16:17]
	s_cbranch_vccnz .LBB134_547
; %bb.546:
	s_lshl_b32 s16, s11, 24
	s_and_b32 s17, s16, 0x80000000
	s_and_b32 s16, s16, 0x7f000000
	s_flbit_i32_b32 s18, s16
	s_min_u32 s18, s18, 32
	v_sub_u32_e64 v3, s18, 4 clamp
	v_readfirstlane_b32 s19, v3
	s_lshl_b32 s20, s16, s19
	s_add_i32 s18, s16, 0x1000000
	s_lshr_b32 s20, s20, 4
	s_lshl_b32 s19, s19, 23
	s_ashr_i32 s18, s18, 8
	s_sub_i32 s19, s20, s19
	s_and_b32 s18, s18, 0x7f800000
	s_add_i32 s19, s19, 0x3c000000
	s_or_b32 s18, s19, s18
	s_cmp_lg_u32 s16, 0
	s_cselect_b32 s16, s18, 0
	s_or_b32 s16, s16, s17
	v_cvt_u32_f32_e32 v3, s16
	global_store_short v[0:1], v3, off
.LBB134_547:
	s_mov_b64 s[16:17], 0
.LBB134_548:
	s_andn2_b64 vcc, exec, s[16:17]
	s_cbranch_vccnz .LBB134_561
; %bb.549:
	s_lshl_b32 s16, s11, 24
	s_and_b32 s17, s16, 0x80000000
	s_and_b32 s16, s16, 0x7f000000
	s_flbit_i32_b32 s18, s16
	s_min_u32 s18, s18, 32
	v_sub_u32_e64 v3, s18, 4 clamp
	v_readfirstlane_b32 s19, v3
	s_lshl_b32 s20, s16, s19
	s_add_i32 s18, s16, 0x1000000
	s_lshr_b32 s20, s20, 4
	s_lshl_b32 s19, s19, 23
	s_ashr_i32 s18, s18, 8
	s_sub_i32 s19, s20, s19
	s_and_b32 s18, s18, 0x7f800000
	s_add_i32 s19, s19, 0x3c000000
	s_or_b32 s18, s19, s18
	s_cmp_lg_u32 s16, 0
	s_cselect_b32 s16, s18, 0
	s_or_b32 s20, s16, s17
	s_and_b32 s17, s20, 0x7fffffff
	s_cmp_gt_u32 s17, 0x437fffff
	v_mov_b32_e32 v4, 0x80
	s_cbranch_scc1 .LBB134_560
; %bb.550:
	s_cmp_gt_u32 s17, 0x3bffffff
	s_cbranch_scc0 .LBB134_555
; %bb.551:
	s_bfe_u32 s16, s16, 0x10014
	s_add_i32 s16, s20, s16
	s_add_i32 s16, s16, 0x487ffff
	s_lshr_b32 s21, s16, 20
	s_mov_b64 s[18:19], 0
	s_mov_b64 s[16:17], -1
	s_branch .LBB134_556
.LBB134_552:
	s_mov_b64 s[16:17], 0
	s_cbranch_execnz .LBB134_603
.LBB134_553:
	s_andn2_b64 vcc, exec, s[16:17]
	s_cbranch_vccz .LBB134_641
	s_branch .LBB134_802
.LBB134_554:
	s_or_b64 s[6:7], s[2:3], exec
	s_trap 2
	s_cbranch_execz .LBB134_484
	s_branch .LBB134_485
.LBB134_555:
	s_mov_b64 s[18:19], -1
	s_mov_b64 s[16:17], 0
                                        ; implicit-def: $sgpr21
.LBB134_556:
	s_andn2_b64 vcc, exec, s[18:19]
	v_mov_b32_e32 v3, s21
                                        ; implicit-def: $sgpr18
	s_cbranch_vccnz .LBB134_558
; %bb.557:
	v_mov_b32_e32 v3, 0x46000000
	v_add_f32_e64 v3, |s20|, v3
	v_and_b32_e32 v3, 0xff, v3
	s_mov_b32 s18, 0
	v_cmp_ne_u32_e64 s[16:17], 0, v3
.LBB134_558:
	s_andn2_b64 vcc, exec, s[16:17]
	v_mov_b32_e32 v4, s18
	s_cbranch_vccnz .LBB134_560
; %bb.559:
	s_lshr_b32 s16, s20, 24
	s_and_b32 s16, s16, 0x80
	v_or_b32_e32 v4, s16, v3
.LBB134_560:
	global_store_byte v[0:1], v4, off
.LBB134_561:
	s_mov_b64 s[16:17], -1
.LBB134_562:
	s_mov_b64 s[18:19], 0
.LBB134_563:
	s_and_b64 vcc, exec, s[18:19]
	s_cbranch_vccz .LBB134_599
; %bb.564:
	v_cmp_lt_i16_e32 vcc, 22, v10
	s_mov_b64 s[14:15], -1
	s_cbranch_vccz .LBB134_592
; %bb.565:
	v_cmp_gt_i16_e32 vcc, 24, v10
	s_cbranch_vccnz .LBB134_579
; %bb.566:
	v_cmp_lt_i16_e32 vcc, 24, v10
	s_cbranch_vccz .LBB134_576
; %bb.567:
	s_lshl_b32 s14, s11, 24
	s_and_b32 s15, s14, 0x80000000
	s_and_b32 s14, s14, 0x7f000000
	s_flbit_i32_b32 s16, s14
	s_min_u32 s16, s16, 32
	v_sub_u32_e64 v3, s16, 4 clamp
	v_readfirstlane_b32 s17, v3
	s_lshl_b32 s18, s14, s17
	s_add_i32 s16, s14, 0x1000000
	s_lshr_b32 s18, s18, 4
	s_lshl_b32 s17, s17, 23
	s_ashr_i32 s16, s16, 8
	s_sub_i32 s17, s18, s17
	s_and_b32 s16, s16, 0x7f800000
	s_add_i32 s17, s17, 0x3c000000
	s_or_b32 s16, s17, s16
	s_cmp_lg_u32 s14, 0
	s_cselect_b32 s14, s16, 0
	s_or_b32 s18, s14, s15
	s_and_b32 s15, s18, 0x7fffffff
	s_cmp_gt_u32 s15, 0x477fffff
	v_mov_b32_e32 v4, 0x80
	s_cbranch_scc1 .LBB134_575
; %bb.568:
	s_cmp_gt_u32 s15, 0x37ffffff
	s_cbranch_scc0 .LBB134_570
; %bb.569:
	s_bfe_u32 s14, s14, 0x10015
	s_add_i32 s14, s18, s14
	s_add_i32 s14, s14, 0x88fffff
	s_lshr_b32 s19, s14, 21
	s_mov_b64 s[16:17], 0
	s_mov_b64 s[14:15], -1
	s_branch .LBB134_571
.LBB134_570:
	s_mov_b64 s[16:17], -1
	s_mov_b64 s[14:15], 0
                                        ; implicit-def: $sgpr19
.LBB134_571:
	s_andn2_b64 vcc, exec, s[16:17]
	v_mov_b32_e32 v3, s19
                                        ; implicit-def: $sgpr16
	s_cbranch_vccnz .LBB134_573
; %bb.572:
	v_mov_b32_e32 v3, 0x42800000
	v_add_f32_e64 v3, |s18|, v3
	v_and_b32_e32 v3, 0xff, v3
	s_mov_b32 s16, 0
	v_cmp_ne_u32_e64 s[14:15], 0, v3
.LBB134_573:
	s_andn2_b64 vcc, exec, s[14:15]
	v_mov_b32_e32 v4, s16
	s_cbranch_vccnz .LBB134_575
; %bb.574:
	s_lshr_b32 s14, s18, 24
	s_and_b32 s14, s14, 0x80
	v_or_b32_e32 v4, s14, v3
.LBB134_575:
	s_mov_b64 s[14:15], 0
	global_store_byte v[0:1], v4, off
.LBB134_576:
	s_and_b64 vcc, exec, s[14:15]
	s_cbranch_vccz .LBB134_578
; %bb.577:
	v_mov_b32_e32 v3, s11
	global_store_byte v[0:1], v3, off
.LBB134_578:
	s_mov_b64 s[14:15], 0
.LBB134_579:
	s_andn2_b64 vcc, exec, s[14:15]
	s_cbranch_vccnz .LBB134_591
; %bb.580:
	s_lshl_b32 s14, s11, 24
	s_and_b32 s15, s14, 0x80000000
	s_and_b32 s14, s14, 0x7f000000
	s_flbit_i32_b32 s16, s14
	s_min_u32 s16, s16, 32
	v_sub_u32_e64 v3, s16, 4 clamp
	v_readfirstlane_b32 s17, v3
	s_lshl_b32 s18, s14, s17
	s_add_i32 s16, s14, 0x1000000
	s_lshr_b32 s18, s18, 4
	s_lshl_b32 s17, s17, 23
	s_ashr_i32 s16, s16, 8
	s_sub_i32 s17, s18, s17
	s_and_b32 s16, s16, 0x7f800000
	s_add_i32 s17, s17, 0x3c000000
	s_or_b32 s16, s17, s16
	s_cmp_lg_u32 s14, 0
	s_cselect_b32 s14, s16, 0
	s_or_b32 s16, s14, s15
	s_and_b32 s17, s16, 0x7fffffff
	s_cmp_lt_u32 s17, 0x47800000
	s_cbranch_scc0 .LBB134_583
; %bb.581:
	s_cmp_gt_u32 s17, 0x387fffff
	s_cbranch_scc0 .LBB134_584
; %bb.582:
	s_bfe_u32 s14, s14, 0x10015
	s_add_i32 s14, s16, s14
	s_add_i32 s14, s14, 0x80fffff
	s_lshr_b32 s18, s14, 21
	s_mov_b64 s[14:15], 0
	s_branch .LBB134_585
.LBB134_583:
	s_mov_b64 s[14:15], -1
                                        ; implicit-def: $vgpr3
	s_branch .LBB134_588
.LBB134_584:
	s_mov_b64 s[14:15], -1
                                        ; implicit-def: $sgpr18
.LBB134_585:
	s_andn2_b64 vcc, exec, s[14:15]
	v_mov_b32_e32 v3, s18
	s_cbranch_vccnz .LBB134_587
; %bb.586:
	v_mov_b32_e32 v3, 0x43000000
	v_add_f32_e64 v3, |s16|, v3
.LBB134_587:
	s_mov_b64 s[14:15], 0
.LBB134_588:
	s_andn2_b64 vcc, exec, s[14:15]
	s_cbranch_vccnz .LBB134_590
; %bb.589:
	s_cmp_gt_u32 s17, 0x7f800000
	s_movk_i32 s14, 0x7f
	s_cselect_b32 s14, s14, 0x7c
	v_mov_b32_e32 v3, s14
.LBB134_590:
	s_lshr_b32 s14, s16, 24
	s_and_b32 s14, s14, 0x80
	v_or_b32_e32 v3, s14, v3
	global_store_byte v[0:1], v3, off
.LBB134_591:
	s_mov_b64 s[14:15], 0
	s_mov_b64 s[16:17], -1
.LBB134_592:
	s_andn2_b64 vcc, exec, s[14:15]
	s_mov_b64 s[14:15], 0
	s_cbranch_vccnz .LBB134_599
; %bb.593:
	v_cmp_lt_i16_e32 vcc, 14, v10
	s_mov_b64 s[18:19], -1
	s_cbranch_vccz .LBB134_597
; %bb.594:
	v_cmp_eq_u16_e32 vcc, 15, v10
	s_mov_b64 s[12:13], -1
	s_cbranch_vccz .LBB134_596
; %bb.595:
	s_lshl_b32 s12, s11, 24
	s_and_b32 s13, s12, 0x80000000
	s_and_b32 s12, s12, 0x7f000000
	s_flbit_i32_b32 s14, s12
	s_min_u32 s14, s14, 32
	v_sub_u32_e64 v3, s14, 4 clamp
	v_readfirstlane_b32 s15, v3
	s_lshl_b32 s16, s12, s15
	s_add_i32 s14, s12, 0x1000000
	s_lshr_b32 s16, s16, 4
	s_lshl_b32 s15, s15, 23
	s_ashr_i32 s14, s14, 8
	s_sub_i32 s15, s16, s15
	s_and_b32 s14, s14, 0x7f800000
	s_add_i32 s15, s15, 0x3c000000
	s_or_b32 s14, s15, s14
	s_cmp_lg_u32 s12, 0
	s_cselect_b32 s12, s14, 0
	s_or_b32 s13, s12, s13
	s_bfe_u32 s12, s12, 0x10010
	s_add_i32 s12, s13, s12
	s_addk_i32 s12, 0x7fff
	s_lshr_b32 s14, s12, 16
	v_cmp_o_f32_e64 s[12:13], s13, s13
	s_and_b64 s[12:13], s[12:13], exec
	s_cselect_b32 s12, s14, 0x7fc0
	v_mov_b32_e32 v3, s12
	global_store_short v[0:1], v3, off
	s_mov_b64 s[12:13], 0
	s_mov_b64 s[16:17], -1
.LBB134_596:
	s_mov_b64 s[18:19], 0
.LBB134_597:
	s_mov_b64 s[14:15], 0
	s_and_b64 vcc, exec, s[18:19]
	s_cbranch_vccz .LBB134_599
; %bb.598:
	v_cmp_ne_u16_e64 s[12:13], 11, v10
	s_mov_b64 s[14:15], -1
.LBB134_599:
	s_and_b64 vcc, exec, s[12:13]
	s_cbranch_vccnz .LBB134_701
; %bb.600:
	s_andn2_b64 vcc, exec, s[14:15]
	s_cbranch_vccnz .LBB134_602
.LBB134_601:
	s_lshl_b32 s12, s11, 24
	s_and_b32 s12, s12, 0x7f000000
	s_flbit_i32_b32 s13, s12
	s_min_u32 s13, s13, 32
	v_sub_u32_e64 v3, s13, 4 clamp
	s_add_i32 s13, s12, 0x1000000
	s_ashr_i32 s13, s13, 8
	s_and_b32 s14, s13, 0x7f800000
	v_readfirstlane_b32 s13, v3
	s_lshl_b32 s15, s12, s13
	s_lshr_b32 s15, s15, 4
	s_lshl_b32 s13, s13, 23
	s_sub_i32 s13, s15, s13
	s_add_i32 s15, s13, 0x3c000000
	s_cmp_lg_u32 s12, 0
	s_cselect_b64 s[12:13], -1, 0
	s_and_b32 s15, s15, 0x7ff00000
	s_or_b32 s14, s15, s14
	s_cmp_lg_u32 s14, 0
	s_cselect_b64 s[14:15], -1, 0
	s_and_b64 s[12:13], s[12:13], s[14:15]
	v_cndmask_b32_e64 v3, 0, 1, s[12:13]
	s_mov_b64 s[16:17], -1
	global_store_byte v[0:1], v3, off
.LBB134_602:
	s_branch .LBB134_553
.LBB134_603:
	v_cmp_gt_i16_e32 vcc, 5, v10
	s_mov_b64 s[12:13], -1
	s_cbranch_vccnz .LBB134_624
; %bb.604:
	v_cmp_gt_i16_e32 vcc, 8, v10
	s_cbranch_vccnz .LBB134_614
; %bb.605:
	v_cmp_gt_i16_e32 vcc, 9, v10
	s_cbranch_vccnz .LBB134_611
; %bb.606:
	v_cmp_lt_i16_e32 vcc, 9, v10
	s_cbranch_vccz .LBB134_608
; %bb.607:
	s_lshl_b32 s12, s11, 24
	s_and_b32 s13, s12, 0x80000000
	s_and_b32 s12, s12, 0x7f000000
	s_flbit_i32_b32 s14, s12
	s_min_u32 s14, s14, 32
	v_sub_u32_e64 v3, s14, 4 clamp
	v_readfirstlane_b32 s15, v3
	s_lshl_b32 s16, s12, s15
	s_add_i32 s14, s12, 0x1000000
	s_lshr_b32 s16, s16, 4
	s_lshl_b32 s15, s15, 23
	s_ashr_i32 s14, s14, 8
	s_sub_i32 s15, s16, s15
	s_and_b32 s14, s14, 0x7f800000
	s_add_i32 s15, s15, 0x3c000000
	s_or_b32 s14, s15, s14
	s_cmp_lg_u32 s12, 0
	s_cselect_b32 s12, s14, 0
	s_or_b32 s12, s12, s13
	v_mov_b32_e32 v6, 0
	v_cvt_f64_f32_e32 v[4:5], s12
	v_mov_b32_e32 v7, v6
	global_store_dwordx4 v[0:1], v[4:7], off
	s_mov_b64 s[12:13], 0
.LBB134_608:
	s_andn2_b64 vcc, exec, s[12:13]
	s_cbranch_vccnz .LBB134_610
; %bb.609:
	s_lshl_b32 s12, s11, 24
	s_and_b32 s13, s12, 0x80000000
	s_and_b32 s12, s12, 0x7f000000
	s_flbit_i32_b32 s14, s12
	s_min_u32 s14, s14, 32
	v_sub_u32_e64 v3, s14, 4 clamp
	v_readfirstlane_b32 s15, v3
	s_lshl_b32 s16, s12, s15
	s_add_i32 s14, s12, 0x1000000
	s_lshr_b32 s16, s16, 4
	s_lshl_b32 s15, s15, 23
	s_ashr_i32 s14, s14, 8
	s_sub_i32 s15, s16, s15
	s_and_b32 s14, s14, 0x7f800000
	s_add_i32 s15, s15, 0x3c000000
	s_or_b32 s14, s15, s14
	s_cmp_lg_u32 s12, 0
	s_cselect_b32 s12, s14, 0
	s_or_b32 s12, s12, s13
	v_mov_b32_e32 v4, s12
	v_mov_b32_e32 v5, 0
	global_store_dwordx2 v[0:1], v[4:5], off
.LBB134_610:
	s_mov_b64 s[12:13], 0
.LBB134_611:
	s_andn2_b64 vcc, exec, s[12:13]
	s_cbranch_vccnz .LBB134_613
; %bb.612:
	s_lshl_b32 s12, s11, 24
	s_and_b32 s13, s12, 0x80000000
	s_and_b32 s12, s12, 0x7f000000
	s_flbit_i32_b32 s14, s12
	s_min_u32 s14, s14, 32
	v_sub_u32_e64 v3, s14, 4 clamp
	v_readfirstlane_b32 s15, v3
	s_lshl_b32 s16, s12, s15
	s_add_i32 s14, s12, 0x1000000
	s_lshr_b32 s16, s16, 4
	s_lshl_b32 s15, s15, 23
	s_ashr_i32 s14, s14, 8
	s_sub_i32 s15, s16, s15
	s_and_b32 s14, s14, 0x7f800000
	s_add_i32 s15, s15, 0x3c000000
	s_or_b32 s14, s15, s14
	s_cmp_lg_u32 s12, 0
	s_cselect_b32 s12, s14, 0
	s_or_b32 s12, s12, s13
	v_cvt_f16_f32_e32 v3, s12
	global_store_dword v[0:1], v3, off
.LBB134_613:
	s_mov_b64 s[12:13], 0
.LBB134_614:
	s_andn2_b64 vcc, exec, s[12:13]
	s_cbranch_vccnz .LBB134_623
; %bb.615:
	v_cmp_gt_i16_e32 vcc, 6, v10
	s_mov_b64 s[12:13], -1
	s_cbranch_vccnz .LBB134_621
; %bb.616:
	v_cmp_lt_i16_e32 vcc, 6, v10
	s_cbranch_vccz .LBB134_618
; %bb.617:
	s_lshl_b32 s12, s11, 24
	s_and_b32 s13, s12, 0x80000000
	s_and_b32 s12, s12, 0x7f000000
	s_flbit_i32_b32 s14, s12
	s_min_u32 s14, s14, 32
	v_sub_u32_e64 v3, s14, 4 clamp
	v_readfirstlane_b32 s15, v3
	s_lshl_b32 s16, s12, s15
	s_add_i32 s14, s12, 0x1000000
	s_lshr_b32 s16, s16, 4
	s_lshl_b32 s15, s15, 23
	s_ashr_i32 s14, s14, 8
	s_sub_i32 s15, s16, s15
	s_and_b32 s14, s14, 0x7f800000
	s_add_i32 s15, s15, 0x3c000000
	s_or_b32 s14, s15, s14
	s_cmp_lg_u32 s12, 0
	s_cselect_b32 s12, s14, 0
	s_or_b32 s12, s12, s13
	v_cvt_f64_f32_e32 v[4:5], s12
	global_store_dwordx2 v[0:1], v[4:5], off
	s_mov_b64 s[12:13], 0
.LBB134_618:
	s_andn2_b64 vcc, exec, s[12:13]
	s_cbranch_vccnz .LBB134_620
; %bb.619:
	s_lshl_b32 s12, s11, 24
	s_and_b32 s13, s12, 0x80000000
	s_and_b32 s12, s12, 0x7f000000
	s_flbit_i32_b32 s14, s12
	s_min_u32 s14, s14, 32
	v_sub_u32_e64 v3, s14, 4 clamp
	v_readfirstlane_b32 s15, v3
	s_lshl_b32 s16, s12, s15
	s_add_i32 s14, s12, 0x1000000
	s_lshr_b32 s16, s16, 4
	s_lshl_b32 s15, s15, 23
	s_ashr_i32 s14, s14, 8
	s_sub_i32 s15, s16, s15
	s_and_b32 s14, s14, 0x7f800000
	s_add_i32 s15, s15, 0x3c000000
	s_or_b32 s14, s15, s14
	s_cmp_lg_u32 s12, 0
	s_cselect_b32 s12, s14, 0
	s_or_b32 s12, s12, s13
	v_mov_b32_e32 v3, s12
	global_store_dword v[0:1], v3, off
.LBB134_620:
	s_mov_b64 s[12:13], 0
.LBB134_621:
	s_andn2_b64 vcc, exec, s[12:13]
	s_cbranch_vccnz .LBB134_623
; %bb.622:
	s_lshl_b32 s12, s11, 24
	s_and_b32 s13, s12, 0x80000000
	s_and_b32 s12, s12, 0x7f000000
	s_flbit_i32_b32 s14, s12
	s_min_u32 s14, s14, 32
	v_sub_u32_e64 v3, s14, 4 clamp
	v_readfirstlane_b32 s15, v3
	s_lshl_b32 s16, s12, s15
	s_add_i32 s14, s12, 0x1000000
	s_lshr_b32 s16, s16, 4
	s_lshl_b32 s15, s15, 23
	s_ashr_i32 s14, s14, 8
	s_sub_i32 s15, s16, s15
	s_and_b32 s14, s14, 0x7f800000
	s_add_i32 s15, s15, 0x3c000000
	s_or_b32 s14, s15, s14
	s_cmp_lg_u32 s12, 0
	s_cselect_b32 s12, s14, 0
	s_or_b32 s12, s12, s13
	v_cvt_f16_f32_e32 v3, s12
	global_store_short v[0:1], v3, off
.LBB134_623:
	s_mov_b64 s[12:13], 0
.LBB134_624:
	s_andn2_b64 vcc, exec, s[12:13]
	s_cbranch_vccnz .LBB134_640
; %bb.625:
	v_cmp_gt_i16_e32 vcc, 2, v10
	s_mov_b64 s[12:13], -1
	s_cbranch_vccnz .LBB134_635
; %bb.626:
	v_cmp_gt_i16_e32 vcc, 3, v10
	s_cbranch_vccnz .LBB134_632
; %bb.627:
	v_cmp_lt_i16_e32 vcc, 3, v10
	s_cbranch_vccz .LBB134_629
; %bb.628:
	s_lshl_b32 s12, s11, 24
	s_and_b32 s13, s12, 0x80000000
	s_and_b32 s12, s12, 0x7f000000
	s_flbit_i32_b32 s14, s12
	s_min_u32 s14, s14, 32
	v_sub_u32_e64 v3, s14, 4 clamp
	v_readfirstlane_b32 s15, v3
	s_lshl_b32 s16, s12, s15
	s_add_i32 s14, s12, 0x1000000
	s_lshr_b32 s16, s16, 4
	s_lshl_b32 s15, s15, 23
	s_ashr_i32 s14, s14, 8
	s_sub_i32 s15, s16, s15
	s_and_b32 s14, s14, 0x7f800000
	s_add_i32 s15, s15, 0x3c000000
	s_or_b32 s14, s15, s14
	s_cmp_lg_u32 s12, 0
	s_cselect_b32 s12, s14, 0
	s_or_b32 s12, s12, s13
	v_trunc_f32_e32 v3, s12
	s_mov_b32 s12, 0x2f800000
	v_mul_f32_e64 v4, |v3|, s12
	v_floor_f32_e32 v4, v4
	s_mov_b32 s12, 0xcf800000
	v_fma_f32 v5, v4, s12, |v3|
	v_cvt_u32_f32_e32 v5, v5
	v_cvt_u32_f32_e32 v4, v4
	v_ashrrev_i32_e32 v3, 31, v3
	s_mov_b64 s[12:13], 0
	v_xor_b32_e32 v5, v5, v3
	v_xor_b32_e32 v6, v4, v3
	v_sub_co_u32_e32 v4, vcc, v5, v3
	v_subb_co_u32_e32 v5, vcc, v6, v3, vcc
	global_store_dwordx2 v[0:1], v[4:5], off
.LBB134_629:
	s_andn2_b64 vcc, exec, s[12:13]
	s_cbranch_vccnz .LBB134_631
; %bb.630:
	s_lshl_b32 s12, s11, 24
	s_and_b32 s13, s12, 0x80000000
	s_and_b32 s12, s12, 0x7f000000
	s_flbit_i32_b32 s14, s12
	s_min_u32 s14, s14, 32
	v_sub_u32_e64 v3, s14, 4 clamp
	v_readfirstlane_b32 s15, v3
	s_lshl_b32 s16, s12, s15
	s_add_i32 s14, s12, 0x1000000
	s_lshr_b32 s16, s16, 4
	s_lshl_b32 s15, s15, 23
	s_ashr_i32 s14, s14, 8
	s_sub_i32 s15, s16, s15
	s_and_b32 s14, s14, 0x7f800000
	s_add_i32 s15, s15, 0x3c000000
	s_or_b32 s14, s15, s14
	s_cmp_lg_u32 s12, 0
	s_cselect_b32 s12, s14, 0
	s_or_b32 s12, s12, s13
	v_cvt_i32_f32_e32 v3, s12
	global_store_dword v[0:1], v3, off
.LBB134_631:
	s_mov_b64 s[12:13], 0
.LBB134_632:
	s_andn2_b64 vcc, exec, s[12:13]
	s_cbranch_vccnz .LBB134_634
; %bb.633:
	s_lshl_b32 s12, s11, 24
	s_and_b32 s13, s12, 0x80000000
	s_and_b32 s12, s12, 0x7f000000
	s_flbit_i32_b32 s14, s12
	s_min_u32 s14, s14, 32
	v_sub_u32_e64 v3, s14, 4 clamp
	v_readfirstlane_b32 s15, v3
	s_lshl_b32 s16, s12, s15
	s_add_i32 s14, s12, 0x1000000
	s_lshr_b32 s16, s16, 4
	s_lshl_b32 s15, s15, 23
	s_ashr_i32 s14, s14, 8
	s_sub_i32 s15, s16, s15
	s_and_b32 s14, s14, 0x7f800000
	s_add_i32 s15, s15, 0x3c000000
	s_or_b32 s14, s15, s14
	s_cmp_lg_u32 s12, 0
	s_cselect_b32 s12, s14, 0
	s_or_b32 s12, s12, s13
	v_cvt_i32_f32_e32 v3, s12
	global_store_short v[0:1], v3, off
.LBB134_634:
	s_mov_b64 s[12:13], 0
.LBB134_635:
	s_andn2_b64 vcc, exec, s[12:13]
	s_cbranch_vccnz .LBB134_640
; %bb.636:
	v_cmp_lt_i16_e32 vcc, 0, v10
	s_mov_b64 s[12:13], -1
	s_cbranch_vccz .LBB134_638
; %bb.637:
	s_lshl_b32 s12, s11, 24
	s_and_b32 s13, s12, 0x80000000
	s_and_b32 s12, s12, 0x7f000000
	s_flbit_i32_b32 s14, s12
	s_min_u32 s14, s14, 32
	v_sub_u32_e64 v3, s14, 4 clamp
	v_readfirstlane_b32 s15, v3
	s_lshl_b32 s16, s12, s15
	s_add_i32 s14, s12, 0x1000000
	s_lshr_b32 s16, s16, 4
	s_lshl_b32 s15, s15, 23
	s_ashr_i32 s14, s14, 8
	s_sub_i32 s15, s16, s15
	s_and_b32 s14, s14, 0x7f800000
	s_add_i32 s15, s15, 0x3c000000
	s_or_b32 s14, s15, s14
	s_cmp_lg_u32 s12, 0
	s_cselect_b32 s12, s14, 0
	s_or_b32 s12, s12, s13
	v_cvt_i32_f32_e32 v3, s12
	s_mov_b64 s[12:13], 0
	global_store_byte v[0:1], v3, off
.LBB134_638:
	s_andn2_b64 vcc, exec, s[12:13]
	s_cbranch_vccnz .LBB134_640
; %bb.639:
	s_lshl_b32 s12, s11, 24
	s_and_b32 s13, s12, 0x80000000
	s_and_b32 s12, s12, 0x7f000000
	s_flbit_i32_b32 s14, s12
	s_min_u32 s14, s14, 32
	v_sub_u32_e64 v3, s14, 4 clamp
	v_readfirstlane_b32 s15, v3
	s_lshl_b32 s16, s12, s15
	s_add_i32 s14, s12, 0x1000000
	s_lshr_b32 s16, s16, 4
	s_lshl_b32 s15, s15, 23
	s_ashr_i32 s14, s14, 8
	s_sub_i32 s15, s16, s15
	s_and_b32 s14, s14, 0x7f800000
	s_add_i32 s15, s15, 0x3c000000
	s_or_b32 s14, s15, s14
	s_cmp_lg_u32 s12, 0
	s_cselect_b32 s12, s14, 0
	s_or_b32 s12, s12, s13
	v_trunc_f32_e32 v3, s12
	s_mov_b32 s12, 0x2f800000
	v_mul_f32_e64 v4, |v3|, s12
	v_floor_f32_e32 v4, v4
	s_mov_b32 s12, 0xcf800000
	v_fma_f32 v4, v4, s12, |v3|
	v_cvt_u32_f32_e32 v4, v4
	v_ashrrev_i32_e32 v3, 31, v3
	v_xor_b32_e32 v4, v4, v3
	v_sub_u32_e32 v3, v4, v3
	global_store_byte v[0:1], v3, off
.LBB134_640:
.LBB134_641:
	v_add_u32_e32 v2, s10, v2
	v_ashrrev_i32_e32 v1, 31, v2
	v_mov_b32_e32 v3, s9
	v_add_co_u32_e32 v0, vcc, s8, v2
	v_addc_co_u32_e32 v1, vcc, v3, v1, vcc
	s_and_b64 vcc, exec, s[0:1]
	s_cbranch_vccnz .LBB134_669
; %bb.642:
	v_cmp_lt_i16_e32 vcc, 25, v10
	s_mov_b64 s[18:19], -1
	s_mov_b64 s[14:15], 0
	s_mov_b64 s[16:17], 0
	;; [unrolled: 1-line block ×3, first 2 shown]
	s_cbranch_vccz .LBB134_710
; %bb.643:
	v_cmp_lt_i16_e32 vcc, 28, v10
	s_cbranch_vccz .LBB134_658
; %bb.644:
	v_cmp_lt_i16_e32 vcc, 43, v10
	;; [unrolled: 3-line block ×3, first 2 shown]
	s_cbranch_vccz .LBB134_648
; %bb.646:
	v_cmp_eq_u16_e32 vcc, 46, v10
	s_mov_b64 s[12:13], -1
	s_mov_b64 s[18:19], 0
	s_cbranch_vccz .LBB134_648
; %bb.647:
	s_lshl_b32 s12, s11, 24
	s_and_b32 s13, s12, 0x80000000
	s_and_b32 s12, s12, 0x7f000000
	s_flbit_i32_b32 s16, s12
	s_min_u32 s16, s16, 32
	v_sub_u32_e64 v3, s16, 4 clamp
	v_readfirstlane_b32 s17, v3
	s_lshl_b32 s20, s12, s17
	s_add_i32 s16, s12, 0x1000000
	s_lshr_b32 s20, s20, 4
	s_lshl_b32 s17, s17, 23
	s_ashr_i32 s16, s16, 8
	s_sub_i32 s17, s20, s17
	s_and_b32 s16, s16, 0x7f800000
	s_add_i32 s17, s17, 0x3c000000
	s_or_b32 s16, s17, s16
	s_cmp_lg_u32 s12, 0
	s_cselect_b32 s12, s16, 0
	s_or_b32 s13, s12, s13
	s_bfe_u32 s12, s12, 0x10010
	s_add_i32 s12, s13, s12
	s_addk_i32 s12, 0x7fff
	s_lshr_b32 s16, s12, 16
	v_cmp_o_f32_e64 s[12:13], s13, s13
	s_and_b64 s[12:13], s[12:13], exec
	s_cselect_b32 s12, s16, 0x7fc0
	v_mov_b32_e32 v3, s12
	global_store_dword v[0:1], v3, off
	s_mov_b64 s[12:13], 0
	s_mov_b64 s[16:17], -1
.LBB134_648:
	s_and_b64 vcc, exec, s[18:19]
	s_cbranch_vccz .LBB134_653
; %bb.649:
	v_cmp_eq_u16_e32 vcc, 44, v10
	s_mov_b64 s[12:13], -1
	s_cbranch_vccz .LBB134_653
; %bb.650:
	s_lshl_b32 s12, s11, 24
	s_and_b32 s12, s12, 0x7f000000
	s_flbit_i32_b32 s13, s12
	s_min_u32 s13, s13, 32
	v_sub_u32_e64 v3, s13, 4 clamp
	v_readfirstlane_b32 s16, v3
	s_lshl_b32 s17, s12, s16
	s_add_i32 s13, s12, 0x1000000
	s_lshr_b32 s17, s17, 4
	s_lshl_b32 s16, s16, 23
	s_ashr_i32 s13, s13, 8
	s_sub_i32 s16, s17, s16
	s_and_b32 s13, s13, 0x7f800000
	s_add_i32 s16, s16, 0x3c000000
	s_or_b32 s13, s16, s13
	s_cmp_lg_u32 s12, 0
	s_cselect_b32 s13, s13, 0
	s_lshr_b32 s12, s13, 23
	s_cmpk_eq_i32 s12, 0xff
	v_mov_b32_e32 v3, 0xff
	s_cbranch_scc1 .LBB134_652
; %bb.651:
	s_bitcmp1_b32 s13, 22
	s_cselect_b64 s[16:17], -1, 0
	s_and_b32 s13, s13, 0x3fffff
	s_or_b32 s13, s12, s13
	s_cmp_lg_u32 s13, 0
	s_cselect_b64 s[18:19], -1, 0
	s_and_b64 s[16:17], s[16:17], s[18:19]
	v_cndmask_b32_e64 v3, 0, 1, s[16:17]
	v_add_u32_e32 v3, s12, v3
.LBB134_652:
	s_mov_b64 s[12:13], 0
	s_mov_b64 s[16:17], -1
	global_store_byte v[0:1], v3, off
.LBB134_653:
	s_mov_b64 s[18:19], 0
.LBB134_654:
	s_and_b64 vcc, exec, s[18:19]
	s_cbranch_vccz .LBB134_657
; %bb.655:
	v_cmp_eq_u16_e32 vcc, 29, v10
	s_mov_b64 s[12:13], -1
	s_cbranch_vccz .LBB134_657
; %bb.656:
	s_lshl_b32 s12, s11, 24
	s_and_b32 s13, s12, 0x80000000
	s_and_b32 s12, s12, 0x7f000000
	s_flbit_i32_b32 s16, s12
	s_min_u32 s16, s16, 32
	v_sub_u32_e64 v3, s16, 4 clamp
	v_readfirstlane_b32 s17, v3
	s_lshl_b32 s18, s12, s17
	s_add_i32 s16, s12, 0x1000000
	s_lshr_b32 s18, s18, 4
	s_lshl_b32 s17, s17, 23
	s_ashr_i32 s16, s16, 8
	s_sub_i32 s17, s18, s17
	s_and_b32 s16, s16, 0x7f800000
	s_add_i32 s17, s17, 0x3c000000
	s_or_b32 s16, s17, s16
	s_cmp_lg_u32 s12, 0
	s_cselect_b32 s12, s16, 0
	s_or_b32 s12, s12, s13
	v_trunc_f32_e32 v3, s12
	v_mul_f32_e32 v4, 0x2f800000, v3
	v_floor_f32_e32 v5, v4
	v_fmac_f32_e32 v3, 0xcf800000, v5
	v_cvt_u32_f32_e32 v4, v3
	v_cvt_u32_f32_e32 v5, v5
	s_mov_b64 s[12:13], 0
	s_mov_b64 s[16:17], -1
	global_store_dwordx2 v[0:1], v[4:5], off
.LBB134_657:
	s_mov_b64 s[18:19], 0
.LBB134_658:
	s_and_b64 vcc, exec, s[18:19]
	s_cbranch_vccz .LBB134_709
; %bb.659:
	v_cmp_gt_i16_e32 vcc, 27, v10
	s_mov_b64 s[16:17], -1
	s_cbranch_vccnz .LBB134_665
; %bb.660:
	v_cmp_lt_i16_e32 vcc, 27, v10
	s_cbranch_vccz .LBB134_662
; %bb.661:
	s_lshl_b32 s16, s11, 24
	s_and_b32 s17, s16, 0x80000000
	s_and_b32 s16, s16, 0x7f000000
	s_flbit_i32_b32 s18, s16
	s_min_u32 s18, s18, 32
	v_sub_u32_e64 v3, s18, 4 clamp
	v_readfirstlane_b32 s19, v3
	s_lshl_b32 s20, s16, s19
	s_add_i32 s18, s16, 0x1000000
	s_lshr_b32 s20, s20, 4
	s_lshl_b32 s19, s19, 23
	s_ashr_i32 s18, s18, 8
	s_sub_i32 s19, s20, s19
	s_and_b32 s18, s18, 0x7f800000
	s_add_i32 s19, s19, 0x3c000000
	s_or_b32 s18, s19, s18
	s_cmp_lg_u32 s16, 0
	s_cselect_b32 s16, s18, 0
	s_or_b32 s16, s16, s17
	v_cvt_u32_f32_e32 v3, s16
	s_mov_b64 s[16:17], 0
	global_store_dword v[0:1], v3, off
.LBB134_662:
	s_andn2_b64 vcc, exec, s[16:17]
	s_cbranch_vccnz .LBB134_664
; %bb.663:
	s_lshl_b32 s16, s11, 24
	s_and_b32 s17, s16, 0x80000000
	s_and_b32 s16, s16, 0x7f000000
	s_flbit_i32_b32 s18, s16
	s_min_u32 s18, s18, 32
	v_sub_u32_e64 v3, s18, 4 clamp
	v_readfirstlane_b32 s19, v3
	s_lshl_b32 s20, s16, s19
	s_add_i32 s18, s16, 0x1000000
	s_lshr_b32 s20, s20, 4
	s_lshl_b32 s19, s19, 23
	s_ashr_i32 s18, s18, 8
	s_sub_i32 s19, s20, s19
	s_and_b32 s18, s18, 0x7f800000
	s_add_i32 s19, s19, 0x3c000000
	s_or_b32 s18, s19, s18
	s_cmp_lg_u32 s16, 0
	s_cselect_b32 s16, s18, 0
	s_or_b32 s16, s16, s17
	v_cvt_u32_f32_e32 v3, s16
	global_store_short v[0:1], v3, off
.LBB134_664:
	s_mov_b64 s[16:17], 0
.LBB134_665:
	s_andn2_b64 vcc, exec, s[16:17]
	s_cbranch_vccnz .LBB134_708
; %bb.666:
	s_lshl_b32 s16, s11, 24
	s_and_b32 s17, s16, 0x80000000
	s_and_b32 s16, s16, 0x7f000000
	s_flbit_i32_b32 s18, s16
	s_min_u32 s18, s18, 32
	v_sub_u32_e64 v3, s18, 4 clamp
	v_readfirstlane_b32 s19, v3
	s_lshl_b32 s20, s16, s19
	s_add_i32 s18, s16, 0x1000000
	s_lshr_b32 s20, s20, 4
	s_lshl_b32 s19, s19, 23
	s_ashr_i32 s18, s18, 8
	s_sub_i32 s19, s20, s19
	s_and_b32 s18, s18, 0x7f800000
	s_add_i32 s19, s19, 0x3c000000
	s_or_b32 s18, s19, s18
	s_cmp_lg_u32 s16, 0
	s_cselect_b32 s16, s18, 0
	s_or_b32 s20, s16, s17
	s_and_b32 s17, s20, 0x7fffffff
	s_cmp_gt_u32 s17, 0x437fffff
	v_mov_b32_e32 v4, 0x80
	s_cbranch_scc1 .LBB134_707
; %bb.667:
	s_cmp_gt_u32 s17, 0x3bffffff
	s_cbranch_scc0 .LBB134_702
; %bb.668:
	s_bfe_u32 s16, s16, 0x10014
	s_add_i32 s16, s20, s16
	s_add_i32 s16, s16, 0x487ffff
	s_lshr_b32 s21, s16, 20
	s_mov_b64 s[18:19], 0
	s_mov_b64 s[16:17], -1
	s_branch .LBB134_703
.LBB134_669:
	s_mov_b64 s[16:17], 0
	s_cbranch_execnz .LBB134_764
.LBB134_670:
	s_andn2_b64 vcc, exec, s[16:17]
	s_cbranch_vccnz .LBB134_802
.LBB134_671:
	v_add_u32_e32 v0, s10, v2
	v_ashrrev_i32_e32 v1, 31, v0
	v_mov_b32_e32 v2, s9
	v_add_co_u32_e32 v0, vcc, s8, v0
	v_addc_co_u32_e32 v1, vcc, v2, v1, vcc
	s_and_b64 vcc, exec, s[0:1]
	s_cbranch_vccnz .LBB134_700
; %bb.672:
	v_cmp_lt_i16_e32 vcc, 25, v10
	s_mov_b64 s[12:13], -1
	s_mov_b64 s[8:9], 0
	s_mov_b64 s[0:1], 0
	s_cbranch_vccz .LBB134_724
; %bb.673:
	v_cmp_lt_i16_e32 vcc, 28, v10
	s_cbranch_vccz .LBB134_689
; %bb.674:
	v_cmp_lt_i16_e32 vcc, 43, v10
	s_cbranch_vccz .LBB134_685
; %bb.675:
	v_cmp_lt_i16_e32 vcc, 45, v10
	s_cbranch_vccz .LBB134_679
; %bb.676:
	v_cmp_eq_u16_e32 vcc, 46, v10
	s_mov_b64 s[0:1], -1
	s_cbranch_vccz .LBB134_678
; %bb.677:
	s_lshl_b32 s0, s11, 24
	s_and_b32 s1, s0, 0x80000000
	s_and_b32 s0, s0, 0x7f000000
	s_flbit_i32_b32 s10, s0
	s_min_u32 s10, s10, 32
	v_sub_u32_e64 v2, s10, 4 clamp
	v_readfirstlane_b32 s12, v2
	s_lshl_b32 s13, s0, s12
	s_add_i32 s10, s0, 0x1000000
	s_lshr_b32 s13, s13, 4
	s_lshl_b32 s12, s12, 23
	s_ashr_i32 s10, s10, 8
	s_sub_i32 s12, s13, s12
	s_and_b32 s10, s10, 0x7f800000
	s_add_i32 s12, s12, 0x3c000000
	s_or_b32 s10, s12, s10
	s_cmp_lg_u32 s0, 0
	s_cselect_b32 s0, s10, 0
	s_or_b32 s1, s0, s1
	s_bfe_u32 s0, s0, 0x10010
	s_add_i32 s0, s1, s0
	s_addk_i32 s0, 0x7fff
	s_lshr_b32 s10, s0, 16
	v_cmp_o_f32_e64 s[0:1], s1, s1
	s_and_b64 s[0:1], s[0:1], exec
	s_cselect_b32 s0, s10, 0x7fc0
	v_mov_b32_e32 v2, s0
	global_store_dword v[0:1], v2, off
	s_mov_b64 s[0:1], 0
.LBB134_678:
	s_mov_b64 s[12:13], 0
.LBB134_679:
	s_and_b64 vcc, exec, s[12:13]
	s_cbranch_vccz .LBB134_684
; %bb.680:
	v_cmp_eq_u16_e32 vcc, 44, v10
	s_mov_b64 s[0:1], -1
	s_cbranch_vccz .LBB134_684
; %bb.681:
	s_lshl_b32 s0, s11, 24
	s_and_b32 s0, s0, 0x7f000000
	s_flbit_i32_b32 s1, s0
	s_min_u32 s1, s1, 32
	v_sub_u32_e64 v2, s1, 4 clamp
	v_readfirstlane_b32 s10, v2
	s_lshl_b32 s12, s0, s10
	s_add_i32 s1, s0, 0x1000000
	s_lshr_b32 s12, s12, 4
	s_lshl_b32 s10, s10, 23
	s_ashr_i32 s1, s1, 8
	s_sub_i32 s10, s12, s10
	s_and_b32 s1, s1, 0x7f800000
	s_add_i32 s10, s10, 0x3c000000
	s_or_b32 s1, s10, s1
	s_cmp_lg_u32 s0, 0
	s_cselect_b32 s1, s1, 0
	s_lshr_b32 s0, s1, 23
	s_cmpk_eq_i32 s0, 0xff
	v_mov_b32_e32 v2, 0xff
	s_cbranch_scc1 .LBB134_683
; %bb.682:
	s_bitcmp1_b32 s1, 22
	s_cselect_b64 s[12:13], -1, 0
	s_and_b32 s1, s1, 0x3fffff
	s_or_b32 s1, s0, s1
	s_cmp_lg_u32 s1, 0
	s_cselect_b64 s[14:15], -1, 0
	s_and_b64 s[12:13], s[12:13], s[14:15]
	v_cndmask_b32_e64 v2, 0, 1, s[12:13]
	v_add_u32_e32 v2, s0, v2
.LBB134_683:
	s_mov_b64 s[0:1], 0
	global_store_byte v[0:1], v2, off
.LBB134_684:
	s_mov_b64 s[12:13], 0
.LBB134_685:
	s_and_b64 vcc, exec, s[12:13]
	s_cbranch_vccz .LBB134_688
; %bb.686:
	v_cmp_eq_u16_e32 vcc, 29, v10
	s_mov_b64 s[0:1], -1
	s_cbranch_vccz .LBB134_688
; %bb.687:
	s_lshl_b32 s0, s11, 24
	s_and_b32 s1, s0, 0x80000000
	s_and_b32 s0, s0, 0x7f000000
	s_flbit_i32_b32 s10, s0
	s_min_u32 s10, s10, 32
	v_sub_u32_e64 v2, s10, 4 clamp
	v_readfirstlane_b32 s12, v2
	s_lshl_b32 s13, s0, s12
	s_add_i32 s10, s0, 0x1000000
	s_lshr_b32 s13, s13, 4
	s_lshl_b32 s12, s12, 23
	s_ashr_i32 s10, s10, 8
	s_sub_i32 s12, s13, s12
	s_and_b32 s10, s10, 0x7f800000
	s_add_i32 s12, s12, 0x3c000000
	s_or_b32 s10, s12, s10
	s_cmp_lg_u32 s0, 0
	s_cselect_b32 s0, s10, 0
	s_or_b32 s0, s0, s1
	v_trunc_f32_e32 v2, s0
	v_mul_f32_e32 v3, 0x2f800000, v2
	v_floor_f32_e32 v3, v3
	v_fmac_f32_e32 v2, 0xcf800000, v3
	v_cvt_u32_f32_e32 v2, v2
	v_cvt_u32_f32_e32 v3, v3
	s_mov_b64 s[0:1], 0
	global_store_dwordx2 v[0:1], v[2:3], off
.LBB134_688:
	s_mov_b64 s[12:13], 0
.LBB134_689:
	s_and_b64 vcc, exec, s[12:13]
	s_cbranch_vccz .LBB134_723
; %bb.690:
	v_cmp_gt_i16_e32 vcc, 27, v10
	s_mov_b64 s[12:13], -1
	s_cbranch_vccnz .LBB134_696
; %bb.691:
	v_cmp_lt_i16_e32 vcc, 27, v10
	s_cbranch_vccz .LBB134_693
; %bb.692:
	s_lshl_b32 s10, s11, 24
	s_and_b32 s12, s10, 0x80000000
	s_and_b32 s10, s10, 0x7f000000
	s_flbit_i32_b32 s13, s10
	s_min_u32 s13, s13, 32
	v_sub_u32_e64 v2, s13, 4 clamp
	v_readfirstlane_b32 s14, v2
	s_lshl_b32 s15, s10, s14
	s_add_i32 s13, s10, 0x1000000
	s_lshr_b32 s15, s15, 4
	s_lshl_b32 s14, s14, 23
	s_ashr_i32 s13, s13, 8
	s_sub_i32 s14, s15, s14
	s_and_b32 s13, s13, 0x7f800000
	s_add_i32 s14, s14, 0x3c000000
	s_or_b32 s13, s14, s13
	s_cmp_lg_u32 s10, 0
	s_cselect_b32 s10, s13, 0
	s_or_b32 s10, s10, s12
	v_cvt_u32_f32_e32 v2, s10
	s_mov_b64 s[12:13], 0
	global_store_dword v[0:1], v2, off
.LBB134_693:
	s_andn2_b64 vcc, exec, s[12:13]
	s_cbranch_vccnz .LBB134_695
; %bb.694:
	s_lshl_b32 s10, s11, 24
	s_and_b32 s12, s10, 0x80000000
	s_and_b32 s10, s10, 0x7f000000
	s_flbit_i32_b32 s13, s10
	s_min_u32 s13, s13, 32
	v_sub_u32_e64 v2, s13, 4 clamp
	v_readfirstlane_b32 s14, v2
	s_lshl_b32 s15, s10, s14
	s_add_i32 s13, s10, 0x1000000
	s_lshr_b32 s15, s15, 4
	s_lshl_b32 s14, s14, 23
	s_ashr_i32 s13, s13, 8
	s_sub_i32 s14, s15, s14
	s_and_b32 s13, s13, 0x7f800000
	s_add_i32 s14, s14, 0x3c000000
	s_or_b32 s13, s14, s13
	s_cmp_lg_u32 s10, 0
	s_cselect_b32 s10, s13, 0
	s_or_b32 s10, s10, s12
	v_cvt_u32_f32_e32 v2, s10
	global_store_short v[0:1], v2, off
.LBB134_695:
	s_mov_b64 s[12:13], 0
.LBB134_696:
	s_andn2_b64 vcc, exec, s[12:13]
	s_cbranch_vccnz .LBB134_723
; %bb.697:
	s_lshl_b32 s10, s11, 24
	s_and_b32 s13, s10, 0x80000000
	s_and_b32 s10, s10, 0x7f000000
	s_flbit_i32_b32 s12, s10
	s_min_u32 s12, s12, 32
	v_sub_u32_e64 v2, s12, 4 clamp
	v_readfirstlane_b32 s14, v2
	s_lshl_b32 s15, s10, s14
	s_add_i32 s12, s10, 0x1000000
	s_lshr_b32 s15, s15, 4
	s_lshl_b32 s14, s14, 23
	s_ashr_i32 s12, s12, 8
	s_sub_i32 s14, s15, s14
	s_and_b32 s12, s12, 0x7f800000
	s_add_i32 s14, s14, 0x3c000000
	s_or_b32 s12, s14, s12
	s_cmp_lg_u32 s10, 0
	s_cselect_b32 s12, s12, 0
	s_or_b32 s10, s12, s13
	s_and_b32 s13, s10, 0x7fffffff
	s_cmp_gt_u32 s13, 0x437fffff
	v_mov_b32_e32 v3, 0x80
	s_cbranch_scc1 .LBB134_722
; %bb.698:
	s_cmp_gt_u32 s13, 0x3bffffff
	s_cbranch_scc0 .LBB134_717
; %bb.699:
	s_bfe_u32 s12, s12, 0x10014
	s_add_i32 s12, s10, s12
	s_add_i32 s12, s12, 0x487ffff
	s_lshr_b32 s16, s12, 20
	s_mov_b64 s[14:15], 0
	s_mov_b64 s[12:13], -1
	s_branch .LBB134_718
.LBB134_700:
	s_mov_b64 s[8:9], 0
	s_mov_b64 s[0:1], -1
	s_branch .LBB134_803
.LBB134_701:
	s_trap 2
	s_or_b64 s[6:7], s[6:7], exec
	s_cbranch_execz .LBB134_601
	s_branch .LBB134_602
.LBB134_702:
	s_mov_b64 s[18:19], -1
	s_mov_b64 s[16:17], 0
                                        ; implicit-def: $sgpr21
.LBB134_703:
	s_andn2_b64 vcc, exec, s[18:19]
	v_mov_b32_e32 v3, s21
                                        ; implicit-def: $sgpr18
	s_cbranch_vccnz .LBB134_705
; %bb.704:
	v_mov_b32_e32 v3, 0x46000000
	v_add_f32_e64 v3, |s20|, v3
	v_and_b32_e32 v3, 0xff, v3
	s_mov_b32 s18, 0
	v_cmp_ne_u32_e64 s[16:17], 0, v3
.LBB134_705:
	s_andn2_b64 vcc, exec, s[16:17]
	v_mov_b32_e32 v4, s18
	s_cbranch_vccnz .LBB134_707
; %bb.706:
	s_lshr_b32 s16, s20, 24
	s_and_b32 s16, s16, 0x80
	v_or_b32_e32 v4, s16, v3
.LBB134_707:
	global_store_byte v[0:1], v4, off
.LBB134_708:
	s_mov_b64 s[16:17], -1
.LBB134_709:
	s_mov_b64 s[18:19], 0
.LBB134_710:
	s_and_b64 vcc, exec, s[18:19]
	s_cbranch_vccz .LBB134_760
; %bb.711:
	v_cmp_lt_i16_e32 vcc, 22, v10
	s_mov_b64 s[14:15], -1
	s_cbranch_vccz .LBB134_753
; %bb.712:
	v_cmp_gt_i16_e32 vcc, 24, v10
	s_cbranch_vccnz .LBB134_740
; %bb.713:
	v_cmp_lt_i16_e32 vcc, 24, v10
	s_cbranch_vccz .LBB134_737
; %bb.714:
	s_lshl_b32 s14, s11, 24
	s_and_b32 s15, s14, 0x80000000
	s_and_b32 s14, s14, 0x7f000000
	s_flbit_i32_b32 s16, s14
	s_min_u32 s16, s16, 32
	v_sub_u32_e64 v3, s16, 4 clamp
	v_readfirstlane_b32 s17, v3
	s_lshl_b32 s18, s14, s17
	s_add_i32 s16, s14, 0x1000000
	s_lshr_b32 s18, s18, 4
	s_lshl_b32 s17, s17, 23
	s_ashr_i32 s16, s16, 8
	s_sub_i32 s17, s18, s17
	s_and_b32 s16, s16, 0x7f800000
	s_add_i32 s17, s17, 0x3c000000
	s_or_b32 s16, s17, s16
	s_cmp_lg_u32 s14, 0
	s_cselect_b32 s14, s16, 0
	s_or_b32 s18, s14, s15
	s_and_b32 s15, s18, 0x7fffffff
	s_cmp_gt_u32 s15, 0x477fffff
	v_mov_b32_e32 v4, 0x80
	s_cbranch_scc1 .LBB134_736
; %bb.715:
	s_cmp_gt_u32 s15, 0x37ffffff
	s_cbranch_scc0 .LBB134_731
; %bb.716:
	s_bfe_u32 s14, s14, 0x10015
	s_add_i32 s14, s18, s14
	s_add_i32 s14, s14, 0x88fffff
	s_lshr_b32 s19, s14, 21
	s_mov_b64 s[16:17], 0
	s_mov_b64 s[14:15], -1
	s_branch .LBB134_732
.LBB134_717:
	s_mov_b64 s[14:15], -1
	s_mov_b64 s[12:13], 0
                                        ; implicit-def: $sgpr16
.LBB134_718:
	s_andn2_b64 vcc, exec, s[14:15]
	v_mov_b32_e32 v2, s16
                                        ; implicit-def: $sgpr14
	s_cbranch_vccnz .LBB134_720
; %bb.719:
	v_mov_b32_e32 v2, 0x46000000
	v_add_f32_e64 v2, |s10|, v2
	v_and_b32_e32 v2, 0xff, v2
	s_mov_b32 s14, 0
	v_cmp_ne_u32_e64 s[12:13], 0, v2
.LBB134_720:
	s_andn2_b64 vcc, exec, s[12:13]
	v_mov_b32_e32 v3, s14
	s_cbranch_vccnz .LBB134_722
; %bb.721:
	s_lshr_b32 s10, s10, 24
	s_and_b32 s10, s10, 0x80
	v_or_b32_e32 v3, s10, v2
.LBB134_722:
	global_store_byte v[0:1], v3, off
.LBB134_723:
	s_mov_b64 s[12:13], 0
.LBB134_724:
	s_and_b64 vcc, exec, s[12:13]
	s_cbranch_vccz .LBB134_874
; %bb.725:
	v_cmp_lt_i16_e32 vcc, 22, v10
	s_mov_b64 s[8:9], -1
	s_cbranch_vccz .LBB134_867
; %bb.726:
	v_cmp_gt_i16_e32 vcc, 24, v10
	s_cbranch_vccnz .LBB134_854
; %bb.727:
	v_cmp_lt_i16_e32 vcc, 24, v10
	s_cbranch_vccz .LBB134_851
; %bb.728:
	s_lshl_b32 s8, s11, 24
	s_and_b32 s9, s8, 0x80000000
	s_and_b32 s8, s8, 0x7f000000
	s_flbit_i32_b32 s10, s8
	s_min_u32 s10, s10, 32
	v_sub_u32_e64 v2, s10, 4 clamp
	v_readfirstlane_b32 s12, v2
	s_lshl_b32 s13, s8, s12
	s_add_i32 s10, s8, 0x1000000
	s_lshr_b32 s13, s13, 4
	s_lshl_b32 s12, s12, 23
	s_ashr_i32 s10, s10, 8
	s_sub_i32 s12, s13, s12
	s_and_b32 s10, s10, 0x7f800000
	s_add_i32 s12, s12, 0x3c000000
	s_or_b32 s10, s12, s10
	s_cmp_lg_u32 s8, 0
	s_cselect_b32 s8, s10, 0
	s_or_b32 s10, s8, s9
	s_and_b32 s9, s10, 0x7fffffff
	s_cmp_gt_u32 s9, 0x477fffff
	v_mov_b32_e32 v3, 0x80
	s_cbranch_scc1 .LBB134_850
; %bb.729:
	s_cmp_gt_u32 s9, 0x37ffffff
	s_cbranch_scc0 .LBB134_845
; %bb.730:
	s_bfe_u32 s8, s8, 0x10015
	s_add_i32 s8, s10, s8
	s_add_i32 s8, s8, 0x88fffff
	s_lshr_b32 s14, s8, 21
	s_mov_b64 s[12:13], 0
	s_mov_b64 s[8:9], -1
	s_branch .LBB134_846
.LBB134_731:
	s_mov_b64 s[16:17], -1
	s_mov_b64 s[14:15], 0
                                        ; implicit-def: $sgpr19
.LBB134_732:
	s_andn2_b64 vcc, exec, s[16:17]
	v_mov_b32_e32 v3, s19
                                        ; implicit-def: $sgpr16
	s_cbranch_vccnz .LBB134_734
; %bb.733:
	v_mov_b32_e32 v3, 0x42800000
	v_add_f32_e64 v3, |s18|, v3
	v_and_b32_e32 v3, 0xff, v3
	s_mov_b32 s16, 0
	v_cmp_ne_u32_e64 s[14:15], 0, v3
.LBB134_734:
	s_andn2_b64 vcc, exec, s[14:15]
	v_mov_b32_e32 v4, s16
	s_cbranch_vccnz .LBB134_736
; %bb.735:
	s_lshr_b32 s14, s18, 24
	s_and_b32 s14, s14, 0x80
	v_or_b32_e32 v4, s14, v3
.LBB134_736:
	s_mov_b64 s[14:15], 0
	global_store_byte v[0:1], v4, off
.LBB134_737:
	s_and_b64 vcc, exec, s[14:15]
	s_cbranch_vccz .LBB134_739
; %bb.738:
	v_mov_b32_e32 v3, s11
	global_store_byte v[0:1], v3, off
.LBB134_739:
	s_mov_b64 s[14:15], 0
.LBB134_740:
	s_andn2_b64 vcc, exec, s[14:15]
	s_cbranch_vccnz .LBB134_752
; %bb.741:
	s_lshl_b32 s14, s11, 24
	s_and_b32 s15, s14, 0x80000000
	s_and_b32 s14, s14, 0x7f000000
	s_flbit_i32_b32 s16, s14
	s_min_u32 s16, s16, 32
	v_sub_u32_e64 v3, s16, 4 clamp
	v_readfirstlane_b32 s17, v3
	s_lshl_b32 s18, s14, s17
	s_add_i32 s16, s14, 0x1000000
	s_lshr_b32 s18, s18, 4
	s_lshl_b32 s17, s17, 23
	s_ashr_i32 s16, s16, 8
	s_sub_i32 s17, s18, s17
	s_and_b32 s16, s16, 0x7f800000
	s_add_i32 s17, s17, 0x3c000000
	s_or_b32 s16, s17, s16
	s_cmp_lg_u32 s14, 0
	s_cselect_b32 s14, s16, 0
	s_or_b32 s16, s14, s15
	s_and_b32 s17, s16, 0x7fffffff
	s_cmp_lt_u32 s17, 0x47800000
	s_cbranch_scc0 .LBB134_744
; %bb.742:
	s_cmp_gt_u32 s17, 0x387fffff
	s_cbranch_scc0 .LBB134_745
; %bb.743:
	s_bfe_u32 s14, s14, 0x10015
	s_add_i32 s14, s16, s14
	s_add_i32 s14, s14, 0x80fffff
	s_lshr_b32 s18, s14, 21
	s_mov_b64 s[14:15], 0
	s_branch .LBB134_746
.LBB134_744:
	s_mov_b64 s[14:15], -1
                                        ; implicit-def: $vgpr3
	s_branch .LBB134_749
.LBB134_745:
	s_mov_b64 s[14:15], -1
                                        ; implicit-def: $sgpr18
.LBB134_746:
	s_andn2_b64 vcc, exec, s[14:15]
	v_mov_b32_e32 v3, s18
	s_cbranch_vccnz .LBB134_748
; %bb.747:
	v_mov_b32_e32 v3, 0x43000000
	v_add_f32_e64 v3, |s16|, v3
.LBB134_748:
	s_mov_b64 s[14:15], 0
.LBB134_749:
	s_andn2_b64 vcc, exec, s[14:15]
	s_cbranch_vccnz .LBB134_751
; %bb.750:
	s_cmp_gt_u32 s17, 0x7f800000
	s_movk_i32 s14, 0x7f
	s_cselect_b32 s14, s14, 0x7c
	v_mov_b32_e32 v3, s14
.LBB134_751:
	s_lshr_b32 s14, s16, 24
	s_and_b32 s14, s14, 0x80
	v_or_b32_e32 v3, s14, v3
	global_store_byte v[0:1], v3, off
.LBB134_752:
	s_mov_b64 s[14:15], 0
	s_mov_b64 s[16:17], -1
.LBB134_753:
	s_andn2_b64 vcc, exec, s[14:15]
	s_mov_b64 s[14:15], 0
	s_cbranch_vccnz .LBB134_760
; %bb.754:
	v_cmp_lt_i16_e32 vcc, 14, v10
	s_mov_b64 s[18:19], -1
	s_cbranch_vccz .LBB134_758
; %bb.755:
	v_cmp_eq_u16_e32 vcc, 15, v10
	s_mov_b64 s[12:13], -1
	s_cbranch_vccz .LBB134_757
; %bb.756:
	s_lshl_b32 s12, s11, 24
	s_and_b32 s13, s12, 0x80000000
	s_and_b32 s12, s12, 0x7f000000
	s_flbit_i32_b32 s14, s12
	s_min_u32 s14, s14, 32
	v_sub_u32_e64 v3, s14, 4 clamp
	v_readfirstlane_b32 s15, v3
	s_lshl_b32 s16, s12, s15
	s_add_i32 s14, s12, 0x1000000
	s_lshr_b32 s16, s16, 4
	s_lshl_b32 s15, s15, 23
	s_ashr_i32 s14, s14, 8
	s_sub_i32 s15, s16, s15
	s_and_b32 s14, s14, 0x7f800000
	s_add_i32 s15, s15, 0x3c000000
	s_or_b32 s14, s15, s14
	s_cmp_lg_u32 s12, 0
	s_cselect_b32 s12, s14, 0
	s_or_b32 s13, s12, s13
	s_bfe_u32 s12, s12, 0x10010
	s_add_i32 s12, s13, s12
	s_addk_i32 s12, 0x7fff
	s_lshr_b32 s14, s12, 16
	v_cmp_o_f32_e64 s[12:13], s13, s13
	s_and_b64 s[12:13], s[12:13], exec
	s_cselect_b32 s12, s14, 0x7fc0
	v_mov_b32_e32 v3, s12
	global_store_short v[0:1], v3, off
	s_mov_b64 s[12:13], 0
	s_mov_b64 s[16:17], -1
.LBB134_757:
	s_mov_b64 s[18:19], 0
.LBB134_758:
	s_mov_b64 s[14:15], 0
	s_and_b64 vcc, exec, s[18:19]
	s_cbranch_vccz .LBB134_760
; %bb.759:
	v_cmp_ne_u16_e64 s[12:13], 11, v10
	s_mov_b64 s[14:15], -1
.LBB134_760:
	s_and_b64 vcc, exec, s[12:13]
	s_cbranch_vccnz .LBB134_844
; %bb.761:
	s_andn2_b64 vcc, exec, s[14:15]
	s_cbranch_vccnz .LBB134_763
.LBB134_762:
	s_lshl_b32 s12, s11, 24
	s_and_b32 s12, s12, 0x7f000000
	s_flbit_i32_b32 s13, s12
	s_min_u32 s13, s13, 32
	v_sub_u32_e64 v3, s13, 4 clamp
	s_add_i32 s13, s12, 0x1000000
	s_ashr_i32 s13, s13, 8
	s_and_b32 s14, s13, 0x7f800000
	v_readfirstlane_b32 s13, v3
	s_lshl_b32 s15, s12, s13
	s_lshr_b32 s15, s15, 4
	s_lshl_b32 s13, s13, 23
	s_sub_i32 s13, s15, s13
	s_add_i32 s15, s13, 0x3c000000
	s_cmp_lg_u32 s12, 0
	s_cselect_b64 s[12:13], -1, 0
	s_and_b32 s15, s15, 0x7ff00000
	s_or_b32 s14, s15, s14
	s_cmp_lg_u32 s14, 0
	s_cselect_b64 s[14:15], -1, 0
	s_and_b64 s[12:13], s[12:13], s[14:15]
	v_cndmask_b32_e64 v3, 0, 1, s[12:13]
	s_mov_b64 s[16:17], -1
	global_store_byte v[0:1], v3, off
.LBB134_763:
	s_branch .LBB134_670
.LBB134_764:
	v_cmp_gt_i16_e32 vcc, 5, v10
	s_mov_b64 s[12:13], -1
	s_cbranch_vccnz .LBB134_785
; %bb.765:
	v_cmp_gt_i16_e32 vcc, 8, v10
	s_cbranch_vccnz .LBB134_775
; %bb.766:
	v_cmp_gt_i16_e32 vcc, 9, v10
	s_cbranch_vccnz .LBB134_772
; %bb.767:
	v_cmp_lt_i16_e32 vcc, 9, v10
	s_cbranch_vccz .LBB134_769
; %bb.768:
	s_lshl_b32 s12, s11, 24
	s_and_b32 s13, s12, 0x80000000
	s_and_b32 s12, s12, 0x7f000000
	s_flbit_i32_b32 s14, s12
	s_min_u32 s14, s14, 32
	v_sub_u32_e64 v3, s14, 4 clamp
	v_readfirstlane_b32 s15, v3
	s_lshl_b32 s16, s12, s15
	s_add_i32 s14, s12, 0x1000000
	s_lshr_b32 s16, s16, 4
	s_lshl_b32 s15, s15, 23
	s_ashr_i32 s14, s14, 8
	s_sub_i32 s15, s16, s15
	s_and_b32 s14, s14, 0x7f800000
	s_add_i32 s15, s15, 0x3c000000
	s_or_b32 s14, s15, s14
	s_cmp_lg_u32 s12, 0
	s_cselect_b32 s12, s14, 0
	s_or_b32 s12, s12, s13
	v_mov_b32_e32 v6, 0
	v_cvt_f64_f32_e32 v[4:5], s12
	v_mov_b32_e32 v7, v6
	global_store_dwordx4 v[0:1], v[4:7], off
	s_mov_b64 s[12:13], 0
.LBB134_769:
	s_andn2_b64 vcc, exec, s[12:13]
	s_cbranch_vccnz .LBB134_771
; %bb.770:
	s_lshl_b32 s12, s11, 24
	s_and_b32 s13, s12, 0x80000000
	s_and_b32 s12, s12, 0x7f000000
	s_flbit_i32_b32 s14, s12
	s_min_u32 s14, s14, 32
	v_sub_u32_e64 v3, s14, 4 clamp
	v_readfirstlane_b32 s15, v3
	s_lshl_b32 s16, s12, s15
	s_add_i32 s14, s12, 0x1000000
	s_lshr_b32 s16, s16, 4
	s_lshl_b32 s15, s15, 23
	s_ashr_i32 s14, s14, 8
	s_sub_i32 s15, s16, s15
	s_and_b32 s14, s14, 0x7f800000
	s_add_i32 s15, s15, 0x3c000000
	s_or_b32 s14, s15, s14
	s_cmp_lg_u32 s12, 0
	s_cselect_b32 s12, s14, 0
	s_or_b32 s12, s12, s13
	v_mov_b32_e32 v4, s12
	v_mov_b32_e32 v5, 0
	global_store_dwordx2 v[0:1], v[4:5], off
.LBB134_771:
	s_mov_b64 s[12:13], 0
.LBB134_772:
	s_andn2_b64 vcc, exec, s[12:13]
	s_cbranch_vccnz .LBB134_774
; %bb.773:
	s_lshl_b32 s12, s11, 24
	s_and_b32 s13, s12, 0x80000000
	s_and_b32 s12, s12, 0x7f000000
	s_flbit_i32_b32 s14, s12
	s_min_u32 s14, s14, 32
	v_sub_u32_e64 v3, s14, 4 clamp
	v_readfirstlane_b32 s15, v3
	s_lshl_b32 s16, s12, s15
	s_add_i32 s14, s12, 0x1000000
	s_lshr_b32 s16, s16, 4
	s_lshl_b32 s15, s15, 23
	s_ashr_i32 s14, s14, 8
	s_sub_i32 s15, s16, s15
	s_and_b32 s14, s14, 0x7f800000
	s_add_i32 s15, s15, 0x3c000000
	s_or_b32 s14, s15, s14
	s_cmp_lg_u32 s12, 0
	s_cselect_b32 s12, s14, 0
	s_or_b32 s12, s12, s13
	v_cvt_f16_f32_e32 v3, s12
	global_store_dword v[0:1], v3, off
.LBB134_774:
	s_mov_b64 s[12:13], 0
.LBB134_775:
	s_andn2_b64 vcc, exec, s[12:13]
	s_cbranch_vccnz .LBB134_784
; %bb.776:
	v_cmp_gt_i16_e32 vcc, 6, v10
	s_mov_b64 s[12:13], -1
	s_cbranch_vccnz .LBB134_782
; %bb.777:
	v_cmp_lt_i16_e32 vcc, 6, v10
	s_cbranch_vccz .LBB134_779
; %bb.778:
	s_lshl_b32 s12, s11, 24
	s_and_b32 s13, s12, 0x80000000
	s_and_b32 s12, s12, 0x7f000000
	s_flbit_i32_b32 s14, s12
	s_min_u32 s14, s14, 32
	v_sub_u32_e64 v3, s14, 4 clamp
	v_readfirstlane_b32 s15, v3
	s_lshl_b32 s16, s12, s15
	s_add_i32 s14, s12, 0x1000000
	s_lshr_b32 s16, s16, 4
	s_lshl_b32 s15, s15, 23
	s_ashr_i32 s14, s14, 8
	s_sub_i32 s15, s16, s15
	s_and_b32 s14, s14, 0x7f800000
	s_add_i32 s15, s15, 0x3c000000
	s_or_b32 s14, s15, s14
	s_cmp_lg_u32 s12, 0
	s_cselect_b32 s12, s14, 0
	s_or_b32 s12, s12, s13
	v_cvt_f64_f32_e32 v[4:5], s12
	global_store_dwordx2 v[0:1], v[4:5], off
	s_mov_b64 s[12:13], 0
.LBB134_779:
	s_andn2_b64 vcc, exec, s[12:13]
	s_cbranch_vccnz .LBB134_781
; %bb.780:
	s_lshl_b32 s12, s11, 24
	s_and_b32 s13, s12, 0x80000000
	s_and_b32 s12, s12, 0x7f000000
	s_flbit_i32_b32 s14, s12
	s_min_u32 s14, s14, 32
	v_sub_u32_e64 v3, s14, 4 clamp
	v_readfirstlane_b32 s15, v3
	s_lshl_b32 s16, s12, s15
	s_add_i32 s14, s12, 0x1000000
	s_lshr_b32 s16, s16, 4
	s_lshl_b32 s15, s15, 23
	s_ashr_i32 s14, s14, 8
	s_sub_i32 s15, s16, s15
	s_and_b32 s14, s14, 0x7f800000
	s_add_i32 s15, s15, 0x3c000000
	s_or_b32 s14, s15, s14
	s_cmp_lg_u32 s12, 0
	s_cselect_b32 s12, s14, 0
	s_or_b32 s12, s12, s13
	v_mov_b32_e32 v3, s12
	global_store_dword v[0:1], v3, off
.LBB134_781:
	s_mov_b64 s[12:13], 0
.LBB134_782:
	s_andn2_b64 vcc, exec, s[12:13]
	s_cbranch_vccnz .LBB134_784
; %bb.783:
	s_lshl_b32 s12, s11, 24
	s_and_b32 s13, s12, 0x80000000
	s_and_b32 s12, s12, 0x7f000000
	s_flbit_i32_b32 s14, s12
	s_min_u32 s14, s14, 32
	v_sub_u32_e64 v3, s14, 4 clamp
	v_readfirstlane_b32 s15, v3
	s_lshl_b32 s16, s12, s15
	s_add_i32 s14, s12, 0x1000000
	s_lshr_b32 s16, s16, 4
	s_lshl_b32 s15, s15, 23
	s_ashr_i32 s14, s14, 8
	s_sub_i32 s15, s16, s15
	s_and_b32 s14, s14, 0x7f800000
	s_add_i32 s15, s15, 0x3c000000
	s_or_b32 s14, s15, s14
	s_cmp_lg_u32 s12, 0
	s_cselect_b32 s12, s14, 0
	s_or_b32 s12, s12, s13
	v_cvt_f16_f32_e32 v3, s12
	global_store_short v[0:1], v3, off
.LBB134_784:
	s_mov_b64 s[12:13], 0
.LBB134_785:
	s_andn2_b64 vcc, exec, s[12:13]
	s_cbranch_vccnz .LBB134_801
; %bb.786:
	v_cmp_gt_i16_e32 vcc, 2, v10
	s_mov_b64 s[12:13], -1
	s_cbranch_vccnz .LBB134_796
; %bb.787:
	v_cmp_gt_i16_e32 vcc, 3, v10
	s_cbranch_vccnz .LBB134_793
; %bb.788:
	v_cmp_lt_i16_e32 vcc, 3, v10
	s_cbranch_vccz .LBB134_790
; %bb.789:
	s_lshl_b32 s12, s11, 24
	s_and_b32 s13, s12, 0x80000000
	s_and_b32 s12, s12, 0x7f000000
	s_flbit_i32_b32 s14, s12
	s_min_u32 s14, s14, 32
	v_sub_u32_e64 v3, s14, 4 clamp
	v_readfirstlane_b32 s15, v3
	s_lshl_b32 s16, s12, s15
	s_add_i32 s14, s12, 0x1000000
	s_lshr_b32 s16, s16, 4
	s_lshl_b32 s15, s15, 23
	s_ashr_i32 s14, s14, 8
	s_sub_i32 s15, s16, s15
	s_and_b32 s14, s14, 0x7f800000
	s_add_i32 s15, s15, 0x3c000000
	s_or_b32 s14, s15, s14
	s_cmp_lg_u32 s12, 0
	s_cselect_b32 s12, s14, 0
	s_or_b32 s12, s12, s13
	v_trunc_f32_e32 v3, s12
	s_mov_b32 s12, 0x2f800000
	v_mul_f32_e64 v4, |v3|, s12
	v_floor_f32_e32 v4, v4
	s_mov_b32 s12, 0xcf800000
	v_fma_f32 v5, v4, s12, |v3|
	v_cvt_u32_f32_e32 v5, v5
	v_cvt_u32_f32_e32 v4, v4
	v_ashrrev_i32_e32 v3, 31, v3
	s_mov_b64 s[12:13], 0
	v_xor_b32_e32 v5, v5, v3
	v_xor_b32_e32 v6, v4, v3
	v_sub_co_u32_e32 v4, vcc, v5, v3
	v_subb_co_u32_e32 v5, vcc, v6, v3, vcc
	global_store_dwordx2 v[0:1], v[4:5], off
.LBB134_790:
	s_andn2_b64 vcc, exec, s[12:13]
	s_cbranch_vccnz .LBB134_792
; %bb.791:
	s_lshl_b32 s12, s11, 24
	s_and_b32 s13, s12, 0x80000000
	s_and_b32 s12, s12, 0x7f000000
	s_flbit_i32_b32 s14, s12
	s_min_u32 s14, s14, 32
	v_sub_u32_e64 v3, s14, 4 clamp
	v_readfirstlane_b32 s15, v3
	s_lshl_b32 s16, s12, s15
	s_add_i32 s14, s12, 0x1000000
	s_lshr_b32 s16, s16, 4
	s_lshl_b32 s15, s15, 23
	s_ashr_i32 s14, s14, 8
	s_sub_i32 s15, s16, s15
	s_and_b32 s14, s14, 0x7f800000
	s_add_i32 s15, s15, 0x3c000000
	s_or_b32 s14, s15, s14
	s_cmp_lg_u32 s12, 0
	s_cselect_b32 s12, s14, 0
	s_or_b32 s12, s12, s13
	v_cvt_i32_f32_e32 v3, s12
	global_store_dword v[0:1], v3, off
.LBB134_792:
	s_mov_b64 s[12:13], 0
.LBB134_793:
	s_andn2_b64 vcc, exec, s[12:13]
	s_cbranch_vccnz .LBB134_795
; %bb.794:
	s_lshl_b32 s12, s11, 24
	s_and_b32 s13, s12, 0x80000000
	s_and_b32 s12, s12, 0x7f000000
	s_flbit_i32_b32 s14, s12
	s_min_u32 s14, s14, 32
	v_sub_u32_e64 v3, s14, 4 clamp
	v_readfirstlane_b32 s15, v3
	s_lshl_b32 s16, s12, s15
	s_add_i32 s14, s12, 0x1000000
	s_lshr_b32 s16, s16, 4
	s_lshl_b32 s15, s15, 23
	s_ashr_i32 s14, s14, 8
	s_sub_i32 s15, s16, s15
	s_and_b32 s14, s14, 0x7f800000
	s_add_i32 s15, s15, 0x3c000000
	s_or_b32 s14, s15, s14
	s_cmp_lg_u32 s12, 0
	s_cselect_b32 s12, s14, 0
	s_or_b32 s12, s12, s13
	v_cvt_i32_f32_e32 v3, s12
	global_store_short v[0:1], v3, off
.LBB134_795:
	s_mov_b64 s[12:13], 0
.LBB134_796:
	s_andn2_b64 vcc, exec, s[12:13]
	s_cbranch_vccnz .LBB134_801
; %bb.797:
	v_cmp_lt_i16_e32 vcc, 0, v10
	s_mov_b64 s[12:13], -1
	s_cbranch_vccz .LBB134_799
; %bb.798:
	s_lshl_b32 s12, s11, 24
	s_and_b32 s13, s12, 0x80000000
	s_and_b32 s12, s12, 0x7f000000
	s_flbit_i32_b32 s14, s12
	s_min_u32 s14, s14, 32
	v_sub_u32_e64 v3, s14, 4 clamp
	v_readfirstlane_b32 s15, v3
	s_lshl_b32 s16, s12, s15
	s_add_i32 s14, s12, 0x1000000
	s_lshr_b32 s16, s16, 4
	s_lshl_b32 s15, s15, 23
	s_ashr_i32 s14, s14, 8
	s_sub_i32 s15, s16, s15
	s_and_b32 s14, s14, 0x7f800000
	s_add_i32 s15, s15, 0x3c000000
	s_or_b32 s14, s15, s14
	s_cmp_lg_u32 s12, 0
	s_cselect_b32 s12, s14, 0
	s_or_b32 s12, s12, s13
	v_cvt_i32_f32_e32 v3, s12
	s_mov_b64 s[12:13], 0
	global_store_byte v[0:1], v3, off
.LBB134_799:
	s_andn2_b64 vcc, exec, s[12:13]
	s_cbranch_vccnz .LBB134_801
; %bb.800:
	s_lshl_b32 s12, s11, 24
	s_and_b32 s13, s12, 0x80000000
	s_and_b32 s12, s12, 0x7f000000
	s_flbit_i32_b32 s14, s12
	s_min_u32 s14, s14, 32
	v_sub_u32_e64 v3, s14, 4 clamp
	v_readfirstlane_b32 s15, v3
	s_lshl_b32 s16, s12, s15
	s_add_i32 s14, s12, 0x1000000
	s_lshr_b32 s16, s16, 4
	s_lshl_b32 s15, s15, 23
	s_ashr_i32 s14, s14, 8
	s_sub_i32 s15, s16, s15
	s_and_b32 s14, s14, 0x7f800000
	s_add_i32 s15, s15, 0x3c000000
	s_or_b32 s14, s15, s14
	s_cmp_lg_u32 s12, 0
	s_cselect_b32 s12, s14, 0
	s_or_b32 s12, s12, s13
	v_trunc_f32_e32 v3, s12
	s_mov_b32 s12, 0x2f800000
	v_mul_f32_e64 v4, |v3|, s12
	v_floor_f32_e32 v4, v4
	s_mov_b32 s12, 0xcf800000
	v_fma_f32 v4, v4, s12, |v3|
	v_cvt_u32_f32_e32 v4, v4
	v_ashrrev_i32_e32 v3, 31, v3
	v_xor_b32_e32 v4, v4, v3
	v_sub_u32_e32 v3, v4, v3
	global_store_byte v[0:1], v3, off
.LBB134_801:
	s_branch .LBB134_671
.LBB134_802:
	s_mov_b64 s[0:1], 0
	s_mov_b64 s[8:9], 0
                                        ; implicit-def: $vgpr10
                                        ; implicit-def: $vgpr0_vgpr1
.LBB134_803:
	s_andn2_b64 s[2:3], s[2:3], exec
	s_and_b64 s[6:7], s[6:7], exec
	s_and_b64 s[0:1], s[0:1], exec
	;; [unrolled: 1-line block ×3, first 2 shown]
	s_or_b64 s[2:3], s[2:3], s[6:7]
	s_or_b64 exec, exec, s[4:5]
	s_and_saveexec_b64 s[4:5], s[2:3]
	s_cbranch_execnz .LBB134_434
.LBB134_804:
	s_or_b64 exec, exec, s[4:5]
	s_and_saveexec_b64 s[2:3], s[12:13]
	s_xor_b64 s[2:3], exec, s[2:3]
	s_cbranch_execz .LBB134_435
.LBB134_805:
	s_lshl_b32 s4, s11, 24
	s_and_b32 s4, s4, 0x7f000000
	s_flbit_i32_b32 s5, s4
	s_min_u32 s5, s5, 32
	v_sub_u32_e64 v2, s5, 4 clamp
	s_add_i32 s5, s4, 0x1000000
	s_ashr_i32 s5, s5, 8
	s_and_b32 s6, s5, 0x7f800000
	v_readfirstlane_b32 s5, v2
	s_lshl_b32 s7, s4, s5
	s_lshr_b32 s7, s7, 4
	s_lshl_b32 s5, s5, 23
	s_sub_i32 s5, s7, s5
	s_add_i32 s7, s5, 0x3c000000
	s_cmp_lg_u32 s4, 0
	s_cselect_b64 s[4:5], -1, 0
	s_and_b32 s7, s7, 0x7ff00000
	s_or_b32 s6, s7, s6
	s_cmp_lg_u32 s6, 0
	s_cselect_b64 s[6:7], -1, 0
	s_and_b64 s[4:5], s[4:5], s[6:7]
	v_cndmask_b32_e64 v2, 0, 1, s[4:5]
	global_store_byte v[0:1], v2, off
	s_or_b64 exec, exec, s[2:3]
	s_and_saveexec_b64 s[2:3], s[0:1]
	s_cbranch_execz .LBB134_843
.LBB134_806:
	v_cmp_gt_i16_e32 vcc, 5, v10
	s_mov_b64 s[0:1], -1
	s_cbranch_vccnz .LBB134_827
; %bb.807:
	v_cmp_gt_i16_e32 vcc, 8, v10
	s_cbranch_vccnz .LBB134_817
; %bb.808:
	v_cmp_gt_i16_e32 vcc, 9, v10
	s_cbranch_vccnz .LBB134_814
; %bb.809:
	v_cmp_lt_i16_e32 vcc, 9, v10
	s_cbranch_vccz .LBB134_811
; %bb.810:
	s_lshl_b32 s0, s11, 24
	s_and_b32 s1, s0, 0x80000000
	s_and_b32 s0, s0, 0x7f000000
	s_flbit_i32_b32 s2, s0
	s_min_u32 s2, s2, 32
	v_sub_u32_e64 v2, s2, 4 clamp
	v_readfirstlane_b32 s3, v2
	s_lshl_b32 s4, s0, s3
	s_add_i32 s2, s0, 0x1000000
	s_lshr_b32 s4, s4, 4
	s_lshl_b32 s3, s3, 23
	s_ashr_i32 s2, s2, 8
	s_sub_i32 s3, s4, s3
	s_and_b32 s2, s2, 0x7f800000
	s_add_i32 s3, s3, 0x3c000000
	s_or_b32 s2, s3, s2
	s_cmp_lg_u32 s0, 0
	s_cselect_b32 s0, s2, 0
	s_or_b32 s0, s0, s1
	v_mov_b32_e32 v4, 0
	v_cvt_f64_f32_e32 v[2:3], s0
	v_mov_b32_e32 v5, v4
	global_store_dwordx4 v[0:1], v[2:5], off
	s_mov_b64 s[0:1], 0
.LBB134_811:
	s_andn2_b64 vcc, exec, s[0:1]
	s_cbranch_vccnz .LBB134_813
; %bb.812:
	s_lshl_b32 s0, s11, 24
	s_and_b32 s1, s0, 0x80000000
	s_and_b32 s0, s0, 0x7f000000
	s_flbit_i32_b32 s2, s0
	s_min_u32 s2, s2, 32
	v_sub_u32_e64 v2, s2, 4 clamp
	v_readfirstlane_b32 s3, v2
	s_lshl_b32 s4, s0, s3
	s_add_i32 s2, s0, 0x1000000
	s_lshr_b32 s4, s4, 4
	s_lshl_b32 s3, s3, 23
	s_ashr_i32 s2, s2, 8
	s_sub_i32 s3, s4, s3
	s_and_b32 s2, s2, 0x7f800000
	s_add_i32 s3, s3, 0x3c000000
	s_or_b32 s2, s3, s2
	s_cmp_lg_u32 s0, 0
	s_cselect_b32 s0, s2, 0
	s_or_b32 s0, s0, s1
	v_mov_b32_e32 v2, s0
	v_mov_b32_e32 v3, 0
	global_store_dwordx2 v[0:1], v[2:3], off
.LBB134_813:
	s_mov_b64 s[0:1], 0
.LBB134_814:
	s_andn2_b64 vcc, exec, s[0:1]
	s_cbranch_vccnz .LBB134_816
; %bb.815:
	s_lshl_b32 s0, s11, 24
	s_and_b32 s1, s0, 0x80000000
	s_and_b32 s0, s0, 0x7f000000
	s_flbit_i32_b32 s2, s0
	s_min_u32 s2, s2, 32
	v_sub_u32_e64 v2, s2, 4 clamp
	v_readfirstlane_b32 s3, v2
	s_lshl_b32 s4, s0, s3
	s_add_i32 s2, s0, 0x1000000
	s_lshr_b32 s4, s4, 4
	s_lshl_b32 s3, s3, 23
	s_ashr_i32 s2, s2, 8
	s_sub_i32 s3, s4, s3
	s_and_b32 s2, s2, 0x7f800000
	s_add_i32 s3, s3, 0x3c000000
	s_or_b32 s2, s3, s2
	s_cmp_lg_u32 s0, 0
	s_cselect_b32 s0, s2, 0
	s_or_b32 s0, s0, s1
	v_cvt_f16_f32_e32 v2, s0
	global_store_dword v[0:1], v2, off
.LBB134_816:
	s_mov_b64 s[0:1], 0
.LBB134_817:
	s_andn2_b64 vcc, exec, s[0:1]
	s_cbranch_vccnz .LBB134_826
; %bb.818:
	v_cmp_gt_i16_e32 vcc, 6, v10
	s_mov_b64 s[0:1], -1
	s_cbranch_vccnz .LBB134_824
; %bb.819:
	v_cmp_lt_i16_e32 vcc, 6, v10
	s_cbranch_vccz .LBB134_821
; %bb.820:
	s_lshl_b32 s0, s11, 24
	s_and_b32 s1, s0, 0x80000000
	s_and_b32 s0, s0, 0x7f000000
	s_flbit_i32_b32 s2, s0
	s_min_u32 s2, s2, 32
	v_sub_u32_e64 v2, s2, 4 clamp
	v_readfirstlane_b32 s3, v2
	s_lshl_b32 s4, s0, s3
	s_add_i32 s2, s0, 0x1000000
	s_lshr_b32 s4, s4, 4
	s_lshl_b32 s3, s3, 23
	s_ashr_i32 s2, s2, 8
	s_sub_i32 s3, s4, s3
	s_and_b32 s2, s2, 0x7f800000
	s_add_i32 s3, s3, 0x3c000000
	s_or_b32 s2, s3, s2
	s_cmp_lg_u32 s0, 0
	s_cselect_b32 s0, s2, 0
	s_or_b32 s0, s0, s1
	v_cvt_f64_f32_e32 v[2:3], s0
	global_store_dwordx2 v[0:1], v[2:3], off
	s_mov_b64 s[0:1], 0
.LBB134_821:
	s_andn2_b64 vcc, exec, s[0:1]
	s_cbranch_vccnz .LBB134_823
; %bb.822:
	s_lshl_b32 s0, s11, 24
	s_and_b32 s1, s0, 0x80000000
	s_and_b32 s0, s0, 0x7f000000
	s_flbit_i32_b32 s2, s0
	s_min_u32 s2, s2, 32
	v_sub_u32_e64 v2, s2, 4 clamp
	v_readfirstlane_b32 s3, v2
	s_lshl_b32 s4, s0, s3
	s_add_i32 s2, s0, 0x1000000
	s_lshr_b32 s4, s4, 4
	s_lshl_b32 s3, s3, 23
	s_ashr_i32 s2, s2, 8
	s_sub_i32 s3, s4, s3
	s_and_b32 s2, s2, 0x7f800000
	s_add_i32 s3, s3, 0x3c000000
	s_or_b32 s2, s3, s2
	s_cmp_lg_u32 s0, 0
	s_cselect_b32 s0, s2, 0
	s_or_b32 s0, s0, s1
	v_mov_b32_e32 v2, s0
	global_store_dword v[0:1], v2, off
.LBB134_823:
	s_mov_b64 s[0:1], 0
.LBB134_824:
	s_andn2_b64 vcc, exec, s[0:1]
	s_cbranch_vccnz .LBB134_826
; %bb.825:
	s_lshl_b32 s0, s11, 24
	s_and_b32 s1, s0, 0x80000000
	s_and_b32 s0, s0, 0x7f000000
	s_flbit_i32_b32 s2, s0
	s_min_u32 s2, s2, 32
	v_sub_u32_e64 v2, s2, 4 clamp
	v_readfirstlane_b32 s3, v2
	s_lshl_b32 s4, s0, s3
	s_add_i32 s2, s0, 0x1000000
	s_lshr_b32 s4, s4, 4
	s_lshl_b32 s3, s3, 23
	s_ashr_i32 s2, s2, 8
	s_sub_i32 s3, s4, s3
	s_and_b32 s2, s2, 0x7f800000
	s_add_i32 s3, s3, 0x3c000000
	s_or_b32 s2, s3, s2
	s_cmp_lg_u32 s0, 0
	s_cselect_b32 s0, s2, 0
	s_or_b32 s0, s0, s1
	v_cvt_f16_f32_e32 v2, s0
	global_store_short v[0:1], v2, off
.LBB134_826:
	s_mov_b64 s[0:1], 0
.LBB134_827:
	s_andn2_b64 vcc, exec, s[0:1]
	s_cbranch_vccnz .LBB134_843
; %bb.828:
	v_cmp_gt_i16_e32 vcc, 2, v10
	s_mov_b64 s[0:1], -1
	s_cbranch_vccnz .LBB134_838
; %bb.829:
	v_cmp_gt_i16_e32 vcc, 3, v10
	s_cbranch_vccnz .LBB134_835
; %bb.830:
	v_cmp_lt_i16_e32 vcc, 3, v10
	s_cbranch_vccz .LBB134_832
; %bb.831:
	s_lshl_b32 s0, s11, 24
	s_and_b32 s1, s0, 0x80000000
	s_and_b32 s0, s0, 0x7f000000
	s_flbit_i32_b32 s2, s0
	s_min_u32 s2, s2, 32
	v_sub_u32_e64 v2, s2, 4 clamp
	v_readfirstlane_b32 s3, v2
	s_lshl_b32 s4, s0, s3
	s_add_i32 s2, s0, 0x1000000
	s_lshr_b32 s4, s4, 4
	s_lshl_b32 s3, s3, 23
	s_ashr_i32 s2, s2, 8
	s_sub_i32 s3, s4, s3
	s_and_b32 s2, s2, 0x7f800000
	s_add_i32 s3, s3, 0x3c000000
	s_or_b32 s2, s3, s2
	s_cmp_lg_u32 s0, 0
	s_cselect_b32 s0, s2, 0
	s_or_b32 s0, s0, s1
	v_trunc_f32_e32 v2, s0
	s_mov_b32 s0, 0x2f800000
	v_mul_f32_e64 v3, |v2|, s0
	v_floor_f32_e32 v3, v3
	s_mov_b32 s0, 0xcf800000
	v_fma_f32 v4, v3, s0, |v2|
	v_cvt_u32_f32_e32 v4, v4
	v_cvt_u32_f32_e32 v3, v3
	v_ashrrev_i32_e32 v5, 31, v2
	s_mov_b64 s[0:1], 0
	v_xor_b32_e32 v2, v4, v5
	v_xor_b32_e32 v3, v3, v5
	v_sub_co_u32_e32 v2, vcc, v2, v5
	v_subb_co_u32_e32 v3, vcc, v3, v5, vcc
	global_store_dwordx2 v[0:1], v[2:3], off
.LBB134_832:
	s_andn2_b64 vcc, exec, s[0:1]
	s_cbranch_vccnz .LBB134_834
; %bb.833:
	s_lshl_b32 s0, s11, 24
	s_and_b32 s1, s0, 0x80000000
	s_and_b32 s0, s0, 0x7f000000
	s_flbit_i32_b32 s2, s0
	s_min_u32 s2, s2, 32
	v_sub_u32_e64 v2, s2, 4 clamp
	v_readfirstlane_b32 s3, v2
	s_lshl_b32 s4, s0, s3
	s_add_i32 s2, s0, 0x1000000
	s_lshr_b32 s4, s4, 4
	s_lshl_b32 s3, s3, 23
	s_ashr_i32 s2, s2, 8
	s_sub_i32 s3, s4, s3
	s_and_b32 s2, s2, 0x7f800000
	s_add_i32 s3, s3, 0x3c000000
	s_or_b32 s2, s3, s2
	s_cmp_lg_u32 s0, 0
	s_cselect_b32 s0, s2, 0
	s_or_b32 s0, s0, s1
	v_cvt_i32_f32_e32 v2, s0
	global_store_dword v[0:1], v2, off
.LBB134_834:
	s_mov_b64 s[0:1], 0
.LBB134_835:
	s_andn2_b64 vcc, exec, s[0:1]
	s_cbranch_vccnz .LBB134_837
; %bb.836:
	s_lshl_b32 s0, s11, 24
	s_and_b32 s1, s0, 0x80000000
	s_and_b32 s0, s0, 0x7f000000
	s_flbit_i32_b32 s2, s0
	s_min_u32 s2, s2, 32
	v_sub_u32_e64 v2, s2, 4 clamp
	v_readfirstlane_b32 s3, v2
	s_lshl_b32 s4, s0, s3
	s_add_i32 s2, s0, 0x1000000
	s_lshr_b32 s4, s4, 4
	s_lshl_b32 s3, s3, 23
	s_ashr_i32 s2, s2, 8
	s_sub_i32 s3, s4, s3
	s_and_b32 s2, s2, 0x7f800000
	s_add_i32 s3, s3, 0x3c000000
	s_or_b32 s2, s3, s2
	s_cmp_lg_u32 s0, 0
	s_cselect_b32 s0, s2, 0
	s_or_b32 s0, s0, s1
	v_cvt_i32_f32_e32 v2, s0
	global_store_short v[0:1], v2, off
.LBB134_837:
	s_mov_b64 s[0:1], 0
.LBB134_838:
	s_andn2_b64 vcc, exec, s[0:1]
	s_cbranch_vccnz .LBB134_843
; %bb.839:
	v_cmp_lt_i16_e32 vcc, 0, v10
	s_mov_b64 s[0:1], -1
	s_cbranch_vccz .LBB134_841
; %bb.840:
	s_lshl_b32 s0, s11, 24
	s_and_b32 s1, s0, 0x80000000
	s_and_b32 s0, s0, 0x7f000000
	s_flbit_i32_b32 s2, s0
	s_min_u32 s2, s2, 32
	v_sub_u32_e64 v2, s2, 4 clamp
	v_readfirstlane_b32 s3, v2
	s_lshl_b32 s4, s0, s3
	s_add_i32 s2, s0, 0x1000000
	s_lshr_b32 s4, s4, 4
	s_lshl_b32 s3, s3, 23
	s_ashr_i32 s2, s2, 8
	s_sub_i32 s3, s4, s3
	s_and_b32 s2, s2, 0x7f800000
	s_add_i32 s3, s3, 0x3c000000
	s_or_b32 s2, s3, s2
	s_cmp_lg_u32 s0, 0
	s_cselect_b32 s0, s2, 0
	s_or_b32 s0, s0, s1
	v_cvt_i32_f32_e32 v2, s0
	s_mov_b64 s[0:1], 0
	global_store_byte v[0:1], v2, off
.LBB134_841:
	s_andn2_b64 vcc, exec, s[0:1]
	s_cbranch_vccnz .LBB134_843
; %bb.842:
	s_lshl_b32 s0, s11, 24
	s_and_b32 s1, s0, 0x80000000
	s_and_b32 s0, s0, 0x7f000000
	s_flbit_i32_b32 s2, s0
	s_min_u32 s2, s2, 32
	v_sub_u32_e64 v2, s2, 4 clamp
	v_readfirstlane_b32 s3, v2
	s_lshl_b32 s4, s0, s3
	s_add_i32 s2, s0, 0x1000000
	s_lshr_b32 s4, s4, 4
	s_lshl_b32 s3, s3, 23
	s_ashr_i32 s2, s2, 8
	s_sub_i32 s3, s4, s3
	s_and_b32 s2, s2, 0x7f800000
	s_add_i32 s3, s3, 0x3c000000
	s_or_b32 s2, s3, s2
	s_cmp_lg_u32 s0, 0
	s_cselect_b32 s0, s2, 0
	s_or_b32 s0, s0, s1
	v_trunc_f32_e32 v2, s0
	s_mov_b32 s0, 0x2f800000
	v_mul_f32_e64 v3, |v2|, s0
	v_floor_f32_e32 v3, v3
	s_mov_b32 s0, 0xcf800000
	v_fma_f32 v3, v3, s0, |v2|
	v_cvt_u32_f32_e32 v3, v3
	v_ashrrev_i32_e32 v2, 31, v2
	v_xor_b32_e32 v3, v3, v2
	v_sub_u32_e32 v2, v3, v2
	global_store_byte v[0:1], v2, off
	s_endpgm
.LBB134_843:
	s_endpgm
.LBB134_844:
	s_trap 2
	s_or_b64 s[6:7], s[6:7], exec
	s_cbranch_execz .LBB134_762
	s_branch .LBB134_763
.LBB134_845:
	s_mov_b64 s[12:13], -1
	s_mov_b64 s[8:9], 0
                                        ; implicit-def: $sgpr14
.LBB134_846:
	s_andn2_b64 vcc, exec, s[12:13]
	v_mov_b32_e32 v2, s14
                                        ; implicit-def: $sgpr12
	s_cbranch_vccnz .LBB134_848
; %bb.847:
	v_mov_b32_e32 v2, 0x42800000
	v_add_f32_e64 v2, |s10|, v2
	v_and_b32_e32 v2, 0xff, v2
	s_mov_b32 s12, 0
	v_cmp_ne_u32_e64 s[8:9], 0, v2
.LBB134_848:
	s_andn2_b64 vcc, exec, s[8:9]
	v_mov_b32_e32 v3, s12
	s_cbranch_vccnz .LBB134_850
; %bb.849:
	s_lshr_b32 s8, s10, 24
	s_and_b32 s8, s8, 0x80
	v_or_b32_e32 v3, s8, v2
.LBB134_850:
	s_mov_b64 s[8:9], 0
	global_store_byte v[0:1], v3, off
.LBB134_851:
	s_and_b64 vcc, exec, s[8:9]
	s_cbranch_vccz .LBB134_853
; %bb.852:
	v_mov_b32_e32 v2, s11
	global_store_byte v[0:1], v2, off
.LBB134_853:
	s_mov_b64 s[8:9], 0
.LBB134_854:
	s_andn2_b64 vcc, exec, s[8:9]
	s_cbranch_vccnz .LBB134_866
; %bb.855:
	s_lshl_b32 s8, s11, 24
	s_and_b32 s9, s8, 0x80000000
	s_and_b32 s8, s8, 0x7f000000
	s_flbit_i32_b32 s10, s8
	s_min_u32 s10, s10, 32
	v_sub_u32_e64 v2, s10, 4 clamp
	v_readfirstlane_b32 s12, v2
	s_lshl_b32 s13, s8, s12
	s_add_i32 s10, s8, 0x1000000
	s_lshr_b32 s13, s13, 4
	s_lshl_b32 s12, s12, 23
	s_ashr_i32 s10, s10, 8
	s_sub_i32 s12, s13, s12
	s_and_b32 s10, s10, 0x7f800000
	s_add_i32 s12, s12, 0x3c000000
	s_or_b32 s10, s12, s10
	s_cmp_lg_u32 s8, 0
	s_cselect_b32 s8, s10, 0
	s_or_b32 s10, s8, s9
	s_and_b32 s12, s10, 0x7fffffff
	s_cmp_lt_u32 s12, 0x47800000
	s_cbranch_scc0 .LBB134_858
; %bb.856:
	s_cmp_gt_u32 s12, 0x387fffff
	s_cbranch_scc0 .LBB134_859
; %bb.857:
	s_bfe_u32 s8, s8, 0x10015
	s_add_i32 s8, s10, s8
	s_add_i32 s8, s8, 0x80fffff
	s_lshr_b32 s13, s8, 21
	s_mov_b64 s[8:9], 0
	s_branch .LBB134_860
.LBB134_858:
	s_mov_b64 s[8:9], -1
                                        ; implicit-def: $vgpr2
	s_branch .LBB134_863
.LBB134_859:
	s_mov_b64 s[8:9], -1
                                        ; implicit-def: $sgpr13
.LBB134_860:
	s_andn2_b64 vcc, exec, s[8:9]
	v_mov_b32_e32 v2, s13
	s_cbranch_vccnz .LBB134_862
; %bb.861:
	v_mov_b32_e32 v2, 0x43000000
	v_add_f32_e64 v2, |s10|, v2
.LBB134_862:
	s_mov_b64 s[8:9], 0
.LBB134_863:
	s_andn2_b64 vcc, exec, s[8:9]
	s_cbranch_vccnz .LBB134_865
; %bb.864:
	s_cmp_gt_u32 s12, 0x7f800000
	s_movk_i32 s8, 0x7f
	s_cselect_b32 s8, s8, 0x7c
	v_mov_b32_e32 v2, s8
.LBB134_865:
	s_lshr_b32 s8, s10, 24
	s_and_b32 s8, s8, 0x80
	v_or_b32_e32 v2, s8, v2
	global_store_byte v[0:1], v2, off
.LBB134_866:
	s_mov_b64 s[8:9], 0
.LBB134_867:
	s_andn2_b64 vcc, exec, s[8:9]
	s_mov_b64 s[8:9], 0
	s_cbranch_vccnz .LBB134_874
; %bb.868:
	v_cmp_lt_i16_e32 vcc, 14, v10
	s_mov_b64 s[12:13], -1
	s_cbranch_vccz .LBB134_872
; %bb.869:
	v_cmp_eq_u16_e32 vcc, 15, v10
	s_mov_b64 s[0:1], -1
	s_cbranch_vccz .LBB134_871
; %bb.870:
	s_lshl_b32 s0, s11, 24
	s_and_b32 s1, s0, 0x80000000
	s_and_b32 s0, s0, 0x7f000000
	s_flbit_i32_b32 s8, s0
	s_min_u32 s8, s8, 32
	v_sub_u32_e64 v2, s8, 4 clamp
	v_readfirstlane_b32 s9, v2
	s_lshl_b32 s10, s0, s9
	s_add_i32 s8, s0, 0x1000000
	s_lshr_b32 s10, s10, 4
	s_lshl_b32 s9, s9, 23
	s_ashr_i32 s8, s8, 8
	s_sub_i32 s9, s10, s9
	s_and_b32 s8, s8, 0x7f800000
	s_add_i32 s9, s9, 0x3c000000
	s_or_b32 s8, s9, s8
	s_cmp_lg_u32 s0, 0
	s_cselect_b32 s0, s8, 0
	s_or_b32 s1, s0, s1
	s_bfe_u32 s0, s0, 0x10010
	s_add_i32 s0, s1, s0
	s_addk_i32 s0, 0x7fff
	s_lshr_b32 s8, s0, 16
	v_cmp_o_f32_e64 s[0:1], s1, s1
	s_and_b64 s[0:1], s[0:1], exec
	s_cselect_b32 s0, s8, 0x7fc0
	v_mov_b32_e32 v2, s0
	global_store_short v[0:1], v2, off
	s_mov_b64 s[0:1], 0
.LBB134_871:
	s_mov_b64 s[12:13], 0
.LBB134_872:
	s_mov_b64 s[8:9], 0
	s_and_b64 vcc, exec, s[12:13]
	s_cbranch_vccz .LBB134_874
; %bb.873:
	v_cmp_ne_u16_e64 s[0:1], 11, v10
	s_mov_b64 s[8:9], -1
.LBB134_874:
	s_and_b64 vcc, exec, s[0:1]
	s_cbranch_vccnz .LBB134_876
.LBB134_875:
	s_mov_b64 s[0:1], 0
	s_branch .LBB134_803
.LBB134_876:
	s_mov_b64 s[8:9], 0
	s_or_b64 s[6:7], s[6:7], exec
	s_trap 2
	s_branch .LBB134_875
	.section	.rodata,"a",@progbits
	.p2align	6, 0x0
	.amdhsa_kernel _ZN2at6native32elementwise_kernel_manual_unrollILi128ELi4EZNS0_15gpu_kernel_implINS0_11FillFunctorIN3c1013Float8_e4m3fnEEEEEvRNS_18TensorIteratorBaseERKT_EUlibE_EEviT1_
		.amdhsa_group_segment_fixed_size 0
		.amdhsa_private_segment_fixed_size 0
		.amdhsa_kernarg_size 24
		.amdhsa_user_sgpr_count 6
		.amdhsa_user_sgpr_private_segment_buffer 1
		.amdhsa_user_sgpr_dispatch_ptr 0
		.amdhsa_user_sgpr_queue_ptr 0
		.amdhsa_user_sgpr_kernarg_segment_ptr 1
		.amdhsa_user_sgpr_dispatch_id 0
		.amdhsa_user_sgpr_flat_scratch_init 0
		.amdhsa_user_sgpr_kernarg_preload_length 0
		.amdhsa_user_sgpr_kernarg_preload_offset 0
		.amdhsa_user_sgpr_private_segment_size 0
		.amdhsa_uses_dynamic_stack 0
		.amdhsa_system_sgpr_private_segment_wavefront_offset 0
		.amdhsa_system_sgpr_workgroup_id_x 1
		.amdhsa_system_sgpr_workgroup_id_y 0
		.amdhsa_system_sgpr_workgroup_id_z 0
		.amdhsa_system_sgpr_workgroup_info 0
		.amdhsa_system_vgpr_workitem_id 0
		.amdhsa_next_free_vgpr 19
		.amdhsa_next_free_sgpr 55
		.amdhsa_accum_offset 20
		.amdhsa_reserve_vcc 1
		.amdhsa_reserve_flat_scratch 0
		.amdhsa_float_round_mode_32 0
		.amdhsa_float_round_mode_16_64 0
		.amdhsa_float_denorm_mode_32 3
		.amdhsa_float_denorm_mode_16_64 3
		.amdhsa_dx10_clamp 1
		.amdhsa_ieee_mode 1
		.amdhsa_fp16_overflow 0
		.amdhsa_tg_split 0
		.amdhsa_exception_fp_ieee_invalid_op 0
		.amdhsa_exception_fp_denorm_src 0
		.amdhsa_exception_fp_ieee_div_zero 0
		.amdhsa_exception_fp_ieee_overflow 0
		.amdhsa_exception_fp_ieee_underflow 0
		.amdhsa_exception_fp_ieee_inexact 0
		.amdhsa_exception_int_div_zero 0
	.end_amdhsa_kernel
	.section	.text._ZN2at6native32elementwise_kernel_manual_unrollILi128ELi4EZNS0_15gpu_kernel_implINS0_11FillFunctorIN3c1013Float8_e4m3fnEEEEEvRNS_18TensorIteratorBaseERKT_EUlibE_EEviT1_,"axG",@progbits,_ZN2at6native32elementwise_kernel_manual_unrollILi128ELi4EZNS0_15gpu_kernel_implINS0_11FillFunctorIN3c1013Float8_e4m3fnEEEEEvRNS_18TensorIteratorBaseERKT_EUlibE_EEviT1_,comdat
.Lfunc_end134:
	.size	_ZN2at6native32elementwise_kernel_manual_unrollILi128ELi4EZNS0_15gpu_kernel_implINS0_11FillFunctorIN3c1013Float8_e4m3fnEEEEEvRNS_18TensorIteratorBaseERKT_EUlibE_EEviT1_, .Lfunc_end134-_ZN2at6native32elementwise_kernel_manual_unrollILi128ELi4EZNS0_15gpu_kernel_implINS0_11FillFunctorIN3c1013Float8_e4m3fnEEEEEvRNS_18TensorIteratorBaseERKT_EUlibE_EEviT1_
                                        ; -- End function
	.section	.AMDGPU.csdata,"",@progbits
; Kernel info:
; codeLenInByte = 20184
; NumSgprs: 59
; NumVgprs: 19
; NumAgprs: 0
; TotalNumVgprs: 19
; ScratchSize: 0
; MemoryBound: 0
; FloatMode: 240
; IeeeMode: 1
; LDSByteSize: 0 bytes/workgroup (compile time only)
; SGPRBlocks: 7
; VGPRBlocks: 2
; NumSGPRsForWavesPerEU: 59
; NumVGPRsForWavesPerEU: 19
; AccumOffset: 20
; Occupancy: 8
; WaveLimiterHint : 0
; COMPUTE_PGM_RSRC2:SCRATCH_EN: 0
; COMPUTE_PGM_RSRC2:USER_SGPR: 6
; COMPUTE_PGM_RSRC2:TRAP_HANDLER: 0
; COMPUTE_PGM_RSRC2:TGID_X_EN: 1
; COMPUTE_PGM_RSRC2:TGID_Y_EN: 0
; COMPUTE_PGM_RSRC2:TGID_Z_EN: 0
; COMPUTE_PGM_RSRC2:TIDIG_COMP_CNT: 0
; COMPUTE_PGM_RSRC3_GFX90A:ACCUM_OFFSET: 4
; COMPUTE_PGM_RSRC3_GFX90A:TG_SPLIT: 0
	.section	.text._ZN2at6native32elementwise_kernel_manual_unrollILi128ELi4EZNS0_15gpu_kernel_implINS0_11FillFunctorIN3c1013Float8_e4m3fnEEEEEvRNS_18TensorIteratorBaseERKT_EUlibE0_EEviT1_,"axG",@progbits,_ZN2at6native32elementwise_kernel_manual_unrollILi128ELi4EZNS0_15gpu_kernel_implINS0_11FillFunctorIN3c1013Float8_e4m3fnEEEEEvRNS_18TensorIteratorBaseERKT_EUlibE0_EEviT1_,comdat
	.protected	_ZN2at6native32elementwise_kernel_manual_unrollILi128ELi4EZNS0_15gpu_kernel_implINS0_11FillFunctorIN3c1013Float8_e4m3fnEEEEEvRNS_18TensorIteratorBaseERKT_EUlibE0_EEviT1_ ; -- Begin function _ZN2at6native32elementwise_kernel_manual_unrollILi128ELi4EZNS0_15gpu_kernel_implINS0_11FillFunctorIN3c1013Float8_e4m3fnEEEEEvRNS_18TensorIteratorBaseERKT_EUlibE0_EEviT1_
	.globl	_ZN2at6native32elementwise_kernel_manual_unrollILi128ELi4EZNS0_15gpu_kernel_implINS0_11FillFunctorIN3c1013Float8_e4m3fnEEEEEvRNS_18TensorIteratorBaseERKT_EUlibE0_EEviT1_
	.p2align	8
	.type	_ZN2at6native32elementwise_kernel_manual_unrollILi128ELi4EZNS0_15gpu_kernel_implINS0_11FillFunctorIN3c1013Float8_e4m3fnEEEEEvRNS_18TensorIteratorBaseERKT_EUlibE0_EEviT1_,@function
_ZN2at6native32elementwise_kernel_manual_unrollILi128ELi4EZNS0_15gpu_kernel_implINS0_11FillFunctorIN3c1013Float8_e4m3fnEEEEEvRNS_18TensorIteratorBaseERKT_EUlibE0_EEviT1_: ; @_ZN2at6native32elementwise_kernel_manual_unrollILi128ELi4EZNS0_15gpu_kernel_implINS0_11FillFunctorIN3c1013Float8_e4m3fnEEEEEvRNS_18TensorIteratorBaseERKT_EUlibE0_EEviT1_
; %bb.0:
	s_load_dword s84, s[4:5], 0x0
	s_load_dword s33, s[4:5], 0x8
	s_or_b32 s4, s4, 8
	v_lshl_or_b32 v13, s6, 9, v0
	v_or_b32_e32 v9, 0x180, v13
	s_waitcnt lgkmcnt(0)
	v_cmp_le_i32_e32 vcc, s84, v9
	s_add_i32 s74, s33, -1
	s_cmp_gt_u32 s74, 1
	s_cselect_b64 s[30:31], -1, 0
	s_mov_b64 s[28:29], 0
	s_mov_b64 s[6:7], 0
	s_and_saveexec_b64 s[0:1], vcc
	s_xor_b64 s[34:35], exec, s[0:1]
	s_cbranch_execz .LBB135_462
; %bb.1:
	s_cmp_lg_u32 s33, 0
	s_cselect_b64 s[58:59], -1, 0
	s_add_u32 s56, s4, 0xc4
	s_load_dwordx2 s[50:51], s[4:5], 0xc4
	s_load_dwordx2 s[48:49], s[4:5], 0x108
	s_load_dword s76, s[4:5], 0x110
	s_load_dwordx4 s[16:19], s[4:5], 0x4
	s_load_dwordx2 s[52:53], s[4:5], 0x14
	s_addc_u32 s57, s5, 0
	s_min_u32 s85, s74, 15
	s_cmp_gt_u32 s33, 1
	s_cselect_b64 s[54:55], -1, 0
	s_waitcnt lgkmcnt(0)
	s_lshl_b32 s0, s76, 24
	s_and_b32 s2, s0, 0x80000000
	s_and_b32 s0, s0, 0x7f000000
	s_flbit_i32_b32 s1, s0
	s_min_u32 s1, s1, 32
	v_sub_u32_e64 v0, s1, 4 clamp
	s_add_i32 s1, s0, 0x1000000
	s_ashr_i32 s1, s1, 8
	s_and_b32 s12, s1, 0x7f800000
	v_readfirstlane_b32 s1, v0
	s_lshl_b32 s3, s0, s1
	s_lshr_b32 s3, s3, 4
	s_lshl_b32 s1, s1, 23
	s_sub_i32 s1, s3, s1
	s_add_i32 s13, s1, 0x3c000000
	s_or_b32 s3, s13, s12
	s_cmp_lg_u32 s0, 0
	s_cselect_b64 s[8:9], -1, 0
	s_and_b64 s[0:1], s[8:9], exec
	s_cselect_b32 s10, s3, 0
	s_or_b32 s75, s10, s2
	s_lshr_b32 s11, s10, 23
	s_cmpk_eq_i32 s11, 0xff
	s_cselect_b64 s[6:7], -1, 0
	s_bitcmp1_b32 s10, 22
	s_cselect_b64 s[0:1], -1, 0
	s_and_b32 s2, s10, 0x3fffff
	s_or_b32 s2, s11, s2
	v_trunc_f32_e32 v2, s75
	s_cmp_lg_u32 s2, 0
	v_mul_f32_e32 v0, 0x2f800000, v2
	s_cselect_b64 s[2:3], -1, 0
	v_floor_f32_e32 v0, v0
	v_mov_b32_e32 v1, v2
	s_and_b64 s[0:1], s[0:1], s[2:3]
	v_fmac_f32_e32 v1, 0xcf800000, v0
	v_cvt_u32_f32_e32 v7, v0
	v_cndmask_b32_e64 v0, 0, 1, s[0:1]
	v_add_u32_e32 v18, s11, v0
	s_and_b32 s11, s75, 0x7fffffff
	s_cmp_lt_u32 s11, 0x43800000
	s_cselect_b64 s[44:45], -1, 0
	s_cmp_gt_u32 s11, 0x3bffffff
	s_cselect_b64 s[2:3], -1, 0
	s_bfe_u32 s0, s10, 0x10014
	s_add_i32 s0, s75, s0
	v_mov_b32_e32 v0, 0x46000000
	s_add_i32 s0, s0, 0x487ffff
	v_add_f32_e64 v16, |s75|, v0
	s_lshr_b32 s83, s0, 20
	v_readfirstlane_b32 s0, v16
	s_and_b32 s0, s0, 0xff
	s_cmp_lg_u32 s0, 0
	s_cselect_b64 s[46:47], -1, 0
	s_lshr_b32 s0, s75, 24
	s_and_b32 s78, s0, 0x80
	s_cmp_gt_u32 s11, 0x477fffff
	s_cselect_b64 s[36:37], -1, 0
	s_cmp_lt_u32 s11, 0x47800000
	s_cselect_b64 s[40:41], -1, 0
	s_cmp_gt_u32 s11, 0x37ffffff
	s_cselect_b64 s[0:1], -1, 0
	s_bfe_u32 s20, s10, 0x10015
	s_add_i32 s20, s75, s20
	v_mov_b32_e32 v0, 0x42800000
	s_add_i32 s21, s20, 0x88fffff
	v_add_f32_e64 v15, |s75|, v0
	s_lshr_b32 s82, s21, 21
	v_readfirstlane_b32 s21, v15
	s_and_b32 s21, s21, 0xff
	s_cmp_lg_u32 s21, 0
	s_cselect_b64 s[42:43], -1, 0
	s_cmp_lt_u32 s11, 0x38800000
	s_cselect_b64 s[38:39], -1, 0
	s_add_i32 s20, s20, 0x80fffff
	s_lshr_b32 s79, s20, 21
	s_mov_b32 s14, 0x2f800000
	s_cmp_gt_u32 s11, 0x7f800000
	s_movk_i32 s11, 0x7f
	s_cselect_b32 s81, s11, 0x7c
	s_bfe_u32 s10, s10, 0x10010
	v_mul_f32_e64 v3, |v2|, s14
	s_mov_b32 s15, 0xcf800000
	s_add_i32 s10, s75, s10
	v_floor_f32_e32 v3, v3
	s_addk_i32 s10, 0x7fff
	v_fma_f32 v4, v3, s15, |v2|
	s_lshr_b32 s20, s10, 16
	v_cmp_o_f32_e64 s[10:11], s75, s75
	v_cvt_u32_f32_e32 v4, v4
	s_and_b64 s[10:11], s[10:11], exec
	v_cvt_u32_f32_e32 v3, v3
	s_cselect_b32 s77, s20, 0x7fc0
	s_and_b32 s10, s13, 0x7ff00000
	s_or_b32 s10, s10, s12
	v_ashrrev_i32_e32 v2, 31, v2
	v_cvt_u32_f32_e32 v6, v1
	v_cvt_u32_f32_e32 v17, s75
	s_cmp_lg_u32 s10, 0
	v_cvt_f16_f32_e32 v12, s75
	v_xor_b32_e32 v4, v4, v2
	v_cvt_i32_f32_e32 v11, s75
	v_mov_b32_e32 v0, 0x43000000
	s_cselect_b64 s[10:11], -1, 0
	v_xor_b32_e32 v3, v3, v2
	v_sub_co_u32_e32 v4, vcc, v4, v2
	v_add_f32_e64 v0, |s75|, v0
	s_and_b64 s[8:9], s[8:9], s[10:11]
	v_subb_co_u32_e32 v5, vcc, v3, v2, vcc
	v_lshrrev_b16_e64 v10, 8, s76
	v_readfirstlane_b32 s80, v0
	v_cndmask_b32_e64 v14, 0, 1, s[8:9]
	v_cvt_f64_f32_e32 v[0:1], s75
	v_cmp_gt_i32_e32 vcc, s84, v13
	s_mov_b64 s[10:11], -1
	s_mov_b64 s[66:67], 0
	s_mov_b64 s[60:61], 0
	s_and_saveexec_b64 s[62:63], vcc
	s_cbranch_execz .LBB135_114
; %bb.2:
	s_andn2_b64 vcc, exec, s[30:31]
	s_cbranch_vccnz .LBB135_7
; %bb.3:
	s_andn2_b64 vcc, exec, s[58:59]
	s_cbranch_vccnz .LBB135_8
; %bb.4:
	s_add_i32 s69, s85, 1
	s_mov_b32 s68, 0
	s_cmp_eq_u32 s74, 2
	v_mov_b32_e32 v2, 0
	s_cbranch_scc1 .LBB135_9
; %bb.5:
	s_and_b32 s68, s69, 28
	s_mov_b32 s70, 0
	v_mov_b32_e32 v2, 0
	s_mov_b64 s[60:61], s[4:5]
	s_mov_b64 s[64:65], s[56:57]
	v_mov_b32_e32 v8, v13
.LBB135_6:                              ; =>This Inner Loop Header: Depth=1
	s_load_dwordx8 s[8:15], s[60:61], 0x4
	s_load_dwordx4 s[20:23], s[60:61], 0x24
	s_load_dwordx4 s[24:27], s[64:65], 0x0
	s_add_u32 s60, s60, 48
	s_addc_u32 s61, s61, 0
	s_waitcnt lgkmcnt(0)
	v_mul_hi_u32 v3, s9, v8
	v_add_u32_e32 v3, v8, v3
	v_lshrrev_b32_e32 v3, s10, v3
	v_mul_lo_u32 v9, v3, s8
	v_mul_hi_u32 v19, s12, v3
	v_sub_u32_e32 v8, v8, v9
	v_add_u32_e32 v9, v3, v19
	v_lshrrev_b32_e32 v9, s13, v9
	v_mul_lo_u32 v19, v9, s11
	v_mul_hi_u32 v20, s15, v9
	v_sub_u32_e32 v3, v3, v19
	v_add_u32_e32 v19, v9, v20
	v_mul_lo_u32 v8, v8, s24
	v_mul_lo_u32 v3, v3, s25
	v_lshrrev_b32_e32 v19, s20, v19
	v_add3_u32 v2, v8, v2, v3
	v_mul_hi_u32 v8, s22, v19
	v_add_u32_e32 v8, v19, v8
	v_mul_lo_u32 v3, v19, s14
	v_lshrrev_b32_e32 v8, s23, v8
	s_add_i32 s70, s70, 4
	v_sub_u32_e32 v3, v9, v3
	v_mul_lo_u32 v9, v8, s21
	s_add_u32 s64, s64, 16
	v_sub_u32_e32 v9, v19, v9
	s_addc_u32 s65, s65, 0
	v_mul_lo_u32 v3, v3, s26
	v_mul_lo_u32 v9, v9, s27
	s_cmp_lg_u32 s68, s70
	v_add3_u32 v2, v3, v2, v9
	s_cbranch_scc1 .LBB135_6
	s_branch .LBB135_10
.LBB135_7:
                                        ; implicit-def: $vgpr2
	s_branch .LBB135_14
.LBB135_8:
	v_mov_b32_e32 v2, 0
	s_branch .LBB135_13
.LBB135_9:
	v_mov_b32_e32 v8, v13
.LBB135_10:
	s_and_b32 s12, s69, 3
	s_cmp_eq_u32 s12, 0
	s_cbranch_scc1 .LBB135_13
; %bb.11:
	s_lshl_b32 s8, s68, 2
	s_add_u32 s8, s8, s4
	s_addc_u32 s9, s5, 0
	s_add_u32 s8, s8, 0xc4
	s_addc_u32 s9, s9, 0
	s_mul_i32 s10, s68, 12
	s_add_u32 s10, s4, s10
	s_addc_u32 s11, s5, 0
.LBB135_12:                             ; =>This Inner Loop Header: Depth=1
	s_load_dwordx2 s[14:15], s[10:11], 0x4
	s_load_dword s13, s[10:11], 0xc
	s_load_dword s20, s[8:9], 0x0
	s_add_u32 s10, s10, 12
	s_addc_u32 s11, s11, 0
	s_waitcnt lgkmcnt(0)
	v_mul_hi_u32 v3, s15, v8
	v_add_u32_e32 v3, v8, v3
	v_lshrrev_b32_e32 v3, s13, v3
	s_add_u32 s8, s8, 4
	v_mul_lo_u32 v9, v3, s14
	s_addc_u32 s9, s9, 0
	s_add_i32 s12, s12, -1
	v_sub_u32_e32 v9, v8, v9
	s_cmp_lg_u32 s12, 0
	v_mov_b32_e32 v8, v3
	v_mad_u64_u32 v[2:3], s[14:15], v9, s20, v[2:3]
	s_cbranch_scc1 .LBB135_12
.LBB135_13:
	s_cbranch_execnz .LBB135_16
.LBB135_14:
	v_mul_hi_u32 v2, s17, v13
	v_add_u32_e32 v2, v13, v2
	v_lshrrev_b32_e32 v3, s18, v2
	v_mul_lo_u32 v2, v3, s16
	v_sub_u32_e32 v2, v13, v2
	s_andn2_b64 vcc, exec, s[54:55]
	v_mul_lo_u32 v2, v2, s50
	s_cbranch_vccnz .LBB135_16
; %bb.15:
	v_mul_hi_u32 v8, s52, v3
	v_add_u32_e32 v8, v3, v8
	v_lshrrev_b32_e32 v8, s53, v8
	v_mul_lo_u32 v8, v8, s19
	v_sub_u32_e32 v3, v3, v8
	v_mad_u64_u32 v[2:3], s[8:9], v3, s51, v[2:3]
.LBB135_16:
	v_mov_b32_e32 v3, s49
	v_add_co_u32_e32 v8, vcc, s48, v2
	v_addc_co_u32_e32 v9, vcc, 0, v3, vcc
	v_cmp_gt_i16_e32 vcc, 11, v10
	s_cbranch_vccnz .LBB135_23
; %bb.17:
	v_cmp_lt_i16_e32 vcc, 25, v10
	s_cbranch_vccz .LBB135_26
; %bb.18:
	v_cmp_lt_i16_e32 vcc, 28, v10
	s_cbranch_vccz .LBB135_27
	;; [unrolled: 3-line block ×4, first 2 shown]
; %bb.21:
	v_cmp_eq_u16_e32 vcc, 46, v10
	s_mov_b64 s[12:13], 0
	s_mov_b64 s[8:9], -1
	s_mov_b64 s[10:11], 0
	s_cbranch_vccz .LBB135_30
; %bb.22:
	v_mov_b32_e32 v2, s77
	global_store_dword v[8:9], v2, off
	s_mov_b64 s[10:11], -1
	s_mov_b64 s[8:9], 0
	s_branch .LBB135_30
.LBB135_23:
	s_mov_b64 s[8:9], 0
	s_mov_b64 s[10:11], 0
	s_cbranch_execnz .LBB135_74
.LBB135_24:
	s_andn2_b64 vcc, exec, s[10:11]
	s_cbranch_vccnz .LBB135_112
.LBB135_25:
	v_add_u32_e32 v13, 0x80, v13
	s_mov_b64 s[10:11], -1
	s_branch .LBB135_113
.LBB135_26:
	s_mov_b64 s[8:9], 0
	s_mov_b64 s[10:11], 0
	s_cbranch_execnz .LBB135_52
	s_branch .LBB135_73
.LBB135_27:
	s_mov_b64 s[12:13], -1
	s_mov_b64 s[8:9], 0
	s_mov_b64 s[10:11], 0
	s_branch .LBB135_38
.LBB135_28:
	s_mov_b64 s[12:13], -1
	s_mov_b64 s[8:9], 0
	s_mov_b64 s[10:11], 0
	s_branch .LBB135_34
.LBB135_29:
	s_mov_b64 s[12:13], -1
	s_mov_b64 s[8:9], 0
	s_mov_b64 s[10:11], 0
.LBB135_30:
	s_and_b64 vcc, exec, s[12:13]
	s_cbranch_vccz .LBB135_33
; %bb.31:
	v_cmp_eq_u16_e32 vcc, 44, v10
	s_mov_b64 s[8:9], -1
	s_cbranch_vccz .LBB135_33
; %bb.32:
	v_mov_b32_e32 v2, 0xff
	v_cndmask_b32_e64 v2, v18, v2, s[6:7]
	global_store_byte v[8:9], v2, off
	s_mov_b64 s[10:11], -1
	s_mov_b64 s[8:9], 0
.LBB135_33:
	s_mov_b64 s[12:13], 0
.LBB135_34:
	s_and_b64 vcc, exec, s[12:13]
	s_cbranch_vccz .LBB135_37
; %bb.35:
	v_cmp_eq_u16_e32 vcc, 29, v10
	s_mov_b64 s[8:9], -1
	s_cbranch_vccz .LBB135_37
; %bb.36:
	global_store_dwordx2 v[8:9], v[6:7], off
	s_mov_b64 s[10:11], -1
	s_mov_b64 s[8:9], 0
.LBB135_37:
	s_mov_b64 s[12:13], 0
.LBB135_38:
	s_and_b64 vcc, exec, s[12:13]
	s_cbranch_vccz .LBB135_51
; %bb.39:
	v_cmp_gt_i16_e32 vcc, 27, v10
	s_mov_b64 s[10:11], -1
	s_cbranch_vccnz .LBB135_45
; %bb.40:
	v_cmp_lt_i16_e32 vcc, 27, v10
	s_cbranch_vccz .LBB135_42
; %bb.41:
	s_mov_b64 s[10:11], 0
	global_store_dword v[8:9], v17, off
.LBB135_42:
	s_andn2_b64 vcc, exec, s[10:11]
	s_cbranch_vccnz .LBB135_44
; %bb.43:
	global_store_short v[8:9], v17, off
.LBB135_44:
	s_mov_b64 s[10:11], 0
.LBB135_45:
	s_andn2_b64 vcc, exec, s[10:11]
	s_cbranch_vccnz .LBB135_50
; %bb.46:
	s_andn2_b64 vcc, exec, s[44:45]
	v_mov_b32_e32 v2, 0x80
	s_cbranch_vccnz .LBB135_49
; %bb.47:
	s_or_b64 s[10:11], s[2:3], s[46:47]
	s_andn2_b64 vcc, exec, s[10:11]
	v_mov_b32_e32 v2, 0
	s_cbranch_vccnz .LBB135_49
; %bb.48:
	v_mov_b32_e32 v2, s83
	v_cndmask_b32_e64 v2, v16, v2, s[2:3]
	v_or_b32_e32 v2, s78, v2
.LBB135_49:
	global_store_byte v[8:9], v2, off
.LBB135_50:
	s_mov_b64 s[10:11], -1
.LBB135_51:
	s_branch .LBB135_73
.LBB135_52:
	v_cmp_lt_i16_e32 vcc, 22, v10
	s_mov_b64 s[12:13], -1
	s_cbranch_vccz .LBB135_65
; %bb.53:
	v_cmp_gt_i16_e32 vcc, 24, v10
	s_mov_b64 s[10:11], -1
	s_cbranch_vccnz .LBB135_62
; %bb.54:
	v_cmp_lt_i16_e32 vcc, 24, v10
	s_cbranch_vccz .LBB135_59
; %bb.55:
	s_andn2_b64 vcc, exec, s[40:41]
	v_mov_b32_e32 v2, 0x80
	s_cbranch_vccnz .LBB135_58
; %bb.56:
	s_or_b64 s[10:11], s[0:1], s[42:43]
	s_andn2_b64 vcc, exec, s[10:11]
	v_mov_b32_e32 v2, 0
	s_cbranch_vccnz .LBB135_58
; %bb.57:
	v_mov_b32_e32 v2, s82
	v_cndmask_b32_e64 v2, v15, v2, s[0:1]
	v_or_b32_e32 v2, s78, v2
.LBB135_58:
	s_mov_b64 s[10:11], 0
	global_store_byte v[8:9], v2, off
.LBB135_59:
	s_and_b64 vcc, exec, s[10:11]
	s_cbranch_vccz .LBB135_61
; %bb.60:
	v_mov_b32_e32 v2, s76
	global_store_byte v[8:9], v2, off
.LBB135_61:
	s_mov_b64 s[10:11], 0
.LBB135_62:
	s_andn2_b64 vcc, exec, s[10:11]
	s_cbranch_vccnz .LBB135_64
; %bb.63:
	s_and_b64 s[10:11], s[38:39], exec
	s_cselect_b32 s12, s80, s79
	s_and_b64 s[10:11], s[36:37], exec
	s_cselect_b32 s10, s81, s12
	s_or_b32 s10, s10, s78
	v_mov_b32_e32 v2, s10
	global_store_byte v[8:9], v2, off
.LBB135_64:
	s_mov_b64 s[12:13], 0
	s_mov_b64 s[10:11], -1
.LBB135_65:
	s_andn2_b64 vcc, exec, s[12:13]
	s_cbranch_vccnz .LBB135_73
; %bb.66:
	v_cmp_lt_i16_e32 vcc, 14, v10
	s_mov_b64 s[12:13], -1
	s_cbranch_vccz .LBB135_70
; %bb.67:
	v_cmp_eq_u16_e32 vcc, 15, v10
	s_mov_b64 s[8:9], -1
	s_cbranch_vccz .LBB135_69
; %bb.68:
	v_mov_b32_e32 v2, s77
	global_store_short v[8:9], v2, off
	s_mov_b64 s[10:11], -1
	s_mov_b64 s[8:9], 0
.LBB135_69:
	s_mov_b64 s[12:13], 0
.LBB135_70:
	s_and_b64 vcc, exec, s[12:13]
	s_cbranch_vccz .LBB135_73
; %bb.71:
	v_cmp_eq_u16_e32 vcc, 11, v10
	s_mov_b64 s[8:9], -1
	s_cbranch_vccz .LBB135_73
; %bb.72:
	s_mov_b64 s[10:11], -1
	s_mov_b64 s[8:9], 0
	global_store_byte v[8:9], v14, off
.LBB135_73:
	s_branch .LBB135_24
.LBB135_74:
	v_cmp_gt_i16_e32 vcc, 5, v10
	s_mov_b64 s[10:11], -1
	s_cbranch_vccnz .LBB135_95
; %bb.75:
	v_cmp_gt_i16_e32 vcc, 8, v10
	s_cbranch_vccnz .LBB135_85
; %bb.76:
	v_cmp_gt_i16_e32 vcc, 9, v10
	s_cbranch_vccnz .LBB135_82
; %bb.77:
	v_cmp_lt_i16_e32 vcc, 9, v10
	s_cbranch_vccz .LBB135_79
; %bb.78:
	v_mov_b32_e32 v2, 0
	v_mov_b32_e32 v3, v2
	global_store_dwordx4 v[8:9], v[0:3], off
	s_mov_b64 s[10:11], 0
.LBB135_79:
	s_andn2_b64 vcc, exec, s[10:11]
	s_cbranch_vccnz .LBB135_81
; %bb.80:
	v_mov_b32_e32 v2, s75
	v_mov_b32_e32 v3, 0
	global_store_dwordx2 v[8:9], v[2:3], off
.LBB135_81:
	s_mov_b64 s[10:11], 0
.LBB135_82:
	s_andn2_b64 vcc, exec, s[10:11]
	s_cbranch_vccnz .LBB135_84
; %bb.83:
	global_store_dword v[8:9], v12, off
.LBB135_84:
	s_mov_b64 s[10:11], 0
.LBB135_85:
	s_andn2_b64 vcc, exec, s[10:11]
	s_cbranch_vccnz .LBB135_94
; %bb.86:
	v_cmp_gt_i16_e32 vcc, 6, v10
	s_mov_b64 s[10:11], -1
	s_cbranch_vccnz .LBB135_92
; %bb.87:
	v_cmp_lt_i16_e32 vcc, 6, v10
	s_cbranch_vccz .LBB135_89
; %bb.88:
	global_store_dwordx2 v[8:9], v[0:1], off
	s_mov_b64 s[10:11], 0
.LBB135_89:
	s_andn2_b64 vcc, exec, s[10:11]
	s_cbranch_vccnz .LBB135_91
; %bb.90:
	v_mov_b32_e32 v2, s75
	global_store_dword v[8:9], v2, off
.LBB135_91:
	s_mov_b64 s[10:11], 0
.LBB135_92:
	s_andn2_b64 vcc, exec, s[10:11]
	s_cbranch_vccnz .LBB135_94
; %bb.93:
	global_store_short v[8:9], v12, off
.LBB135_94:
	s_mov_b64 s[10:11], 0
.LBB135_95:
	s_andn2_b64 vcc, exec, s[10:11]
	s_cbranch_vccnz .LBB135_111
; %bb.96:
	v_cmp_gt_i16_e32 vcc, 2, v10
	s_mov_b64 s[10:11], -1
	s_cbranch_vccnz .LBB135_106
; %bb.97:
	v_cmp_gt_i16_e32 vcc, 3, v10
	s_cbranch_vccnz .LBB135_103
; %bb.98:
	v_cmp_lt_i16_e32 vcc, 3, v10
	s_cbranch_vccz .LBB135_100
; %bb.99:
	global_store_dwordx2 v[8:9], v[4:5], off
	s_mov_b64 s[10:11], 0
.LBB135_100:
	s_andn2_b64 vcc, exec, s[10:11]
	s_cbranch_vccnz .LBB135_102
; %bb.101:
	global_store_dword v[8:9], v11, off
.LBB135_102:
	s_mov_b64 s[10:11], 0
.LBB135_103:
	s_andn2_b64 vcc, exec, s[10:11]
	s_cbranch_vccnz .LBB135_105
; %bb.104:
	global_store_short v[8:9], v11, off
.LBB135_105:
	s_mov_b64 s[10:11], 0
.LBB135_106:
	s_andn2_b64 vcc, exec, s[10:11]
	s_cbranch_vccnz .LBB135_111
; %bb.107:
	v_cmp_lt_i16_e32 vcc, 0, v10
	s_mov_b64 s[10:11], -1
	s_cbranch_vccz .LBB135_109
; %bb.108:
	global_store_byte v[8:9], v11, off
	s_mov_b64 s[10:11], 0
.LBB135_109:
	s_andn2_b64 vcc, exec, s[10:11]
	s_cbranch_vccnz .LBB135_111
; %bb.110:
	global_store_byte v[8:9], v4, off
.LBB135_111:
	s_branch .LBB135_25
.LBB135_112:
	s_mov_b64 s[10:11], 0
                                        ; implicit-def: $vgpr13
.LBB135_113:
	s_and_b64 s[60:61], s[8:9], exec
	s_orn2_b64 s[10:11], s[10:11], exec
.LBB135_114:
	s_or_b64 exec, exec, s[62:63]
	s_mov_b64 s[8:9], 0
                                        ; implicit-def: $vgpr8_vgpr9
	s_and_saveexec_b64 s[62:63], s[10:11]
	s_cbranch_execz .LBB135_121
; %bb.115:
	v_cmp_gt_i32_e32 vcc, s84, v13
	s_mov_b64 s[8:9], -1
	s_mov_b64 s[64:65], s[60:61]
	s_and_saveexec_b64 s[66:67], vcc
	s_cbranch_execz .LBB135_232
; %bb.116:
	s_andn2_b64 vcc, exec, s[30:31]
	s_cbranch_vccnz .LBB135_124
; %bb.117:
	s_andn2_b64 vcc, exec, s[58:59]
	s_cbranch_vccnz .LBB135_125
; %bb.118:
	s_add_i32 s71, s85, 1
	s_mov_b32 s70, 0
	s_cmp_eq_u32 s74, 2
	v_mov_b32_e32 v2, 0
	s_cbranch_scc1 .LBB135_126
; %bb.119:
	s_and_b32 s70, s71, 28
	s_mov_b32 s72, 0
	v_mov_b32_e32 v2, 0
	s_mov_b64 s[64:65], s[4:5]
	s_mov_b64 s[68:69], s[56:57]
	v_mov_b32_e32 v8, v13
.LBB135_120:                            ; =>This Inner Loop Header: Depth=1
	s_load_dwordx8 s[8:15], s[64:65], 0x4
	s_load_dwordx4 s[20:23], s[64:65], 0x24
	s_load_dwordx4 s[24:27], s[68:69], 0x0
	s_add_u32 s64, s64, 48
	s_addc_u32 s65, s65, 0
	s_waitcnt lgkmcnt(0)
	v_mul_hi_u32 v3, s9, v8
	v_add_u32_e32 v3, v8, v3
	v_lshrrev_b32_e32 v3, s10, v3
	v_mul_lo_u32 v9, v3, s8
	v_mul_hi_u32 v19, s12, v3
	v_sub_u32_e32 v8, v8, v9
	v_add_u32_e32 v9, v3, v19
	v_lshrrev_b32_e32 v9, s13, v9
	v_mul_lo_u32 v19, v9, s11
	v_mul_hi_u32 v20, s15, v9
	v_sub_u32_e32 v3, v3, v19
	v_add_u32_e32 v19, v9, v20
	v_mul_lo_u32 v8, v8, s24
	v_mul_lo_u32 v3, v3, s25
	v_lshrrev_b32_e32 v19, s20, v19
	v_add3_u32 v2, v8, v2, v3
	v_mul_hi_u32 v8, s22, v19
	v_add_u32_e32 v8, v19, v8
	v_mul_lo_u32 v3, v19, s14
	v_lshrrev_b32_e32 v8, s23, v8
	s_add_i32 s72, s72, 4
	v_sub_u32_e32 v3, v9, v3
	v_mul_lo_u32 v9, v8, s21
	s_add_u32 s68, s68, 16
	v_sub_u32_e32 v9, v19, v9
	s_addc_u32 s69, s69, 0
	v_mul_lo_u32 v3, v3, s26
	v_mul_lo_u32 v9, v9, s27
	s_cmp_eq_u32 s70, s72
	v_add3_u32 v2, v3, v2, v9
	s_cbranch_scc0 .LBB135_120
	s_branch .LBB135_127
.LBB135_121:
	s_or_b64 exec, exec, s[62:63]
	s_mov_b64 s[0:1], 0
	s_and_saveexec_b64 s[2:3], s[60:61]
	s_cbranch_execnz .LBB135_422
.LBB135_122:
	s_or_b64 exec, exec, s[2:3]
	s_and_saveexec_b64 s[2:3], s[66:67]
	s_xor_b64 s[2:3], exec, s[2:3]
	s_cbranch_execz .LBB135_423
.LBB135_123:
	global_store_byte v[8:9], v14, off
	s_or_b64 exec, exec, s[2:3]
	s_and_saveexec_b64 s[2:3], s[8:9]
	s_xor_b64 s[2:3], exec, s[2:3]
	s_cbranch_execz .LBB135_461
	s_branch .LBB135_424
.LBB135_124:
                                        ; implicit-def: $vgpr2
	s_andn2_b64 vcc, exec, s[8:9]
	s_cbranch_vccz .LBB135_131
	s_branch .LBB135_133
.LBB135_125:
	v_mov_b32_e32 v2, 0
	s_branch .LBB135_130
.LBB135_126:
	v_mov_b32_e32 v8, v13
.LBB135_127:
	s_and_b32 s12, s71, 3
	s_cmp_eq_u32 s12, 0
	s_cbranch_scc1 .LBB135_130
; %bb.128:
	s_lshl_b32 s8, s70, 2
	s_add_u32 s8, s8, s4
	s_addc_u32 s9, s5, 0
	s_add_u32 s8, s8, 0xc4
	s_addc_u32 s9, s9, 0
	s_mul_i32 s10, s70, 12
	s_add_u32 s10, s4, s10
	s_addc_u32 s11, s5, 0
.LBB135_129:                            ; =>This Inner Loop Header: Depth=1
	s_load_dwordx2 s[14:15], s[10:11], 0x4
	s_load_dword s13, s[10:11], 0xc
	s_load_dword s20, s[8:9], 0x0
	s_add_u32 s10, s10, 12
	s_addc_u32 s11, s11, 0
	s_waitcnt lgkmcnt(0)
	v_mul_hi_u32 v3, s15, v8
	v_add_u32_e32 v3, v8, v3
	v_lshrrev_b32_e32 v3, s13, v3
	s_add_u32 s8, s8, 4
	v_mul_lo_u32 v9, v3, s14
	s_addc_u32 s9, s9, 0
	s_add_i32 s12, s12, -1
	v_sub_u32_e32 v9, v8, v9
	s_cmp_lg_u32 s12, 0
	v_mov_b32_e32 v8, v3
	v_mad_u64_u32 v[2:3], s[14:15], v9, s20, v[2:3]
	s_cbranch_scc1 .LBB135_129
.LBB135_130:
	s_cbranch_execnz .LBB135_133
.LBB135_131:
	v_mul_hi_u32 v2, s17, v13
	v_add_u32_e32 v2, v13, v2
	v_lshrrev_b32_e32 v3, s18, v2
	v_mul_lo_u32 v2, v3, s16
	v_sub_u32_e32 v2, v13, v2
	s_andn2_b64 vcc, exec, s[54:55]
	v_mul_lo_u32 v2, v2, s50
	s_cbranch_vccnz .LBB135_133
; %bb.132:
	v_mul_hi_u32 v8, s52, v3
	v_add_u32_e32 v8, v3, v8
	v_lshrrev_b32_e32 v8, s53, v8
	v_mul_lo_u32 v8, v8, s19
	v_sub_u32_e32 v3, v3, v8
	v_mad_u64_u32 v[2:3], s[8:9], v3, s51, v[2:3]
.LBB135_133:
	v_mov_b32_e32 v3, s49
	v_add_co_u32_e32 v8, vcc, s48, v2
	v_addc_co_u32_e32 v9, vcc, 0, v3, vcc
	v_cmp_gt_i16_e32 vcc, 11, v10
	s_cbranch_vccnz .LBB135_140
; %bb.134:
	v_cmp_lt_i16_e32 vcc, 25, v10
	s_cbranch_vccz .LBB135_143
; %bb.135:
	v_cmp_lt_i16_e32 vcc, 28, v10
	s_cbranch_vccz .LBB135_144
	;; [unrolled: 3-line block ×4, first 2 shown]
; %bb.138:
	v_cmp_eq_u16_e32 vcc, 46, v10
	s_mov_b64 s[12:13], 0
	s_mov_b64 s[8:9], -1
	s_mov_b64 s[10:11], 0
	s_cbranch_vccz .LBB135_147
; %bb.139:
	v_mov_b32_e32 v2, s77
	global_store_dword v[8:9], v2, off
	s_mov_b64 s[10:11], -1
	s_mov_b64 s[8:9], 0
	s_branch .LBB135_147
.LBB135_140:
	s_mov_b64 s[10:11], 0
	s_mov_b64 s[8:9], s[60:61]
	s_cbranch_execnz .LBB135_192
.LBB135_141:
	s_andn2_b64 vcc, exec, s[10:11]
	s_cbranch_vccnz .LBB135_230
.LBB135_142:
	v_add_u32_e32 v13, 0x80, v13
	s_mov_b64 s[10:11], -1
	s_branch .LBB135_231
.LBB135_143:
	s_mov_b64 s[12:13], -1
	s_mov_b64 s[10:11], 0
	s_mov_b64 s[8:9], s[60:61]
	s_branch .LBB135_169
.LBB135_144:
	s_mov_b64 s[12:13], -1
	s_mov_b64 s[10:11], 0
	s_mov_b64 s[8:9], s[60:61]
	s_branch .LBB135_155
.LBB135_145:
	s_mov_b64 s[12:13], -1
	s_mov_b64 s[10:11], 0
	s_mov_b64 s[8:9], s[60:61]
	s_branch .LBB135_151
.LBB135_146:
	s_mov_b64 s[12:13], -1
	s_mov_b64 s[10:11], 0
	s_mov_b64 s[8:9], s[60:61]
.LBB135_147:
	s_and_b64 vcc, exec, s[12:13]
	s_cbranch_vccz .LBB135_150
; %bb.148:
	v_cmp_eq_u16_e32 vcc, 44, v10
	s_mov_b64 s[8:9], -1
	s_cbranch_vccz .LBB135_150
; %bb.149:
	v_mov_b32_e32 v2, 0xff
	v_cndmask_b32_e64 v2, v18, v2, s[6:7]
	s_mov_b64 s[10:11], -1
	s_mov_b64 s[8:9], 0
	global_store_byte v[8:9], v2, off
.LBB135_150:
	s_mov_b64 s[12:13], 0
.LBB135_151:
	s_and_b64 vcc, exec, s[12:13]
	s_cbranch_vccz .LBB135_154
; %bb.152:
	v_cmp_eq_u16_e32 vcc, 29, v10
	s_mov_b64 s[8:9], -1
	s_cbranch_vccz .LBB135_154
; %bb.153:
	global_store_dwordx2 v[8:9], v[6:7], off
	s_mov_b64 s[10:11], -1
	s_mov_b64 s[8:9], 0
.LBB135_154:
	s_mov_b64 s[12:13], 0
.LBB135_155:
	s_and_b64 vcc, exec, s[12:13]
	s_cbranch_vccz .LBB135_168
; %bb.156:
	v_cmp_gt_i16_e32 vcc, 27, v10
	s_mov_b64 s[10:11], -1
	s_cbranch_vccnz .LBB135_162
; %bb.157:
	v_cmp_lt_i16_e32 vcc, 27, v10
	s_cbranch_vccz .LBB135_159
; %bb.158:
	s_mov_b64 s[10:11], 0
	global_store_dword v[8:9], v17, off
.LBB135_159:
	s_andn2_b64 vcc, exec, s[10:11]
	s_cbranch_vccnz .LBB135_161
; %bb.160:
	global_store_short v[8:9], v17, off
.LBB135_161:
	s_mov_b64 s[10:11], 0
.LBB135_162:
	s_andn2_b64 vcc, exec, s[10:11]
	s_cbranch_vccnz .LBB135_167
; %bb.163:
	s_andn2_b64 vcc, exec, s[44:45]
	v_mov_b32_e32 v2, 0x80
	s_cbranch_vccnz .LBB135_166
; %bb.164:
	s_or_b64 s[10:11], s[2:3], s[46:47]
	s_andn2_b64 vcc, exec, s[10:11]
	v_mov_b32_e32 v2, 0
	s_cbranch_vccnz .LBB135_166
; %bb.165:
	v_mov_b32_e32 v2, s83
	v_cndmask_b32_e64 v2, v16, v2, s[2:3]
	v_or_b32_e32 v2, s78, v2
.LBB135_166:
	global_store_byte v[8:9], v2, off
.LBB135_167:
	s_mov_b64 s[10:11], -1
.LBB135_168:
	s_mov_b64 s[12:13], 0
.LBB135_169:
	s_and_b64 vcc, exec, s[12:13]
	s_cbranch_vccz .LBB135_191
; %bb.170:
	v_cmp_lt_i16_e32 vcc, 22, v10
	s_mov_b64 s[12:13], -1
	s_cbranch_vccz .LBB135_183
; %bb.171:
	v_cmp_gt_i16_e32 vcc, 24, v10
	s_mov_b64 s[10:11], -1
	s_cbranch_vccnz .LBB135_180
; %bb.172:
	v_cmp_lt_i16_e32 vcc, 24, v10
	s_cbranch_vccz .LBB135_177
; %bb.173:
	s_andn2_b64 vcc, exec, s[40:41]
	v_mov_b32_e32 v2, 0x80
	s_cbranch_vccnz .LBB135_176
; %bb.174:
	s_or_b64 s[10:11], s[0:1], s[42:43]
	s_andn2_b64 vcc, exec, s[10:11]
	v_mov_b32_e32 v2, 0
	s_cbranch_vccnz .LBB135_176
; %bb.175:
	v_mov_b32_e32 v2, s82
	v_cndmask_b32_e64 v2, v15, v2, s[0:1]
	v_or_b32_e32 v2, s78, v2
.LBB135_176:
	s_mov_b64 s[10:11], 0
	global_store_byte v[8:9], v2, off
.LBB135_177:
	s_and_b64 vcc, exec, s[10:11]
	s_cbranch_vccz .LBB135_179
; %bb.178:
	v_mov_b32_e32 v2, s76
	global_store_byte v[8:9], v2, off
.LBB135_179:
	s_mov_b64 s[10:11], 0
.LBB135_180:
	s_andn2_b64 vcc, exec, s[10:11]
	s_cbranch_vccnz .LBB135_182
; %bb.181:
	s_and_b64 s[10:11], s[38:39], exec
	s_cselect_b32 s12, s80, s79
	s_and_b64 s[10:11], s[36:37], exec
	s_cselect_b32 s10, s81, s12
	s_or_b32 s10, s10, s78
	v_mov_b32_e32 v2, s10
	global_store_byte v[8:9], v2, off
.LBB135_182:
	s_mov_b64 s[12:13], 0
	s_mov_b64 s[10:11], -1
.LBB135_183:
	s_andn2_b64 vcc, exec, s[12:13]
	s_cbranch_vccnz .LBB135_191
; %bb.184:
	v_cmp_lt_i16_e32 vcc, 14, v10
	s_mov_b64 s[12:13], -1
	s_cbranch_vccz .LBB135_188
; %bb.185:
	v_cmp_eq_u16_e32 vcc, 15, v10
	s_mov_b64 s[8:9], -1
	s_cbranch_vccz .LBB135_187
; %bb.186:
	v_mov_b32_e32 v2, s77
	global_store_short v[8:9], v2, off
	s_mov_b64 s[10:11], -1
	s_mov_b64 s[8:9], 0
.LBB135_187:
	s_mov_b64 s[12:13], 0
.LBB135_188:
	s_and_b64 vcc, exec, s[12:13]
	s_cbranch_vccz .LBB135_191
; %bb.189:
	v_cmp_eq_u16_e32 vcc, 11, v10
	s_mov_b64 s[8:9], -1
	s_cbranch_vccz .LBB135_191
; %bb.190:
	s_mov_b64 s[10:11], -1
	s_mov_b64 s[8:9], 0
	global_store_byte v[8:9], v14, off
.LBB135_191:
	s_branch .LBB135_141
.LBB135_192:
	v_cmp_gt_i16_e32 vcc, 5, v10
	s_mov_b64 s[10:11], -1
	s_cbranch_vccnz .LBB135_213
; %bb.193:
	v_cmp_gt_i16_e32 vcc, 8, v10
	s_cbranch_vccnz .LBB135_203
; %bb.194:
	v_cmp_gt_i16_e32 vcc, 9, v10
	s_cbranch_vccnz .LBB135_200
; %bb.195:
	v_cmp_lt_i16_e32 vcc, 9, v10
	s_cbranch_vccz .LBB135_197
; %bb.196:
	v_mov_b32_e32 v2, 0
	v_mov_b32_e32 v3, v2
	s_mov_b64 s[10:11], 0
	global_store_dwordx4 v[8:9], v[0:3], off
.LBB135_197:
	s_andn2_b64 vcc, exec, s[10:11]
	s_cbranch_vccnz .LBB135_199
; %bb.198:
	v_mov_b32_e32 v2, s75
	v_mov_b32_e32 v3, 0
	global_store_dwordx2 v[8:9], v[2:3], off
.LBB135_199:
	s_mov_b64 s[10:11], 0
.LBB135_200:
	s_andn2_b64 vcc, exec, s[10:11]
	s_cbranch_vccnz .LBB135_202
; %bb.201:
	global_store_dword v[8:9], v12, off
.LBB135_202:
	s_mov_b64 s[10:11], 0
.LBB135_203:
	s_andn2_b64 vcc, exec, s[10:11]
	s_cbranch_vccnz .LBB135_212
; %bb.204:
	v_cmp_gt_i16_e32 vcc, 6, v10
	s_mov_b64 s[10:11], -1
	s_cbranch_vccnz .LBB135_210
; %bb.205:
	v_cmp_lt_i16_e32 vcc, 6, v10
	s_cbranch_vccz .LBB135_207
; %bb.206:
	s_mov_b64 s[10:11], 0
	global_store_dwordx2 v[8:9], v[0:1], off
.LBB135_207:
	s_andn2_b64 vcc, exec, s[10:11]
	s_cbranch_vccnz .LBB135_209
; %bb.208:
	v_mov_b32_e32 v2, s75
	global_store_dword v[8:9], v2, off
.LBB135_209:
	s_mov_b64 s[10:11], 0
.LBB135_210:
	s_andn2_b64 vcc, exec, s[10:11]
	s_cbranch_vccnz .LBB135_212
; %bb.211:
	global_store_short v[8:9], v12, off
.LBB135_212:
	s_mov_b64 s[10:11], 0
.LBB135_213:
	s_andn2_b64 vcc, exec, s[10:11]
	s_cbranch_vccnz .LBB135_229
; %bb.214:
	v_cmp_gt_i16_e32 vcc, 2, v10
	s_mov_b64 s[10:11], -1
	s_cbranch_vccnz .LBB135_224
; %bb.215:
	v_cmp_gt_i16_e32 vcc, 3, v10
	s_cbranch_vccnz .LBB135_221
; %bb.216:
	v_cmp_lt_i16_e32 vcc, 3, v10
	s_cbranch_vccz .LBB135_218
; %bb.217:
	s_mov_b64 s[10:11], 0
	global_store_dwordx2 v[8:9], v[4:5], off
.LBB135_218:
	s_andn2_b64 vcc, exec, s[10:11]
	s_cbranch_vccnz .LBB135_220
; %bb.219:
	global_store_dword v[8:9], v11, off
.LBB135_220:
	s_mov_b64 s[10:11], 0
.LBB135_221:
	s_andn2_b64 vcc, exec, s[10:11]
	s_cbranch_vccnz .LBB135_223
; %bb.222:
	global_store_short v[8:9], v11, off
.LBB135_223:
	s_mov_b64 s[10:11], 0
.LBB135_224:
	s_andn2_b64 vcc, exec, s[10:11]
	s_cbranch_vccnz .LBB135_229
; %bb.225:
	v_cmp_lt_i16_e32 vcc, 0, v10
	s_mov_b64 s[10:11], -1
	s_cbranch_vccz .LBB135_227
; %bb.226:
	s_mov_b64 s[10:11], 0
	global_store_byte v[8:9], v11, off
.LBB135_227:
	s_andn2_b64 vcc, exec, s[10:11]
	s_cbranch_vccnz .LBB135_229
; %bb.228:
	global_store_byte v[8:9], v4, off
.LBB135_229:
	s_branch .LBB135_142
.LBB135_230:
	s_mov_b64 s[10:11], 0
                                        ; implicit-def: $vgpr13
.LBB135_231:
	s_andn2_b64 s[12:13], s[60:61], exec
	s_and_b64 s[8:9], s[8:9], exec
	s_or_b64 s[64:65], s[12:13], s[8:9]
	s_orn2_b64 s[8:9], s[10:11], exec
.LBB135_232:
	s_or_b64 exec, exec, s[66:67]
	s_mov_b64 s[10:11], 0
	s_mov_b64 s[12:13], 0
                                        ; implicit-def: $vgpr8_vgpr9
	s_and_saveexec_b64 s[66:67], s[8:9]
	s_cbranch_execz .LBB135_421
; %bb.233:
	v_cmp_gt_i32_e32 vcc, s84, v13
	s_mov_b64 s[10:11], -1
	s_mov_b64 s[70:71], s[64:65]
	s_and_saveexec_b64 s[68:69], vcc
	s_cbranch_execz .LBB135_349
; %bb.234:
	s_andn2_b64 vcc, exec, s[30:31]
	s_cbranch_vccnz .LBB135_239
; %bb.235:
	s_andn2_b64 vcc, exec, s[58:59]
	s_cbranch_vccnz .LBB135_240
; %bb.236:
	s_add_i32 s87, s85, 1
	s_mov_b32 s86, 0
	s_cmp_eq_u32 s74, 2
	v_mov_b32_e32 v2, 0
	s_cbranch_scc1 .LBB135_241
; %bb.237:
	s_and_b32 s86, s87, 28
	s_mov_b32 s88, 0
	v_mov_b32_e32 v2, 0
	s_mov_b64 s[70:71], s[4:5]
	s_mov_b64 s[72:73], s[56:57]
	v_mov_b32_e32 v8, v13
.LBB135_238:                            ; =>This Inner Loop Header: Depth=1
	s_load_dwordx8 s[8:15], s[70:71], 0x4
	s_load_dwordx4 s[20:23], s[70:71], 0x24
	s_load_dwordx4 s[24:27], s[72:73], 0x0
	s_add_u32 s70, s70, 48
	s_addc_u32 s71, s71, 0
	s_waitcnt lgkmcnt(0)
	v_mul_hi_u32 v3, s9, v8
	v_add_u32_e32 v3, v8, v3
	v_lshrrev_b32_e32 v3, s10, v3
	v_mul_lo_u32 v9, v3, s8
	v_mul_hi_u32 v19, s12, v3
	v_sub_u32_e32 v8, v8, v9
	v_add_u32_e32 v9, v3, v19
	v_lshrrev_b32_e32 v9, s13, v9
	v_mul_lo_u32 v19, v9, s11
	v_mul_hi_u32 v20, s15, v9
	v_sub_u32_e32 v3, v3, v19
	v_add_u32_e32 v19, v9, v20
	v_mul_lo_u32 v8, v8, s24
	v_mul_lo_u32 v3, v3, s25
	v_lshrrev_b32_e32 v19, s20, v19
	v_add3_u32 v2, v8, v2, v3
	v_mul_hi_u32 v8, s22, v19
	v_add_u32_e32 v8, v19, v8
	v_mul_lo_u32 v3, v19, s14
	v_lshrrev_b32_e32 v8, s23, v8
	s_add_i32 s88, s88, 4
	v_sub_u32_e32 v3, v9, v3
	v_mul_lo_u32 v9, v8, s21
	s_add_u32 s72, s72, 16
	v_sub_u32_e32 v9, v19, v9
	s_addc_u32 s73, s73, 0
	v_mul_lo_u32 v3, v3, s26
	v_mul_lo_u32 v9, v9, s27
	s_cmp_eq_u32 s86, s88
	v_add3_u32 v2, v3, v2, v9
	s_cbranch_scc0 .LBB135_238
	s_branch .LBB135_242
.LBB135_239:
	s_mov_b64 s[8:9], -1
                                        ; implicit-def: $vgpr2
	s_branch .LBB135_246
.LBB135_240:
	v_mov_b32_e32 v2, 0
	s_branch .LBB135_245
.LBB135_241:
	v_mov_b32_e32 v8, v13
.LBB135_242:
	s_and_b32 s12, s87, 3
	s_cmp_eq_u32 s12, 0
	s_cbranch_scc1 .LBB135_245
; %bb.243:
	s_lshl_b32 s8, s86, 2
	s_add_u32 s8, s8, s4
	s_addc_u32 s9, s5, 0
	s_add_u32 s8, s8, 0xc4
	s_addc_u32 s9, s9, 0
	s_mul_i32 s10, s86, 12
	s_add_u32 s10, s4, s10
	s_addc_u32 s11, s5, 0
.LBB135_244:                            ; =>This Inner Loop Header: Depth=1
	s_load_dwordx2 s[14:15], s[10:11], 0x4
	s_load_dword s13, s[10:11], 0xc
	s_load_dword s20, s[8:9], 0x0
	s_add_u32 s10, s10, 12
	s_addc_u32 s11, s11, 0
	s_waitcnt lgkmcnt(0)
	v_mul_hi_u32 v3, s15, v8
	v_add_u32_e32 v3, v8, v3
	v_lshrrev_b32_e32 v3, s13, v3
	s_add_u32 s8, s8, 4
	v_mul_lo_u32 v9, v3, s14
	s_addc_u32 s9, s9, 0
	s_add_i32 s12, s12, -1
	v_sub_u32_e32 v9, v8, v9
	s_cmp_lg_u32 s12, 0
	v_mov_b32_e32 v8, v3
	v_mad_u64_u32 v[2:3], s[14:15], v9, s20, v[2:3]
	s_cbranch_scc1 .LBB135_244
.LBB135_245:
	s_mov_b64 s[8:9], 0
.LBB135_246:
	s_andn2_b64 vcc, exec, s[8:9]
	s_cbranch_vccnz .LBB135_249
; %bb.247:
	v_mul_hi_u32 v2, s17, v13
	v_add_u32_e32 v2, v13, v2
	v_lshrrev_b32_e32 v3, s18, v2
	v_mul_lo_u32 v2, v3, s16
	v_sub_u32_e32 v2, v13, v2
	s_andn2_b64 vcc, exec, s[54:55]
	v_mul_lo_u32 v2, v2, s50
	s_cbranch_vccnz .LBB135_249
; %bb.248:
	v_mul_hi_u32 v8, s52, v3
	v_add_u32_e32 v8, v3, v8
	v_lshrrev_b32_e32 v8, s53, v8
	v_mul_lo_u32 v8, v8, s19
	v_sub_u32_e32 v3, v3, v8
	v_mad_u64_u32 v[2:3], s[8:9], v3, s51, v[2:3]
.LBB135_249:
	v_mov_b32_e32 v3, s49
	v_add_co_u32_e32 v8, vcc, s48, v2
	v_addc_co_u32_e32 v9, vcc, 0, v3, vcc
	v_cmp_gt_i16_e32 vcc, 11, v10
	s_cbranch_vccnz .LBB135_256
; %bb.250:
	v_cmp_lt_i16_e32 vcc, 25, v10
	s_cbranch_vccz .LBB135_257
; %bb.251:
	v_cmp_lt_i16_e32 vcc, 28, v10
	s_cbranch_vccz .LBB135_258
	;; [unrolled: 3-line block ×4, first 2 shown]
; %bb.254:
	v_cmp_eq_u16_e32 vcc, 46, v10
	s_mov_b64 s[12:13], 0
	s_mov_b64 s[8:9], -1
	s_mov_b64 s[10:11], 0
	s_cbranch_vccz .LBB135_261
; %bb.255:
	v_mov_b32_e32 v2, s77
	global_store_dword v[8:9], v2, off
	s_mov_b64 s[10:11], -1
	s_mov_b64 s[8:9], 0
	s_branch .LBB135_261
.LBB135_256:
	s_mov_b64 s[12:13], -1
	s_mov_b64 s[10:11], 0
	s_mov_b64 s[8:9], s[64:65]
	s_branch .LBB135_306
.LBB135_257:
	s_mov_b64 s[12:13], -1
	s_mov_b64 s[10:11], 0
	s_mov_b64 s[8:9], s[64:65]
	s_branch .LBB135_283
.LBB135_258:
	s_mov_b64 s[12:13], -1
	s_mov_b64 s[10:11], 0
	s_mov_b64 s[8:9], s[64:65]
	s_branch .LBB135_269
.LBB135_259:
	s_mov_b64 s[12:13], -1
	s_mov_b64 s[10:11], 0
	s_mov_b64 s[8:9], s[64:65]
	s_branch .LBB135_265
.LBB135_260:
	s_mov_b64 s[12:13], -1
	s_mov_b64 s[10:11], 0
	s_mov_b64 s[8:9], s[64:65]
.LBB135_261:
	s_and_b64 vcc, exec, s[12:13]
	s_cbranch_vccz .LBB135_264
; %bb.262:
	v_cmp_eq_u16_e32 vcc, 44, v10
	s_mov_b64 s[8:9], -1
	s_cbranch_vccz .LBB135_264
; %bb.263:
	v_mov_b32_e32 v2, 0xff
	v_cndmask_b32_e64 v2, v18, v2, s[6:7]
	s_mov_b64 s[10:11], -1
	s_mov_b64 s[8:9], 0
	global_store_byte v[8:9], v2, off
.LBB135_264:
	s_mov_b64 s[12:13], 0
.LBB135_265:
	s_and_b64 vcc, exec, s[12:13]
	s_cbranch_vccz .LBB135_268
; %bb.266:
	v_cmp_eq_u16_e32 vcc, 29, v10
	s_mov_b64 s[8:9], -1
	s_cbranch_vccz .LBB135_268
; %bb.267:
	global_store_dwordx2 v[8:9], v[6:7], off
	s_mov_b64 s[10:11], -1
	s_mov_b64 s[8:9], 0
.LBB135_268:
	s_mov_b64 s[12:13], 0
.LBB135_269:
	s_and_b64 vcc, exec, s[12:13]
	s_cbranch_vccz .LBB135_282
; %bb.270:
	v_cmp_gt_i16_e32 vcc, 27, v10
	s_mov_b64 s[10:11], -1
	s_cbranch_vccnz .LBB135_276
; %bb.271:
	v_cmp_lt_i16_e32 vcc, 27, v10
	s_cbranch_vccz .LBB135_273
; %bb.272:
	s_mov_b64 s[10:11], 0
	global_store_dword v[8:9], v17, off
.LBB135_273:
	s_andn2_b64 vcc, exec, s[10:11]
	s_cbranch_vccnz .LBB135_275
; %bb.274:
	global_store_short v[8:9], v17, off
.LBB135_275:
	s_mov_b64 s[10:11], 0
.LBB135_276:
	s_andn2_b64 vcc, exec, s[10:11]
	s_cbranch_vccnz .LBB135_281
; %bb.277:
	s_andn2_b64 vcc, exec, s[44:45]
	v_mov_b32_e32 v2, 0x80
	s_cbranch_vccnz .LBB135_280
; %bb.278:
	s_or_b64 s[10:11], s[2:3], s[46:47]
	s_andn2_b64 vcc, exec, s[10:11]
	v_mov_b32_e32 v2, 0
	s_cbranch_vccnz .LBB135_280
; %bb.279:
	v_mov_b32_e32 v2, s83
	v_cndmask_b32_e64 v2, v16, v2, s[2:3]
	v_or_b32_e32 v2, s78, v2
.LBB135_280:
	global_store_byte v[8:9], v2, off
.LBB135_281:
	s_mov_b64 s[10:11], -1
.LBB135_282:
	s_mov_b64 s[12:13], 0
.LBB135_283:
	s_and_b64 vcc, exec, s[12:13]
	s_cbranch_vccz .LBB135_305
; %bb.284:
	v_cmp_lt_i16_e32 vcc, 22, v10
	s_mov_b64 s[12:13], -1
	s_cbranch_vccz .LBB135_297
; %bb.285:
	v_cmp_gt_i16_e32 vcc, 24, v10
	s_mov_b64 s[10:11], -1
	s_cbranch_vccnz .LBB135_294
; %bb.286:
	v_cmp_lt_i16_e32 vcc, 24, v10
	s_cbranch_vccz .LBB135_291
; %bb.287:
	s_andn2_b64 vcc, exec, s[40:41]
	v_mov_b32_e32 v2, 0x80
	s_cbranch_vccnz .LBB135_290
; %bb.288:
	s_or_b64 s[10:11], s[0:1], s[42:43]
	s_andn2_b64 vcc, exec, s[10:11]
	v_mov_b32_e32 v2, 0
	s_cbranch_vccnz .LBB135_290
; %bb.289:
	v_mov_b32_e32 v2, s82
	v_cndmask_b32_e64 v2, v15, v2, s[0:1]
	v_or_b32_e32 v2, s78, v2
.LBB135_290:
	s_mov_b64 s[10:11], 0
	global_store_byte v[8:9], v2, off
.LBB135_291:
	s_and_b64 vcc, exec, s[10:11]
	s_cbranch_vccz .LBB135_293
; %bb.292:
	v_mov_b32_e32 v2, s76
	global_store_byte v[8:9], v2, off
.LBB135_293:
	s_mov_b64 s[10:11], 0
.LBB135_294:
	s_andn2_b64 vcc, exec, s[10:11]
	s_cbranch_vccnz .LBB135_296
; %bb.295:
	s_and_b64 s[10:11], s[38:39], exec
	s_cselect_b32 s12, s80, s79
	s_and_b64 s[10:11], s[36:37], exec
	s_cselect_b32 s10, s81, s12
	s_or_b32 s10, s10, s78
	v_mov_b32_e32 v2, s10
	global_store_byte v[8:9], v2, off
.LBB135_296:
	s_mov_b64 s[12:13], 0
	s_mov_b64 s[10:11], -1
.LBB135_297:
	s_andn2_b64 vcc, exec, s[12:13]
	s_cbranch_vccnz .LBB135_305
; %bb.298:
	v_cmp_lt_i16_e32 vcc, 14, v10
	s_mov_b64 s[12:13], -1
	s_cbranch_vccz .LBB135_302
; %bb.299:
	v_cmp_eq_u16_e32 vcc, 15, v10
	s_mov_b64 s[8:9], -1
	s_cbranch_vccz .LBB135_301
; %bb.300:
	v_mov_b32_e32 v2, s77
	global_store_short v[8:9], v2, off
	s_mov_b64 s[10:11], -1
	s_mov_b64 s[8:9], 0
.LBB135_301:
	s_mov_b64 s[12:13], 0
.LBB135_302:
	s_and_b64 vcc, exec, s[12:13]
	s_cbranch_vccz .LBB135_305
; %bb.303:
	v_cmp_eq_u16_e32 vcc, 11, v10
	s_mov_b64 s[8:9], -1
	s_cbranch_vccz .LBB135_305
; %bb.304:
	s_mov_b64 s[10:11], -1
	s_mov_b64 s[8:9], 0
	global_store_byte v[8:9], v14, off
.LBB135_305:
	s_mov_b64 s[12:13], 0
.LBB135_306:
	s_and_b64 vcc, exec, s[12:13]
	s_cbranch_vccz .LBB135_345
; %bb.307:
	v_cmp_gt_i16_e32 vcc, 5, v10
	s_mov_b64 s[10:11], -1
	s_cbranch_vccnz .LBB135_328
; %bb.308:
	v_cmp_gt_i16_e32 vcc, 8, v10
	s_cbranch_vccnz .LBB135_318
; %bb.309:
	v_cmp_gt_i16_e32 vcc, 9, v10
	s_cbranch_vccnz .LBB135_315
; %bb.310:
	v_cmp_lt_i16_e32 vcc, 9, v10
	s_cbranch_vccz .LBB135_312
; %bb.311:
	v_mov_b32_e32 v2, 0
	v_mov_b32_e32 v3, v2
	s_mov_b64 s[10:11], 0
	global_store_dwordx4 v[8:9], v[0:3], off
.LBB135_312:
	s_andn2_b64 vcc, exec, s[10:11]
	s_cbranch_vccnz .LBB135_314
; %bb.313:
	v_mov_b32_e32 v2, s75
	v_mov_b32_e32 v3, 0
	global_store_dwordx2 v[8:9], v[2:3], off
.LBB135_314:
	s_mov_b64 s[10:11], 0
.LBB135_315:
	s_andn2_b64 vcc, exec, s[10:11]
	s_cbranch_vccnz .LBB135_317
; %bb.316:
	global_store_dword v[8:9], v12, off
.LBB135_317:
	s_mov_b64 s[10:11], 0
.LBB135_318:
	s_andn2_b64 vcc, exec, s[10:11]
	s_cbranch_vccnz .LBB135_327
; %bb.319:
	v_cmp_gt_i16_e32 vcc, 6, v10
	s_mov_b64 s[10:11], -1
	s_cbranch_vccnz .LBB135_325
; %bb.320:
	v_cmp_lt_i16_e32 vcc, 6, v10
	s_cbranch_vccz .LBB135_322
; %bb.321:
	s_mov_b64 s[10:11], 0
	global_store_dwordx2 v[8:9], v[0:1], off
.LBB135_322:
	s_andn2_b64 vcc, exec, s[10:11]
	s_cbranch_vccnz .LBB135_324
; %bb.323:
	v_mov_b32_e32 v2, s75
	global_store_dword v[8:9], v2, off
.LBB135_324:
	s_mov_b64 s[10:11], 0
.LBB135_325:
	s_andn2_b64 vcc, exec, s[10:11]
	s_cbranch_vccnz .LBB135_327
; %bb.326:
	global_store_short v[8:9], v12, off
.LBB135_327:
	s_mov_b64 s[10:11], 0
.LBB135_328:
	s_andn2_b64 vcc, exec, s[10:11]
	s_cbranch_vccnz .LBB135_344
; %bb.329:
	v_cmp_gt_i16_e32 vcc, 2, v10
	s_mov_b64 s[10:11], -1
	s_cbranch_vccnz .LBB135_339
; %bb.330:
	v_cmp_gt_i16_e32 vcc, 3, v10
	s_cbranch_vccnz .LBB135_336
; %bb.331:
	v_cmp_lt_i16_e32 vcc, 3, v10
	s_cbranch_vccz .LBB135_333
; %bb.332:
	s_mov_b64 s[10:11], 0
	global_store_dwordx2 v[8:9], v[4:5], off
.LBB135_333:
	s_andn2_b64 vcc, exec, s[10:11]
	s_cbranch_vccnz .LBB135_335
; %bb.334:
	global_store_dword v[8:9], v11, off
.LBB135_335:
	s_mov_b64 s[10:11], 0
.LBB135_336:
	s_andn2_b64 vcc, exec, s[10:11]
	s_cbranch_vccnz .LBB135_338
; %bb.337:
	global_store_short v[8:9], v11, off
.LBB135_338:
	s_mov_b64 s[10:11], 0
.LBB135_339:
	s_andn2_b64 vcc, exec, s[10:11]
	s_cbranch_vccnz .LBB135_344
; %bb.340:
	v_cmp_lt_i16_e32 vcc, 0, v10
	s_mov_b64 s[10:11], -1
	s_cbranch_vccz .LBB135_342
; %bb.341:
	s_mov_b64 s[10:11], 0
	global_store_byte v[8:9], v11, off
.LBB135_342:
	s_andn2_b64 vcc, exec, s[10:11]
	s_cbranch_vccnz .LBB135_344
; %bb.343:
	global_store_byte v[8:9], v4, off
.LBB135_344:
	s_mov_b64 s[10:11], -1
.LBB135_345:
	s_andn2_b64 vcc, exec, s[10:11]
	s_cbranch_vccnz .LBB135_347
; %bb.346:
	v_add_u32_e32 v13, 0x80, v13
	s_mov_b64 s[10:11], -1
	s_branch .LBB135_348
.LBB135_347:
	s_mov_b64 s[10:11], 0
                                        ; implicit-def: $vgpr13
.LBB135_348:
	s_andn2_b64 s[12:13], s[64:65], exec
	s_and_b64 s[8:9], s[8:9], exec
	s_or_b64 s[70:71], s[12:13], s[8:9]
	s_orn2_b64 s[10:11], s[10:11], exec
.LBB135_349:
	s_or_b64 exec, exec, s[68:69]
	s_mov_b64 s[8:9], 0
	s_mov_b64 s[14:15], 0
                                        ; implicit-def: $vgpr8_vgpr9
	s_and_saveexec_b64 s[68:69], s[10:11]
	s_cbranch_execz .LBB135_420
; %bb.350:
	v_cmp_gt_i32_e32 vcc, s84, v13
	s_mov_b64 s[10:11], 0
	s_mov_b64 s[12:13], s[70:71]
                                        ; implicit-def: $vgpr8_vgpr9
	s_and_saveexec_b64 s[72:73], vcc
	s_cbranch_execz .LBB135_419
; %bb.351:
	s_andn2_b64 vcc, exec, s[30:31]
	s_cbranch_vccnz .LBB135_356
; %bb.352:
	s_andn2_b64 vcc, exec, s[58:59]
	s_cbranch_vccnz .LBB135_357
; %bb.353:
	s_add_i32 s85, s85, 1
	s_mov_b32 s84, 0
	s_cmp_eq_u32 s74, 2
	v_mov_b32_e32 v2, 0
	s_cbranch_scc1 .LBB135_358
; %bb.354:
	s_and_b32 s84, s85, 28
	s_mov_b32 s86, 0
	v_mov_b32_e32 v2, 0
	s_mov_b64 s[58:59], s[4:5]
	v_mov_b32_e32 v8, v13
.LBB135_355:                            ; =>This Inner Loop Header: Depth=1
	s_load_dwordx8 s[8:15], s[58:59], 0x4
	s_load_dwordx4 s[20:23], s[58:59], 0x24
	s_load_dwordx4 s[24:27], s[56:57], 0x0
	s_add_u32 s58, s58, 48
	s_addc_u32 s59, s59, 0
	s_waitcnt lgkmcnt(0)
	v_mul_hi_u32 v3, s9, v8
	v_add_u32_e32 v3, v8, v3
	v_lshrrev_b32_e32 v3, s10, v3
	v_mul_lo_u32 v9, v3, s8
	v_mul_hi_u32 v19, s12, v3
	v_sub_u32_e32 v8, v8, v9
	v_add_u32_e32 v9, v3, v19
	v_lshrrev_b32_e32 v9, s13, v9
	v_mul_lo_u32 v19, v9, s11
	v_mul_hi_u32 v20, s15, v9
	v_sub_u32_e32 v3, v3, v19
	v_add_u32_e32 v19, v9, v20
	v_mul_lo_u32 v8, v8, s24
	v_mul_lo_u32 v3, v3, s25
	v_lshrrev_b32_e32 v19, s20, v19
	v_add3_u32 v2, v8, v2, v3
	v_mul_hi_u32 v8, s22, v19
	v_add_u32_e32 v8, v19, v8
	v_mul_lo_u32 v3, v19, s14
	v_lshrrev_b32_e32 v8, s23, v8
	s_add_i32 s86, s86, 4
	v_sub_u32_e32 v3, v9, v3
	v_mul_lo_u32 v9, v8, s21
	s_add_u32 s56, s56, 16
	v_sub_u32_e32 v9, v19, v9
	s_addc_u32 s57, s57, 0
	v_mul_lo_u32 v3, v3, s26
	v_mul_lo_u32 v9, v9, s27
	s_cmp_eq_u32 s84, s86
	v_add3_u32 v2, v3, v2, v9
	s_cbranch_scc0 .LBB135_355
	s_branch .LBB135_359
.LBB135_356:
	s_mov_b64 s[8:9], -1
                                        ; implicit-def: $vgpr2
	s_branch .LBB135_363
.LBB135_357:
	v_mov_b32_e32 v2, 0
	s_branch .LBB135_362
.LBB135_358:
	v_mov_b32_e32 v8, v13
.LBB135_359:
	s_and_b32 s12, s85, 3
	s_cmp_eq_u32 s12, 0
	s_cbranch_scc1 .LBB135_362
; %bb.360:
	s_lshl_b32 s8, s84, 2
	s_add_u32 s8, s8, s4
	s_addc_u32 s9, s5, 0
	s_add_u32 s8, s8, 0xc4
	s_addc_u32 s9, s9, 0
	s_mul_i32 s10, s84, 12
	s_add_u32 s10, s4, s10
	s_addc_u32 s11, s5, 0
.LBB135_361:                            ; =>This Inner Loop Header: Depth=1
	s_load_dwordx2 s[14:15], s[10:11], 0x4
	s_load_dword s13, s[10:11], 0xc
	s_load_dword s20, s[8:9], 0x0
	s_add_u32 s10, s10, 12
	s_addc_u32 s11, s11, 0
	s_waitcnt lgkmcnt(0)
	v_mul_hi_u32 v3, s15, v8
	v_add_u32_e32 v3, v8, v3
	v_lshrrev_b32_e32 v3, s13, v3
	s_add_u32 s8, s8, 4
	v_mul_lo_u32 v9, v3, s14
	s_addc_u32 s9, s9, 0
	s_add_i32 s12, s12, -1
	v_sub_u32_e32 v9, v8, v9
	s_cmp_lg_u32 s12, 0
	v_mov_b32_e32 v8, v3
	v_mad_u64_u32 v[2:3], s[14:15], v9, s20, v[2:3]
	s_cbranch_scc1 .LBB135_361
.LBB135_362:
	s_mov_b64 s[8:9], 0
.LBB135_363:
	s_andn2_b64 vcc, exec, s[8:9]
	s_cbranch_vccnz .LBB135_366
; %bb.364:
	v_mul_hi_u32 v2, s17, v13
	v_add_u32_e32 v2, v13, v2
	v_lshrrev_b32_e32 v3, s18, v2
	v_mul_lo_u32 v2, v3, s16
	v_sub_u32_e32 v2, v13, v2
	s_andn2_b64 vcc, exec, s[54:55]
	v_mul_lo_u32 v2, v2, s50
	s_cbranch_vccnz .LBB135_366
; %bb.365:
	v_mul_hi_u32 v8, s52, v3
	v_add_u32_e32 v8, v3, v8
	v_lshrrev_b32_e32 v8, s53, v8
	v_mul_lo_u32 v8, v8, s19
	v_sub_u32_e32 v3, v3, v8
	v_mad_u64_u32 v[2:3], s[8:9], v3, s51, v[2:3]
.LBB135_366:
	v_mov_b32_e32 v3, s49
	v_add_co_u32_e32 v8, vcc, s48, v2
	v_addc_co_u32_e32 v9, vcc, 0, v3, vcc
	v_cmp_gt_i16_e32 vcc, 11, v10
	s_cbranch_vccnz .LBB135_416
; %bb.367:
	v_cmp_lt_i16_e32 vcc, 25, v10
	s_mov_b64 s[10:11], -1
	s_mov_b64 s[8:9], s[70:71]
	s_cbranch_vccz .LBB135_395
; %bb.368:
	v_cmp_lt_i16_e32 vcc, 28, v10
	s_mov_b64 s[8:9], s[70:71]
	s_cbranch_vccz .LBB135_382
; %bb.369:
	v_cmp_lt_i16_e32 vcc, 43, v10
	;; [unrolled: 4-line block ×3, first 2 shown]
	s_mov_b64 s[8:9], s[70:71]
	s_cbranch_vccz .LBB135_374
; %bb.371:
	v_cmp_eq_u16_e32 vcc, 46, v10
	s_mov_b64 s[8:9], -1
	s_cbranch_vccz .LBB135_373
; %bb.372:
	v_mov_b32_e32 v2, s77
	global_store_dword v[8:9], v2, off
	s_mov_b64 s[8:9], 0
.LBB135_373:
	s_mov_b64 s[10:11], 0
.LBB135_374:
	s_and_b64 vcc, exec, s[10:11]
	s_cbranch_vccz .LBB135_377
; %bb.375:
	v_cmp_eq_u16_e32 vcc, 44, v10
	s_mov_b64 s[8:9], -1
	s_cbranch_vccz .LBB135_377
; %bb.376:
	v_mov_b32_e32 v2, 0xff
	v_cndmask_b32_e64 v2, v18, v2, s[6:7]
	global_store_byte v[8:9], v2, off
	s_mov_b64 s[8:9], 0
.LBB135_377:
	s_mov_b64 s[10:11], 0
.LBB135_378:
	s_and_b64 vcc, exec, s[10:11]
	s_cbranch_vccz .LBB135_381
; %bb.379:
	v_cmp_eq_u16_e32 vcc, 29, v10
	s_mov_b64 s[8:9], -1
	s_cbranch_vccz .LBB135_381
; %bb.380:
	global_store_dwordx2 v[8:9], v[6:7], off
	s_mov_b64 s[8:9], 0
.LBB135_381:
	s_mov_b64 s[10:11], 0
.LBB135_382:
	s_and_b64 vcc, exec, s[10:11]
	s_cbranch_vccz .LBB135_394
; %bb.383:
	v_cmp_gt_i16_e32 vcc, 27, v10
	s_mov_b64 s[6:7], -1
	s_cbranch_vccnz .LBB135_389
; %bb.384:
	v_cmp_lt_i16_e32 vcc, 27, v10
	s_cbranch_vccz .LBB135_386
; %bb.385:
	s_mov_b64 s[6:7], 0
	global_store_dword v[8:9], v17, off
.LBB135_386:
	s_andn2_b64 vcc, exec, s[6:7]
	s_cbranch_vccnz .LBB135_388
; %bb.387:
	global_store_short v[8:9], v17, off
.LBB135_388:
	s_mov_b64 s[6:7], 0
.LBB135_389:
	s_andn2_b64 vcc, exec, s[6:7]
	s_cbranch_vccnz .LBB135_394
; %bb.390:
	s_andn2_b64 vcc, exec, s[44:45]
	v_mov_b32_e32 v2, 0x80
	s_cbranch_vccnz .LBB135_393
; %bb.391:
	s_or_b64 s[6:7], s[2:3], s[46:47]
	s_andn2_b64 vcc, exec, s[6:7]
	v_mov_b32_e32 v2, 0
	s_cbranch_vccnz .LBB135_393
; %bb.392:
	v_mov_b32_e32 v2, s83
	v_cndmask_b32_e64 v2, v16, v2, s[2:3]
	v_or_b32_e32 v2, s78, v2
.LBB135_393:
	global_store_byte v[8:9], v2, off
.LBB135_394:
	s_mov_b64 s[10:11], 0
.LBB135_395:
	s_mov_b64 s[2:3], 0
	s_and_b64 vcc, exec, s[10:11]
	s_cbranch_vccz .LBB135_417
; %bb.396:
	v_cmp_lt_i16_e32 vcc, 22, v10
	s_mov_b64 s[6:7], -1
	s_cbranch_vccz .LBB135_409
; %bb.397:
	v_cmp_gt_i16_e32 vcc, 24, v10
	s_cbranch_vccnz .LBB135_406
; %bb.398:
	v_cmp_lt_i16_e32 vcc, 24, v10
	s_cbranch_vccz .LBB135_403
; %bb.399:
	s_andn2_b64 vcc, exec, s[40:41]
	v_mov_b32_e32 v2, 0x80
	s_cbranch_vccnz .LBB135_402
; %bb.400:
	s_or_b64 s[6:7], s[0:1], s[42:43]
	s_andn2_b64 vcc, exec, s[6:7]
	v_mov_b32_e32 v2, 0
	s_cbranch_vccnz .LBB135_402
; %bb.401:
	v_mov_b32_e32 v2, s82
	v_cndmask_b32_e64 v2, v15, v2, s[0:1]
	v_or_b32_e32 v2, s78, v2
.LBB135_402:
	s_mov_b64 s[6:7], 0
	global_store_byte v[8:9], v2, off
.LBB135_403:
	s_and_b64 vcc, exec, s[6:7]
	s_cbranch_vccz .LBB135_405
; %bb.404:
	v_mov_b32_e32 v2, s76
	global_store_byte v[8:9], v2, off
.LBB135_405:
	s_mov_b64 s[6:7], 0
.LBB135_406:
	s_andn2_b64 vcc, exec, s[6:7]
	s_cbranch_vccnz .LBB135_408
; %bb.407:
	s_and_b64 s[0:1], s[38:39], exec
	s_cselect_b32 s6, s80, s79
	s_and_b64 s[0:1], s[36:37], exec
	s_cselect_b32 s0, s81, s6
	s_or_b32 s0, s0, s78
	v_mov_b32_e32 v2, s0
	global_store_byte v[8:9], v2, off
.LBB135_408:
	s_mov_b64 s[6:7], 0
.LBB135_409:
	s_andn2_b64 vcc, exec, s[6:7]
	s_mov_b64 s[0:1], 0
	s_cbranch_vccnz .LBB135_418
; %bb.410:
	v_cmp_lt_i16_e32 vcc, 14, v10
	s_mov_b64 s[6:7], -1
	s_cbranch_vccz .LBB135_414
; %bb.411:
	v_cmp_eq_u16_e32 vcc, 15, v10
	s_mov_b64 s[8:9], -1
	s_cbranch_vccz .LBB135_413
; %bb.412:
	v_mov_b32_e32 v2, s77
	global_store_short v[8:9], v2, off
	s_mov_b64 s[8:9], 0
.LBB135_413:
	s_mov_b64 s[6:7], 0
.LBB135_414:
	s_and_b64 vcc, exec, s[6:7]
	s_cbranch_vccz .LBB135_418
; %bb.415:
	v_cmp_ne_u16_e32 vcc, 11, v10
	s_andn2_b64 s[6:7], s[8:9], exec
	s_and_b64 s[8:9], vcc, exec
	s_mov_b64 s[0:1], -1
	s_or_b64 s[8:9], s[6:7], s[8:9]
	s_branch .LBB135_418
.LBB135_416:
	s_mov_b64 s[0:1], 0
	s_mov_b64 s[2:3], -1
	s_mov_b64 s[8:9], s[70:71]
	s_branch .LBB135_418
.LBB135_417:
	s_mov_b64 s[0:1], 0
.LBB135_418:
	s_and_b64 s[14:15], s[2:3], exec
	s_and_b64 s[10:11], s[0:1], exec
	s_andn2_b64 s[0:1], s[70:71], exec
	s_and_b64 s[2:3], s[8:9], exec
	s_or_b64 s[12:13], s[0:1], s[2:3]
.LBB135_419:
	s_or_b64 exec, exec, s[72:73]
	s_andn2_b64 s[0:1], s[70:71], exec
	s_and_b64 s[2:3], s[12:13], exec
	s_and_b64 s[14:15], s[14:15], exec
	;; [unrolled: 1-line block ×3, first 2 shown]
	s_or_b64 s[70:71], s[0:1], s[2:3]
.LBB135_420:
	s_or_b64 exec, exec, s[68:69]
	s_andn2_b64 s[0:1], s[64:65], exec
	s_and_b64 s[2:3], s[70:71], exec
	s_and_b64 s[12:13], s[14:15], exec
	;; [unrolled: 1-line block ×3, first 2 shown]
	s_or_b64 s[64:65], s[0:1], s[2:3]
.LBB135_421:
	s_or_b64 exec, exec, s[66:67]
	s_andn2_b64 s[0:1], s[60:61], exec
	s_and_b64 s[2:3], s[64:65], exec
	s_and_b64 s[8:9], s[12:13], exec
	;; [unrolled: 1-line block ×3, first 2 shown]
	s_or_b64 s[60:61], s[0:1], s[2:3]
	s_or_b64 exec, exec, s[62:63]
	s_mov_b64 s[0:1], 0
	s_and_saveexec_b64 s[2:3], s[60:61]
	s_cbranch_execz .LBB135_122
.LBB135_422:
	s_mov_b64 s[0:1], exec
	s_andn2_b64 s[66:67], s[66:67], exec
	s_trap 2
	s_or_b64 exec, exec, s[2:3]
	s_and_saveexec_b64 s[2:3], s[66:67]
	s_xor_b64 s[2:3], exec, s[2:3]
	s_cbranch_execnz .LBB135_123
.LBB135_423:
	s_or_b64 exec, exec, s[2:3]
	s_and_saveexec_b64 s[2:3], s[8:9]
	s_xor_b64 s[2:3], exec, s[2:3]
	s_cbranch_execz .LBB135_461
.LBB135_424:
	v_cmp_gt_i16_e32 vcc, 5, v10
	s_mov_b64 s[6:7], -1
	s_cbranch_vccnz .LBB135_445
; %bb.425:
	v_cmp_gt_i16_e32 vcc, 8, v10
	s_cbranch_vccnz .LBB135_435
; %bb.426:
	v_cmp_gt_i16_e32 vcc, 9, v10
	s_cbranch_vccnz .LBB135_432
; %bb.427:
	v_cmp_lt_i16_e32 vcc, 9, v10
	s_cbranch_vccz .LBB135_429
; %bb.428:
	v_mov_b32_e32 v2, 0
	v_mov_b32_e32 v3, v2
	s_mov_b64 s[6:7], 0
	global_store_dwordx4 v[8:9], v[0:3], off
.LBB135_429:
	s_andn2_b64 vcc, exec, s[6:7]
	s_cbranch_vccnz .LBB135_431
; %bb.430:
	v_mov_b32_e32 v2, s75
	v_mov_b32_e32 v3, 0
	global_store_dwordx2 v[8:9], v[2:3], off
.LBB135_431:
	s_mov_b64 s[6:7], 0
.LBB135_432:
	s_andn2_b64 vcc, exec, s[6:7]
	s_cbranch_vccnz .LBB135_434
; %bb.433:
	global_store_dword v[8:9], v12, off
.LBB135_434:
	s_mov_b64 s[6:7], 0
.LBB135_435:
	s_andn2_b64 vcc, exec, s[6:7]
	s_cbranch_vccnz .LBB135_444
; %bb.436:
	v_cmp_gt_i16_e32 vcc, 6, v10
	s_mov_b64 s[6:7], -1
	s_cbranch_vccnz .LBB135_442
; %bb.437:
	v_cmp_lt_i16_e32 vcc, 6, v10
	s_cbranch_vccz .LBB135_439
; %bb.438:
	s_mov_b64 s[6:7], 0
	global_store_dwordx2 v[8:9], v[0:1], off
.LBB135_439:
	s_andn2_b64 vcc, exec, s[6:7]
	s_cbranch_vccnz .LBB135_441
; %bb.440:
	v_mov_b32_e32 v0, s75
	global_store_dword v[8:9], v0, off
.LBB135_441:
	s_mov_b64 s[6:7], 0
.LBB135_442:
	s_andn2_b64 vcc, exec, s[6:7]
	s_cbranch_vccnz .LBB135_444
; %bb.443:
	global_store_short v[8:9], v12, off
.LBB135_444:
	s_mov_b64 s[6:7], 0
.LBB135_445:
	s_andn2_b64 vcc, exec, s[6:7]
	s_cbranch_vccnz .LBB135_461
; %bb.446:
	v_cmp_gt_i16_e32 vcc, 2, v10
	s_mov_b64 s[6:7], -1
	s_cbranch_vccnz .LBB135_456
; %bb.447:
	v_cmp_gt_i16_e32 vcc, 3, v10
	s_cbranch_vccnz .LBB135_453
; %bb.448:
	v_cmp_lt_i16_e32 vcc, 3, v10
	s_cbranch_vccz .LBB135_450
; %bb.449:
	s_mov_b64 s[6:7], 0
	global_store_dwordx2 v[8:9], v[4:5], off
.LBB135_450:
	s_andn2_b64 vcc, exec, s[6:7]
	s_cbranch_vccnz .LBB135_452
; %bb.451:
	global_store_dword v[8:9], v11, off
.LBB135_452:
	s_mov_b64 s[6:7], 0
.LBB135_453:
	s_andn2_b64 vcc, exec, s[6:7]
	s_cbranch_vccnz .LBB135_455
; %bb.454:
	global_store_short v[8:9], v11, off
.LBB135_455:
	s_mov_b64 s[6:7], 0
.LBB135_456:
	s_andn2_b64 vcc, exec, s[6:7]
	s_cbranch_vccnz .LBB135_461
; %bb.457:
	v_cmp_lt_i16_e32 vcc, 0, v10
	s_mov_b64 s[6:7], -1
	s_cbranch_vccz .LBB135_459
; %bb.458:
	s_mov_b64 s[6:7], 0
	global_store_byte v[8:9], v11, off
.LBB135_459:
	s_andn2_b64 vcc, exec, s[6:7]
	s_cbranch_vccnz .LBB135_461
; %bb.460:
	global_store_byte v[8:9], v4, off
.LBB135_461:
	s_or_b64 exec, exec, s[2:3]
	s_and_b64 s[6:7], s[0:1], exec
                                        ; implicit-def: $vgpr9
                                        ; implicit-def: $vgpr13
.LBB135_462:
	s_or_saveexec_b64 s[24:25], s[34:35]
	s_mov_b64 s[0:1], 0
                                        ; implicit-def: $vgpr8
                                        ; implicit-def: $vgpr0_vgpr1
                                        ; implicit-def: $sgpr16
	s_xor_b64 exec, exec, s[24:25]
	s_cbranch_execz .LBB135_911
; %bb.463:
	v_cndmask_b32_e64 v0, 0, 1, s[30:31]
	v_cmp_ne_u32_e64 s[0:1], 1, v0
	s_andn2_b64 vcc, exec, s[30:31]
	s_cbranch_vccnz .LBB135_469
; %bb.464:
	s_mov_b32 s28, 0
	s_cmp_eq_u32 s33, 0
	v_mov_b32_e32 v6, 0
	s_cbranch_scc1 .LBB135_473
; %bb.465:
	s_min_u32 s29, s74, 15
	s_add_i32 s29, s29, 1
	s_cmp_eq_u32 s74, 2
	v_mov_b32_e32 v6, 0
	s_cbranch_scc1 .LBB135_470
; %bb.466:
	s_add_u32 s2, s4, 0xc4
	s_addc_u32 s3, s5, 0
	s_and_b32 s28, s29, 28
	s_mov_b32 s30, 0
	v_mov_b32_e32 v6, 0
	s_mov_b64 s[26:27], s[4:5]
	v_mov_b32_e32 v0, v13
.LBB135_467:                            ; =>This Inner Loop Header: Depth=1
	s_load_dwordx8 s[8:15], s[26:27], 0x4
	s_load_dwordx4 s[16:19], s[26:27], 0x24
	s_load_dwordx4 s[20:23], s[2:3], 0x0
	s_add_u32 s26, s26, 48
	s_addc_u32 s27, s27, 0
	s_waitcnt lgkmcnt(0)
	v_mul_hi_u32 v1, s9, v0
	v_add_u32_e32 v1, v0, v1
	v_lshrrev_b32_e32 v1, s10, v1
	v_mul_lo_u32 v2, v1, s8
	v_mul_hi_u32 v3, s12, v1
	v_sub_u32_e32 v0, v0, v2
	v_add_u32_e32 v2, v1, v3
	v_lshrrev_b32_e32 v2, s13, v2
	v_mul_lo_u32 v3, v2, s11
	v_mul_hi_u32 v4, s15, v2
	v_sub_u32_e32 v1, v1, v3
	v_add_u32_e32 v3, v2, v4
	v_mul_lo_u32 v0, v0, s20
	v_mul_lo_u32 v1, v1, s21
	v_lshrrev_b32_e32 v3, s16, v3
	v_add3_u32 v1, v0, v6, v1
	v_mul_lo_u32 v0, v3, s14
	v_mul_hi_u32 v4, s18, v3
	v_sub_u32_e32 v0, v2, v0
	v_add_u32_e32 v2, v3, v4
	v_mul_lo_u32 v4, v0, s22
	v_lshrrev_b32_e32 v0, s19, v2
	s_add_i32 s30, s30, 4
	v_mul_lo_u32 v2, v0, s17
	s_add_u32 s2, s2, 16
	v_sub_u32_e32 v2, v3, v2
	s_addc_u32 s3, s3, 0
	v_mul_lo_u32 v2, v2, s23
	s_cmp_lg_u32 s28, s30
	v_add3_u32 v6, v4, v1, v2
	s_cbranch_scc1 .LBB135_467
; %bb.468:
	s_and_b32 s10, s29, 3
	s_cmp_eq_u32 s10, 0
	s_cbranch_scc0 .LBB135_471
	s_branch .LBB135_473
.LBB135_469:
                                        ; implicit-def: $vgpr6
	s_branch .LBB135_474
.LBB135_470:
	v_mov_b32_e32 v0, v13
	s_and_b32 s10, s29, 3
	s_cmp_eq_u32 s10, 0
	s_cbranch_scc1 .LBB135_473
.LBB135_471:
	s_lshl_b32 s2, s28, 2
	s_add_u32 s2, s2, s4
	s_addc_u32 s3, 0, s5
	s_add_u32 s2, s2, 0xc4
	s_addc_u32 s3, s3, 0
	s_mul_i32 s8, s28, 12
	s_add_u32 s8, s4, s8
	s_addc_u32 s9, 0, s5
.LBB135_472:                            ; =>This Inner Loop Header: Depth=1
	s_load_dwordx2 s[12:13], s[8:9], 0x4
	s_load_dword s11, s[8:9], 0xc
	s_load_dword s14, s[2:3], 0x0
	s_add_u32 s8, s8, 12
	s_addc_u32 s9, s9, 0
	s_waitcnt lgkmcnt(0)
	v_mul_hi_u32 v1, s13, v0
	v_add_u32_e32 v1, v0, v1
	v_lshrrev_b32_e32 v1, s11, v1
	s_add_u32 s2, s2, 4
	v_mul_lo_u32 v2, v1, s12
	s_addc_u32 s3, s3, 0
	s_add_i32 s10, s10, -1
	v_sub_u32_e32 v2, v0, v2
	s_cmp_lg_u32 s10, 0
	v_mov_b32_e32 v0, v1
	v_mad_u64_u32 v[6:7], s[12:13], v2, s14, v[6:7]
	s_cbranch_scc1 .LBB135_472
.LBB135_473:
	s_cbranch_execnz .LBB135_476
.LBB135_474:
	s_load_dwordx4 s[8:11], s[4:5], 0x4
	s_load_dword s2, s[4:5], 0xc4
	s_cmp_lt_u32 s33, 2
	s_waitcnt lgkmcnt(0)
	v_mul_hi_u32 v0, s9, v13
	v_add_u32_e32 v0, v13, v0
	v_lshrrev_b32_e32 v0, s10, v0
	v_mul_lo_u32 v1, v0, s8
	v_sub_u32_e32 v1, v13, v1
	v_mul_lo_u32 v6, v1, s2
	s_cbranch_scc1 .LBB135_476
; %bb.475:
	s_load_dwordx4 s[8:11], s[4:5], 0x10
	s_load_dword s2, s[4:5], 0xc8
	s_waitcnt lgkmcnt(0)
	v_mul_hi_u32 v1, s9, v0
	v_add_u32_e32 v1, v0, v1
	v_lshrrev_b32_e32 v1, s10, v1
	v_mul_lo_u32 v1, v1, s8
	v_sub_u32_e32 v0, v0, v1
	v_mad_u64_u32 v[6:7], s[2:3], v0, s2, v[6:7]
.LBB135_476:
	s_and_b64 vcc, exec, s[0:1]
	v_add_u32_e32 v0, 0x80, v13
	s_cbranch_vccnz .LBB135_482
; %bb.477:
	s_mov_b32 s28, 0
	s_cmp_eq_u32 s33, 0
	v_mov_b32_e32 v4, 0
	s_cbranch_scc1 .LBB135_486
; %bb.478:
	s_min_u32 s29, s74, 15
	s_add_i32 s29, s29, 1
	s_cmp_eq_u32 s74, 2
	v_mov_b32_e32 v4, 0
	s_cbranch_scc1 .LBB135_483
; %bb.479:
	s_add_u32 s2, s4, 0xc4
	s_addc_u32 s3, s5, 0
	s_and_b32 s28, s29, 28
	s_mov_b32 s30, 0
	v_mov_b32_e32 v4, 0
	s_mov_b64 s[26:27], s[4:5]
	v_mov_b32_e32 v1, v0
.LBB135_480:                            ; =>This Inner Loop Header: Depth=1
	s_load_dwordx8 s[8:15], s[26:27], 0x4
	s_load_dwordx4 s[16:19], s[26:27], 0x24
	s_load_dwordx4 s[20:23], s[2:3], 0x0
	s_add_u32 s26, s26, 48
	s_addc_u32 s27, s27, 0
	s_waitcnt lgkmcnt(0)
	v_mul_hi_u32 v2, s9, v1
	v_add_u32_e32 v2, v1, v2
	v_lshrrev_b32_e32 v2, s10, v2
	v_mul_lo_u32 v3, v2, s8
	v_mul_hi_u32 v5, s12, v2
	v_sub_u32_e32 v1, v1, v3
	v_add_u32_e32 v3, v2, v5
	v_lshrrev_b32_e32 v3, s13, v3
	v_mul_lo_u32 v5, v3, s11
	v_mul_hi_u32 v7, s15, v3
	v_sub_u32_e32 v2, v2, v5
	v_add_u32_e32 v5, v3, v7
	v_mul_lo_u32 v1, v1, s20
	v_mul_lo_u32 v2, v2, s21
	v_lshrrev_b32_e32 v5, s16, v5
	v_add3_u32 v2, v1, v4, v2
	v_mul_lo_u32 v1, v5, s14
	v_mul_hi_u32 v4, s18, v5
	v_sub_u32_e32 v1, v3, v1
	v_add_u32_e32 v3, v5, v4
	v_mul_lo_u32 v4, v1, s22
	v_lshrrev_b32_e32 v1, s19, v3
	s_add_i32 s30, s30, 4
	v_mul_lo_u32 v3, v1, s17
	s_add_u32 s2, s2, 16
	v_sub_u32_e32 v3, v5, v3
	s_addc_u32 s3, s3, 0
	v_mul_lo_u32 v3, v3, s23
	s_cmp_lg_u32 s28, s30
	v_add3_u32 v4, v4, v2, v3
	s_cbranch_scc1 .LBB135_480
; %bb.481:
	s_and_b32 s10, s29, 3
	s_cmp_eq_u32 s10, 0
	s_cbranch_scc0 .LBB135_484
	s_branch .LBB135_486
.LBB135_482:
                                        ; implicit-def: $vgpr4
	s_branch .LBB135_487
.LBB135_483:
	v_mov_b32_e32 v1, v0
	s_and_b32 s10, s29, 3
	s_cmp_eq_u32 s10, 0
	s_cbranch_scc1 .LBB135_486
.LBB135_484:
	s_lshl_b32 s2, s28, 2
	s_add_u32 s2, s2, s4
	s_addc_u32 s3, 0, s5
	s_add_u32 s2, s2, 0xc4
	s_addc_u32 s3, s3, 0
	s_mul_i32 s8, s28, 12
	s_add_u32 s8, s4, s8
	s_addc_u32 s9, 0, s5
.LBB135_485:                            ; =>This Inner Loop Header: Depth=1
	s_load_dwordx2 s[12:13], s[8:9], 0x4
	s_load_dword s11, s[8:9], 0xc
	s_load_dword s14, s[2:3], 0x0
	s_add_u32 s8, s8, 12
	s_addc_u32 s9, s9, 0
	s_waitcnt lgkmcnt(0)
	v_mul_hi_u32 v2, s13, v1
	v_add_u32_e32 v2, v1, v2
	v_lshrrev_b32_e32 v2, s11, v2
	s_add_u32 s2, s2, 4
	v_mul_lo_u32 v3, v2, s12
	s_addc_u32 s3, s3, 0
	s_add_i32 s10, s10, -1
	v_sub_u32_e32 v3, v1, v3
	s_cmp_lg_u32 s10, 0
	v_mov_b32_e32 v1, v2
	v_mad_u64_u32 v[4:5], s[12:13], v3, s14, v[4:5]
	s_cbranch_scc1 .LBB135_485
.LBB135_486:
	s_cbranch_execnz .LBB135_489
.LBB135_487:
	s_load_dwordx4 s[8:11], s[4:5], 0x4
	s_load_dword s2, s[4:5], 0xc4
	s_cmp_lt_u32 s33, 2
	s_waitcnt lgkmcnt(0)
	v_mul_hi_u32 v1, s9, v0
	v_add_u32_e32 v1, v0, v1
	v_lshrrev_b32_e32 v1, s10, v1
	v_mul_lo_u32 v2, v1, s8
	v_sub_u32_e32 v0, v0, v2
	v_mul_lo_u32 v4, v0, s2
	s_cbranch_scc1 .LBB135_489
; %bb.488:
	s_load_dwordx4 s[8:11], s[4:5], 0x10
	s_load_dword s2, s[4:5], 0xc8
	s_waitcnt lgkmcnt(0)
	v_mul_hi_u32 v0, s9, v1
	v_add_u32_e32 v0, v1, v0
	v_lshrrev_b32_e32 v0, s10, v0
	v_mul_lo_u32 v0, v0, s8
	v_sub_u32_e32 v0, v1, v0
	v_mad_u64_u32 v[4:5], s[2:3], v0, s2, v[4:5]
.LBB135_489:
	s_and_b64 vcc, exec, s[0:1]
	v_add_u32_e32 v0, 0x100, v13
	s_cbranch_vccnz .LBB135_495
; %bb.490:
	s_mov_b32 s28, 0
	s_cmp_eq_u32 s33, 0
	v_mov_b32_e32 v2, 0
	s_cbranch_scc1 .LBB135_499
; %bb.491:
	s_min_u32 s29, s74, 15
	s_add_i32 s29, s29, 1
	s_cmp_eq_u32 s74, 2
	v_mov_b32_e32 v2, 0
	s_cbranch_scc1 .LBB135_496
; %bb.492:
	s_add_u32 s2, s4, 0xc4
	s_addc_u32 s3, s5, 0
	s_and_b32 s28, s29, 28
	s_mov_b32 s30, 0
	v_mov_b32_e32 v2, 0
	s_mov_b64 s[26:27], s[4:5]
	v_mov_b32_e32 v1, v0
.LBB135_493:                            ; =>This Inner Loop Header: Depth=1
	s_load_dwordx8 s[8:15], s[26:27], 0x4
	s_load_dwordx4 s[16:19], s[26:27], 0x24
	s_load_dwordx4 s[20:23], s[2:3], 0x0
	s_add_u32 s26, s26, 48
	s_addc_u32 s27, s27, 0
	s_waitcnt lgkmcnt(0)
	v_mul_hi_u32 v3, s9, v1
	v_add_u32_e32 v3, v1, v3
	v_lshrrev_b32_e32 v3, s10, v3
	v_mul_lo_u32 v5, v3, s8
	v_mul_hi_u32 v7, s12, v3
	v_sub_u32_e32 v1, v1, v5
	v_add_u32_e32 v5, v3, v7
	v_lshrrev_b32_e32 v5, s13, v5
	v_mul_lo_u32 v7, v5, s11
	v_mul_hi_u32 v8, s15, v5
	v_sub_u32_e32 v3, v3, v7
	v_add_u32_e32 v7, v5, v8
	v_mul_lo_u32 v1, v1, s20
	v_mul_lo_u32 v3, v3, s21
	v_lshrrev_b32_e32 v7, s16, v7
	v_add3_u32 v2, v1, v2, v3
	v_mul_lo_u32 v1, v7, s14
	v_mul_hi_u32 v3, s18, v7
	v_sub_u32_e32 v1, v5, v1
	v_add_u32_e32 v3, v7, v3
	v_mul_lo_u32 v5, v1, s22
	v_lshrrev_b32_e32 v1, s19, v3
	s_add_i32 s30, s30, 4
	v_mul_lo_u32 v3, v1, s17
	s_add_u32 s2, s2, 16
	v_sub_u32_e32 v3, v7, v3
	s_addc_u32 s3, s3, 0
	v_mul_lo_u32 v3, v3, s23
	s_cmp_lg_u32 s28, s30
	v_add3_u32 v2, v5, v2, v3
	s_cbranch_scc1 .LBB135_493
; %bb.494:
	s_and_b32 s10, s29, 3
	s_cmp_eq_u32 s10, 0
	s_cbranch_scc0 .LBB135_497
	s_branch .LBB135_499
.LBB135_495:
                                        ; implicit-def: $vgpr2
	s_branch .LBB135_500
.LBB135_496:
	v_mov_b32_e32 v1, v0
	s_and_b32 s10, s29, 3
	s_cmp_eq_u32 s10, 0
	s_cbranch_scc1 .LBB135_499
.LBB135_497:
	s_lshl_b32 s2, s28, 2
	s_add_u32 s2, s2, s4
	s_addc_u32 s3, 0, s5
	s_add_u32 s2, s2, 0xc4
	s_addc_u32 s3, s3, 0
	s_mul_i32 s8, s28, 12
	s_add_u32 s8, s4, s8
	s_addc_u32 s9, 0, s5
.LBB135_498:                            ; =>This Inner Loop Header: Depth=1
	s_load_dwordx2 s[12:13], s[8:9], 0x4
	s_load_dword s11, s[8:9], 0xc
	s_load_dword s14, s[2:3], 0x0
	s_add_u32 s8, s8, 12
	s_addc_u32 s9, s9, 0
	s_waitcnt lgkmcnt(0)
	v_mul_hi_u32 v3, s13, v1
	v_add_u32_e32 v3, v1, v3
	v_lshrrev_b32_e32 v3, s11, v3
	s_add_u32 s2, s2, 4
	v_mul_lo_u32 v5, v3, s12
	s_addc_u32 s3, s3, 0
	s_add_i32 s10, s10, -1
	v_sub_u32_e32 v5, v1, v5
	s_cmp_lg_u32 s10, 0
	v_mov_b32_e32 v1, v3
	v_mad_u64_u32 v[2:3], s[12:13], v5, s14, v[2:3]
	s_cbranch_scc1 .LBB135_498
.LBB135_499:
	s_cbranch_execnz .LBB135_502
.LBB135_500:
	s_load_dwordx4 s[8:11], s[4:5], 0x4
	s_load_dword s2, s[4:5], 0xc4
	s_cmp_lt_u32 s33, 2
	s_waitcnt lgkmcnt(0)
	v_mul_hi_u32 v1, s9, v0
	v_add_u32_e32 v1, v0, v1
	v_lshrrev_b32_e32 v1, s10, v1
	v_mul_lo_u32 v2, v1, s8
	v_sub_u32_e32 v0, v0, v2
	v_mul_lo_u32 v2, v0, s2
	s_cbranch_scc1 .LBB135_502
; %bb.501:
	s_load_dwordx4 s[8:11], s[4:5], 0x10
	s_load_dword s2, s[4:5], 0xc8
	s_waitcnt lgkmcnt(0)
	v_mul_hi_u32 v0, s9, v1
	v_add_u32_e32 v0, v1, v0
	v_lshrrev_b32_e32 v0, s10, v0
	v_mul_lo_u32 v0, v0, s8
	v_sub_u32_e32 v0, v1, v0
	v_mad_u64_u32 v[2:3], s[2:3], v0, s2, v[2:3]
.LBB135_502:
	s_and_b64 vcc, exec, s[0:1]
	s_cbranch_vccnz .LBB135_508
; %bb.503:
	s_mov_b32 s26, 0
	s_cmp_eq_u32 s33, 0
	v_mov_b32_e32 v0, 0
	s_cbranch_scc1 .LBB135_512
; %bb.504:
	s_min_u32 s27, s74, 15
	s_add_i32 s27, s27, 1
	s_cmp_eq_u32 s74, 2
	v_mov_b32_e32 v0, 0
	s_cbranch_scc1 .LBB135_509
; %bb.505:
	s_add_u32 s20, s4, 0xc4
	s_addc_u32 s21, s5, 0
	s_and_b32 s26, s27, 28
	s_mov_b32 s28, 0
	v_mov_b32_e32 v0, 0
	s_mov_b64 s[22:23], s[4:5]
	v_mov_b32_e32 v3, v9
.LBB135_506:                            ; =>This Inner Loop Header: Depth=1
	s_load_dwordx8 s[8:15], s[22:23], 0x4
	s_load_dwordx4 s[0:3], s[22:23], 0x24
	s_load_dwordx4 s[16:19], s[20:21], 0x0
	s_add_u32 s22, s22, 48
	s_addc_u32 s23, s23, 0
	s_waitcnt lgkmcnt(0)
	v_mul_hi_u32 v1, s9, v3
	v_add_u32_e32 v1, v3, v1
	v_lshrrev_b32_e32 v1, s10, v1
	v_mul_lo_u32 v5, v1, s8
	v_mul_hi_u32 v7, s12, v1
	v_sub_u32_e32 v3, v3, v5
	v_add_u32_e32 v5, v1, v7
	v_lshrrev_b32_e32 v5, s13, v5
	v_mul_lo_u32 v7, v5, s11
	v_mul_hi_u32 v8, s15, v5
	v_sub_u32_e32 v1, v1, v7
	v_add_u32_e32 v7, v5, v8
	v_mul_lo_u32 v3, v3, s16
	v_mul_lo_u32 v1, v1, s17
	v_lshrrev_b32_e32 v7, s0, v7
	v_add3_u32 v0, v3, v0, v1
	v_mul_hi_u32 v3, s2, v7
	v_add_u32_e32 v3, v7, v3
	v_mul_lo_u32 v1, v7, s14
	v_lshrrev_b32_e32 v3, s3, v3
	s_add_i32 s28, s28, 4
	v_sub_u32_e32 v1, v5, v1
	v_mul_lo_u32 v5, v3, s1
	s_add_u32 s20, s20, 16
	v_sub_u32_e32 v5, v7, v5
	s_addc_u32 s21, s21, 0
	v_mul_lo_u32 v1, v1, s18
	v_mul_lo_u32 v5, v5, s19
	s_cmp_lg_u32 s26, s28
	v_add3_u32 v0, v1, v0, v5
	s_cbranch_scc1 .LBB135_506
; %bb.507:
	s_and_b32 s8, s27, 3
	s_cmp_eq_u32 s8, 0
	s_cbranch_scc0 .LBB135_510
	s_branch .LBB135_512
.LBB135_508:
                                        ; implicit-def: $vgpr0
	s_branch .LBB135_513
.LBB135_509:
	v_mov_b32_e32 v3, v9
	s_and_b32 s8, s27, 3
	s_cmp_eq_u32 s8, 0
	s_cbranch_scc1 .LBB135_512
.LBB135_510:
	s_lshl_b32 s0, s26, 2
	s_add_u32 s0, s0, s4
	s_addc_u32 s1, 0, s5
	s_add_u32 s0, s0, 0xc4
	s_addc_u32 s1, s1, 0
	s_mul_i32 s2, s26, 12
	s_add_u32 s2, s4, s2
	s_addc_u32 s3, 0, s5
.LBB135_511:                            ; =>This Inner Loop Header: Depth=1
	s_load_dwordx2 s[10:11], s[2:3], 0x4
	s_load_dword s9, s[2:3], 0xc
	s_load_dword s12, s[0:1], 0x0
	s_add_u32 s2, s2, 12
	s_addc_u32 s3, s3, 0
	s_waitcnt lgkmcnt(0)
	v_mul_hi_u32 v1, s11, v3
	v_add_u32_e32 v1, v3, v1
	v_lshrrev_b32_e32 v1, s9, v1
	s_add_u32 s0, s0, 4
	v_mul_lo_u32 v5, v1, s10
	s_addc_u32 s1, s1, 0
	s_add_i32 s8, s8, -1
	v_sub_u32_e32 v5, v3, v5
	s_cmp_lg_u32 s8, 0
	v_mov_b32_e32 v3, v1
	v_mad_u64_u32 v[0:1], s[10:11], v5, s12, v[0:1]
	s_cbranch_scc1 .LBB135_511
.LBB135_512:
	s_cbranch_execnz .LBB135_515
.LBB135_513:
	s_load_dwordx4 s[0:3], s[4:5], 0x4
	s_waitcnt lgkmcnt(0)
	s_load_dword s3, s[4:5], 0xc4
	s_cmp_lt_u32 s33, 2
	v_mul_hi_u32 v0, s1, v9
	v_add_u32_e32 v0, v9, v0
	v_lshrrev_b32_e32 v1, s2, v0
	v_mul_lo_u32 v0, v1, s0
	v_sub_u32_e32 v0, v9, v0
	s_waitcnt lgkmcnt(0)
	v_mul_lo_u32 v0, v0, s3
	s_cbranch_scc1 .LBB135_515
; %bb.514:
	s_load_dwordx4 s[0:3], s[4:5], 0x10
	s_waitcnt lgkmcnt(0)
	s_load_dword s3, s[4:5], 0xc8
	v_mul_hi_u32 v3, s1, v1
	v_add_u32_e32 v3, v1, v3
	v_lshrrev_b32_e32 v3, s2, v3
	v_mul_lo_u32 v3, v3, s0
	v_sub_u32_e32 v1, v1, v3
	s_waitcnt lgkmcnt(0)
	v_mad_u64_u32 v[0:1], s[0:1], v1, s3, v[0:1]
.LBB135_515:
	s_load_dwordx2 s[8:9], s[4:5], 0x108
	s_load_dword s16, s[4:5], 0x110
	s_waitcnt lgkmcnt(0)
	v_mov_b32_e32 v1, s9
	v_add_co_u32_e32 v6, vcc, s8, v6
	v_lshrrev_b16_e64 v8, 8, s16
	v_addc_co_u32_e32 v7, vcc, 0, v1, vcc
	v_cmp_gt_i16_e64 s[0:1], 11, v8
	s_and_b64 vcc, exec, s[0:1]
	s_cbranch_vccnz .LBB135_543
; %bb.516:
	v_cmp_lt_i16_e32 vcc, 25, v8
	s_mov_b64 s[12:13], -1
	s_mov_b64 s[4:5], 0
	s_mov_b64 s[10:11], 0
	;; [unrolled: 1-line block ×3, first 2 shown]
	s_cbranch_vccz .LBB135_553
; %bb.517:
	v_cmp_lt_i16_e32 vcc, 28, v8
	s_cbranch_vccz .LBB135_532
; %bb.518:
	v_cmp_lt_i16_e32 vcc, 43, v8
	;; [unrolled: 3-line block ×3, first 2 shown]
	s_cbranch_vccz .LBB135_522
; %bb.520:
	v_cmp_eq_u16_e32 vcc, 46, v8
	s_mov_b64 s[2:3], -1
	s_mov_b64 s[12:13], 0
	s_cbranch_vccz .LBB135_522
; %bb.521:
	s_lshl_b32 s2, s16, 24
	s_and_b32 s3, s2, 0x80000000
	s_and_b32 s2, s2, 0x7f000000
	s_flbit_i32_b32 s10, s2
	s_min_u32 s10, s10, 32
	v_sub_u32_e64 v1, s10, 4 clamp
	v_readfirstlane_b32 s11, v1
	s_lshl_b32 s14, s2, s11
	s_add_i32 s10, s2, 0x1000000
	s_lshr_b32 s14, s14, 4
	s_lshl_b32 s11, s11, 23
	s_ashr_i32 s10, s10, 8
	s_sub_i32 s11, s14, s11
	s_and_b32 s10, s10, 0x7f800000
	s_add_i32 s11, s11, 0x3c000000
	s_or_b32 s10, s11, s10
	s_cmp_lg_u32 s2, 0
	s_cselect_b32 s2, s10, 0
	s_or_b32 s3, s2, s3
	s_bfe_u32 s2, s2, 0x10010
	s_add_i32 s2, s3, s2
	s_addk_i32 s2, 0x7fff
	s_lshr_b32 s10, s2, 16
	v_cmp_o_f32_e64 s[2:3], s3, s3
	s_and_b64 s[2:3], s[2:3], exec
	s_cselect_b32 s2, s10, 0x7fc0
	v_mov_b32_e32 v1, s2
	global_store_dword v[6:7], v1, off
	s_mov_b64 s[2:3], 0
	s_mov_b64 s[10:11], -1
.LBB135_522:
	s_and_b64 vcc, exec, s[12:13]
	s_cbranch_vccz .LBB135_527
; %bb.523:
	v_cmp_eq_u16_e32 vcc, 44, v8
	s_mov_b64 s[2:3], -1
	s_cbranch_vccz .LBB135_527
; %bb.524:
	s_lshl_b32 s2, s16, 24
	s_and_b32 s2, s2, 0x7f000000
	s_flbit_i32_b32 s3, s2
	s_min_u32 s3, s3, 32
	v_sub_u32_e64 v1, s3, 4 clamp
	v_readfirstlane_b32 s10, v1
	s_lshl_b32 s11, s2, s10
	s_add_i32 s3, s2, 0x1000000
	s_lshr_b32 s11, s11, 4
	s_lshl_b32 s10, s10, 23
	s_ashr_i32 s3, s3, 8
	s_sub_i32 s10, s11, s10
	s_and_b32 s3, s3, 0x7f800000
	s_add_i32 s10, s10, 0x3c000000
	s_or_b32 s3, s10, s3
	s_cmp_lg_u32 s2, 0
	s_cselect_b32 s3, s3, 0
	s_lshr_b32 s2, s3, 23
	s_cmpk_eq_i32 s2, 0xff
	v_mov_b32_e32 v1, 0xff
	s_cbranch_scc1 .LBB135_526
; %bb.525:
	s_bitcmp1_b32 s3, 22
	s_cselect_b64 s[10:11], -1, 0
	s_and_b32 s3, s3, 0x3fffff
	s_or_b32 s3, s2, s3
	s_cmp_lg_u32 s3, 0
	s_cselect_b64 s[12:13], -1, 0
	s_and_b64 s[10:11], s[10:11], s[12:13]
	v_cndmask_b32_e64 v1, 0, 1, s[10:11]
	v_add_u32_e32 v1, s2, v1
.LBB135_526:
	s_mov_b64 s[2:3], 0
	s_mov_b64 s[10:11], -1
	global_store_byte v[6:7], v1, off
.LBB135_527:
	s_mov_b64 s[12:13], 0
.LBB135_528:
	s_and_b64 vcc, exec, s[12:13]
	s_cbranch_vccz .LBB135_531
; %bb.529:
	v_cmp_eq_u16_e32 vcc, 29, v8
	s_mov_b64 s[2:3], -1
	s_cbranch_vccz .LBB135_531
; %bb.530:
	s_lshl_b32 s2, s16, 24
	s_and_b32 s3, s2, 0x80000000
	s_and_b32 s2, s2, 0x7f000000
	s_flbit_i32_b32 s10, s2
	s_min_u32 s10, s10, 32
	v_sub_u32_e64 v1, s10, 4 clamp
	v_readfirstlane_b32 s11, v1
	s_lshl_b32 s12, s2, s11
	s_add_i32 s10, s2, 0x1000000
	s_lshr_b32 s12, s12, 4
	s_lshl_b32 s11, s11, 23
	s_ashr_i32 s10, s10, 8
	s_sub_i32 s11, s12, s11
	s_and_b32 s10, s10, 0x7f800000
	s_add_i32 s11, s11, 0x3c000000
	s_or_b32 s10, s11, s10
	s_cmp_lg_u32 s2, 0
	s_cselect_b32 s2, s10, 0
	s_or_b32 s2, s2, s3
	v_trunc_f32_e32 v1, s2
	v_mul_f32_e32 v3, 0x2f800000, v1
	v_floor_f32_e32 v3, v3
	v_fmac_f32_e32 v1, 0xcf800000, v3
	v_cvt_u32_f32_e32 v10, v1
	v_cvt_u32_f32_e32 v11, v3
	s_mov_b64 s[2:3], 0
	s_mov_b64 s[10:11], -1
	global_store_dwordx2 v[6:7], v[10:11], off
.LBB135_531:
	s_mov_b64 s[12:13], 0
.LBB135_532:
	s_and_b64 vcc, exec, s[12:13]
	s_cbranch_vccz .LBB135_552
; %bb.533:
	v_cmp_gt_i16_e32 vcc, 27, v8
	s_mov_b64 s[10:11], -1
	s_cbranch_vccnz .LBB135_539
; %bb.534:
	v_cmp_lt_i16_e32 vcc, 27, v8
	s_cbranch_vccz .LBB135_536
; %bb.535:
	s_lshl_b32 s10, s16, 24
	s_and_b32 s11, s10, 0x80000000
	s_and_b32 s10, s10, 0x7f000000
	s_flbit_i32_b32 s12, s10
	s_min_u32 s12, s12, 32
	v_sub_u32_e64 v1, s12, 4 clamp
	v_readfirstlane_b32 s13, v1
	s_lshl_b32 s14, s10, s13
	s_add_i32 s12, s10, 0x1000000
	s_lshr_b32 s14, s14, 4
	s_lshl_b32 s13, s13, 23
	s_ashr_i32 s12, s12, 8
	s_sub_i32 s13, s14, s13
	s_and_b32 s12, s12, 0x7f800000
	s_add_i32 s13, s13, 0x3c000000
	s_or_b32 s12, s13, s12
	s_cmp_lg_u32 s10, 0
	s_cselect_b32 s10, s12, 0
	s_or_b32 s10, s10, s11
	v_cvt_u32_f32_e32 v1, s10
	s_mov_b64 s[10:11], 0
	global_store_dword v[6:7], v1, off
.LBB135_536:
	s_andn2_b64 vcc, exec, s[10:11]
	s_cbranch_vccnz .LBB135_538
; %bb.537:
	s_lshl_b32 s10, s16, 24
	s_and_b32 s11, s10, 0x80000000
	s_and_b32 s10, s10, 0x7f000000
	s_flbit_i32_b32 s12, s10
	s_min_u32 s12, s12, 32
	v_sub_u32_e64 v1, s12, 4 clamp
	v_readfirstlane_b32 s13, v1
	s_lshl_b32 s14, s10, s13
	s_add_i32 s12, s10, 0x1000000
	s_lshr_b32 s14, s14, 4
	s_lshl_b32 s13, s13, 23
	s_ashr_i32 s12, s12, 8
	s_sub_i32 s13, s14, s13
	s_and_b32 s12, s12, 0x7f800000
	s_add_i32 s13, s13, 0x3c000000
	s_or_b32 s12, s13, s12
	s_cmp_lg_u32 s10, 0
	s_cselect_b32 s10, s12, 0
	s_or_b32 s10, s10, s11
	v_cvt_u32_f32_e32 v1, s10
	global_store_short v[6:7], v1, off
.LBB135_538:
	s_mov_b64 s[10:11], 0
.LBB135_539:
	s_andn2_b64 vcc, exec, s[10:11]
	s_cbranch_vccnz .LBB135_551
; %bb.540:
	s_lshl_b32 s10, s16, 24
	s_and_b32 s11, s10, 0x80000000
	s_and_b32 s10, s10, 0x7f000000
	s_flbit_i32_b32 s12, s10
	s_min_u32 s12, s12, 32
	v_sub_u32_e64 v1, s12, 4 clamp
	v_readfirstlane_b32 s13, v1
	s_lshl_b32 s14, s10, s13
	s_add_i32 s12, s10, 0x1000000
	s_lshr_b32 s14, s14, 4
	s_lshl_b32 s13, s13, 23
	s_ashr_i32 s12, s12, 8
	s_sub_i32 s13, s14, s13
	s_and_b32 s12, s12, 0x7f800000
	s_add_i32 s13, s13, 0x3c000000
	s_or_b32 s12, s13, s12
	s_cmp_lg_u32 s10, 0
	s_cselect_b32 s10, s12, 0
	s_or_b32 s14, s10, s11
	s_and_b32 s11, s14, 0x7fffffff
	s_cmp_gt_u32 s11, 0x437fffff
	v_mov_b32_e32 v3, 0x80
	s_cbranch_scc1 .LBB135_550
; %bb.541:
	s_cmp_gt_u32 s11, 0x3bffffff
	s_cbranch_scc0 .LBB135_545
; %bb.542:
	s_bfe_u32 s10, s10, 0x10014
	s_add_i32 s10, s14, s10
	s_add_i32 s10, s10, 0x487ffff
	s_lshr_b32 s15, s10, 20
	s_mov_b64 s[12:13], 0
	s_mov_b64 s[10:11], -1
	s_branch .LBB135_546
.LBB135_543:
	s_mov_b64 s[10:11], 0
	s_mov_b64 s[2:3], s[6:7]
	s_cbranch_execnz .LBB135_593
.LBB135_544:
	s_andn2_b64 vcc, exec, s[10:11]
	s_cbranch_vccz .LBB135_631
	s_branch .LBB135_909
.LBB135_545:
	s_mov_b64 s[12:13], -1
	s_mov_b64 s[10:11], 0
                                        ; implicit-def: $sgpr15
.LBB135_546:
	s_andn2_b64 vcc, exec, s[12:13]
	v_mov_b32_e32 v1, s15
                                        ; implicit-def: $sgpr12
	s_cbranch_vccnz .LBB135_548
; %bb.547:
	v_mov_b32_e32 v1, 0x46000000
	v_add_f32_e64 v1, |s14|, v1
	v_and_b32_e32 v1, 0xff, v1
	s_mov_b32 s12, 0
	v_cmp_ne_u32_e64 s[10:11], 0, v1
.LBB135_548:
	s_andn2_b64 vcc, exec, s[10:11]
	v_mov_b32_e32 v3, s12
	s_cbranch_vccnz .LBB135_550
; %bb.549:
	s_lshr_b32 s10, s14, 24
	s_and_b32 s10, s10, 0x80
	v_or_b32_e32 v3, s10, v1
.LBB135_550:
	global_store_byte v[6:7], v3, off
.LBB135_551:
	s_mov_b64 s[10:11], -1
.LBB135_552:
	s_mov_b64 s[12:13], 0
.LBB135_553:
	s_and_b64 vcc, exec, s[12:13]
	s_cbranch_vccz .LBB135_589
; %bb.554:
	v_cmp_lt_i16_e32 vcc, 22, v8
	s_mov_b64 s[4:5], -1
	s_cbranch_vccz .LBB135_582
; %bb.555:
	v_cmp_gt_i16_e32 vcc, 24, v8
	s_cbranch_vccnz .LBB135_569
; %bb.556:
	v_cmp_lt_i16_e32 vcc, 24, v8
	s_cbranch_vccz .LBB135_566
; %bb.557:
	s_lshl_b32 s4, s16, 24
	s_and_b32 s5, s4, 0x80000000
	s_and_b32 s4, s4, 0x7f000000
	s_flbit_i32_b32 s10, s4
	s_min_u32 s10, s10, 32
	v_sub_u32_e64 v1, s10, 4 clamp
	v_readfirstlane_b32 s11, v1
	s_lshl_b32 s12, s4, s11
	s_add_i32 s10, s4, 0x1000000
	s_lshr_b32 s12, s12, 4
	s_lshl_b32 s11, s11, 23
	s_ashr_i32 s10, s10, 8
	s_sub_i32 s11, s12, s11
	s_and_b32 s10, s10, 0x7f800000
	s_add_i32 s11, s11, 0x3c000000
	s_or_b32 s10, s11, s10
	s_cmp_lg_u32 s4, 0
	s_cselect_b32 s4, s10, 0
	s_or_b32 s12, s4, s5
	s_and_b32 s5, s12, 0x7fffffff
	s_cmp_gt_u32 s5, 0x477fffff
	v_mov_b32_e32 v3, 0x80
	s_cbranch_scc1 .LBB135_565
; %bb.558:
	s_cmp_gt_u32 s5, 0x37ffffff
	s_cbranch_scc0 .LBB135_560
; %bb.559:
	s_bfe_u32 s4, s4, 0x10015
	s_add_i32 s4, s12, s4
	s_add_i32 s4, s4, 0x88fffff
	s_lshr_b32 s13, s4, 21
	s_mov_b64 s[10:11], 0
	s_mov_b64 s[4:5], -1
	s_branch .LBB135_561
.LBB135_560:
	s_mov_b64 s[10:11], -1
	s_mov_b64 s[4:5], 0
                                        ; implicit-def: $sgpr13
.LBB135_561:
	s_andn2_b64 vcc, exec, s[10:11]
	v_mov_b32_e32 v1, s13
                                        ; implicit-def: $sgpr10
	s_cbranch_vccnz .LBB135_563
; %bb.562:
	v_mov_b32_e32 v1, 0x42800000
	v_add_f32_e64 v1, |s12|, v1
	v_and_b32_e32 v1, 0xff, v1
	s_mov_b32 s10, 0
	v_cmp_ne_u32_e64 s[4:5], 0, v1
.LBB135_563:
	s_andn2_b64 vcc, exec, s[4:5]
	v_mov_b32_e32 v3, s10
	s_cbranch_vccnz .LBB135_565
; %bb.564:
	s_lshr_b32 s4, s12, 24
	s_and_b32 s4, s4, 0x80
	v_or_b32_e32 v3, s4, v1
.LBB135_565:
	s_mov_b64 s[4:5], 0
	global_store_byte v[6:7], v3, off
.LBB135_566:
	s_and_b64 vcc, exec, s[4:5]
	s_cbranch_vccz .LBB135_568
; %bb.567:
	v_mov_b32_e32 v1, s16
	global_store_byte v[6:7], v1, off
.LBB135_568:
	s_mov_b64 s[4:5], 0
.LBB135_569:
	s_andn2_b64 vcc, exec, s[4:5]
	s_cbranch_vccnz .LBB135_581
; %bb.570:
	s_lshl_b32 s4, s16, 24
	s_and_b32 s5, s4, 0x80000000
	s_and_b32 s4, s4, 0x7f000000
	s_flbit_i32_b32 s10, s4
	s_min_u32 s10, s10, 32
	v_sub_u32_e64 v1, s10, 4 clamp
	v_readfirstlane_b32 s11, v1
	s_lshl_b32 s12, s4, s11
	s_add_i32 s10, s4, 0x1000000
	s_lshr_b32 s12, s12, 4
	s_lshl_b32 s11, s11, 23
	s_ashr_i32 s10, s10, 8
	s_sub_i32 s11, s12, s11
	s_and_b32 s10, s10, 0x7f800000
	s_add_i32 s11, s11, 0x3c000000
	s_or_b32 s10, s11, s10
	s_cmp_lg_u32 s4, 0
	s_cselect_b32 s4, s10, 0
	s_or_b32 s10, s4, s5
	s_and_b32 s11, s10, 0x7fffffff
	s_cmp_lt_u32 s11, 0x47800000
	s_cbranch_scc0 .LBB135_573
; %bb.571:
	s_cmp_gt_u32 s11, 0x387fffff
	s_cbranch_scc0 .LBB135_574
; %bb.572:
	s_bfe_u32 s4, s4, 0x10015
	s_add_i32 s4, s10, s4
	s_add_i32 s4, s4, 0x80fffff
	s_lshr_b32 s12, s4, 21
	s_mov_b64 s[4:5], 0
	s_branch .LBB135_575
.LBB135_573:
	s_mov_b64 s[4:5], -1
                                        ; implicit-def: $vgpr1
	s_branch .LBB135_578
.LBB135_574:
	s_mov_b64 s[4:5], -1
                                        ; implicit-def: $sgpr12
.LBB135_575:
	s_andn2_b64 vcc, exec, s[4:5]
	v_mov_b32_e32 v1, s12
	s_cbranch_vccnz .LBB135_577
; %bb.576:
	v_mov_b32_e32 v1, 0x43000000
	v_add_f32_e64 v1, |s10|, v1
.LBB135_577:
	s_mov_b64 s[4:5], 0
.LBB135_578:
	s_andn2_b64 vcc, exec, s[4:5]
	s_cbranch_vccnz .LBB135_580
; %bb.579:
	s_cmp_gt_u32 s11, 0x7f800000
	s_movk_i32 s4, 0x7f
	s_cselect_b32 s4, s4, 0x7c
	v_mov_b32_e32 v1, s4
.LBB135_580:
	s_lshr_b32 s4, s10, 24
	s_and_b32 s4, s4, 0x80
	v_or_b32_e32 v1, s4, v1
	global_store_byte v[6:7], v1, off
.LBB135_581:
	s_mov_b64 s[4:5], 0
	s_mov_b64 s[10:11], -1
.LBB135_582:
	s_andn2_b64 vcc, exec, s[4:5]
	s_mov_b64 s[4:5], 0
	s_cbranch_vccnz .LBB135_589
; %bb.583:
	v_cmp_lt_i16_e32 vcc, 14, v8
	s_mov_b64 s[12:13], -1
	s_cbranch_vccz .LBB135_587
; %bb.584:
	v_cmp_eq_u16_e32 vcc, 15, v8
	s_mov_b64 s[2:3], -1
	s_cbranch_vccz .LBB135_586
; %bb.585:
	s_lshl_b32 s2, s16, 24
	s_and_b32 s3, s2, 0x80000000
	s_and_b32 s2, s2, 0x7f000000
	s_flbit_i32_b32 s4, s2
	s_min_u32 s4, s4, 32
	v_sub_u32_e64 v1, s4, 4 clamp
	v_readfirstlane_b32 s5, v1
	s_lshl_b32 s10, s2, s5
	s_add_i32 s4, s2, 0x1000000
	s_lshr_b32 s10, s10, 4
	s_lshl_b32 s5, s5, 23
	s_ashr_i32 s4, s4, 8
	s_sub_i32 s5, s10, s5
	s_and_b32 s4, s4, 0x7f800000
	s_add_i32 s5, s5, 0x3c000000
	s_or_b32 s4, s5, s4
	s_cmp_lg_u32 s2, 0
	s_cselect_b32 s2, s4, 0
	s_or_b32 s3, s2, s3
	s_bfe_u32 s2, s2, 0x10010
	s_add_i32 s2, s3, s2
	s_addk_i32 s2, 0x7fff
	s_lshr_b32 s4, s2, 16
	v_cmp_o_f32_e64 s[2:3], s3, s3
	s_and_b64 s[2:3], s[2:3], exec
	s_cselect_b32 s2, s4, 0x7fc0
	v_mov_b32_e32 v1, s2
	global_store_short v[6:7], v1, off
	s_mov_b64 s[2:3], 0
	s_mov_b64 s[10:11], -1
.LBB135_586:
	s_mov_b64 s[12:13], 0
.LBB135_587:
	s_mov_b64 s[4:5], 0
	s_and_b64 vcc, exec, s[12:13]
	s_cbranch_vccz .LBB135_589
; %bb.588:
	v_cmp_ne_u16_e64 s[2:3], 11, v8
	s_mov_b64 s[4:5], -1
.LBB135_589:
	s_and_b64 vcc, exec, s[2:3]
	s_mov_b64 s[2:3], s[6:7]
	s_cbranch_vccnz .LBB135_661
; %bb.590:
	s_andn2_b64 vcc, exec, s[4:5]
	s_cbranch_vccnz .LBB135_592
.LBB135_591:
	s_lshl_b32 s4, s16, 24
	s_and_b32 s4, s4, 0x7f000000
	s_flbit_i32_b32 s5, s4
	s_min_u32 s5, s5, 32
	v_sub_u32_e64 v1, s5, 4 clamp
	s_add_i32 s5, s4, 0x1000000
	s_ashr_i32 s5, s5, 8
	s_and_b32 s10, s5, 0x7f800000
	v_readfirstlane_b32 s5, v1
	s_lshl_b32 s11, s4, s5
	s_lshr_b32 s11, s11, 4
	s_lshl_b32 s5, s5, 23
	s_sub_i32 s5, s11, s5
	s_add_i32 s11, s5, 0x3c000000
	s_cmp_lg_u32 s4, 0
	s_cselect_b64 s[4:5], -1, 0
	s_and_b32 s11, s11, 0x7ff00000
	s_or_b32 s10, s11, s10
	s_cmp_lg_u32 s10, 0
	s_cselect_b64 s[10:11], -1, 0
	s_and_b64 s[4:5], s[4:5], s[10:11]
	v_cndmask_b32_e64 v1, 0, 1, s[4:5]
	global_store_byte v[6:7], v1, off
	s_mov_b64 s[10:11], -1
.LBB135_592:
	s_branch .LBB135_544
.LBB135_593:
	v_cmp_gt_i16_e32 vcc, 5, v8
	s_mov_b64 s[4:5], -1
	s_cbranch_vccnz .LBB135_614
; %bb.594:
	v_cmp_gt_i16_e32 vcc, 8, v8
	s_cbranch_vccnz .LBB135_604
; %bb.595:
	v_cmp_gt_i16_e32 vcc, 9, v8
	s_cbranch_vccnz .LBB135_601
; %bb.596:
	v_cmp_lt_i16_e32 vcc, 9, v8
	s_cbranch_vccz .LBB135_598
; %bb.597:
	s_lshl_b32 s4, s16, 24
	s_and_b32 s5, s4, 0x80000000
	s_and_b32 s4, s4, 0x7f000000
	s_flbit_i32_b32 s10, s4
	s_min_u32 s10, s10, 32
	v_sub_u32_e64 v1, s10, 4 clamp
	v_readfirstlane_b32 s11, v1
	s_lshl_b32 s12, s4, s11
	s_add_i32 s10, s4, 0x1000000
	s_lshr_b32 s12, s12, 4
	s_lshl_b32 s11, s11, 23
	s_ashr_i32 s10, s10, 8
	s_sub_i32 s11, s12, s11
	s_and_b32 s10, s10, 0x7f800000
	s_add_i32 s11, s11, 0x3c000000
	s_or_b32 s10, s11, s10
	s_cmp_lg_u32 s4, 0
	s_cselect_b32 s4, s10, 0
	s_or_b32 s4, s4, s5
	v_mov_b32_e32 v12, 0
	v_cvt_f64_f32_e32 v[10:11], s4
	v_mov_b32_e32 v13, v12
	global_store_dwordx4 v[6:7], v[10:13], off
	s_mov_b64 s[4:5], 0
.LBB135_598:
	s_andn2_b64 vcc, exec, s[4:5]
	s_cbranch_vccnz .LBB135_600
; %bb.599:
	s_lshl_b32 s4, s16, 24
	s_and_b32 s5, s4, 0x80000000
	s_and_b32 s4, s4, 0x7f000000
	s_flbit_i32_b32 s10, s4
	s_min_u32 s10, s10, 32
	v_sub_u32_e64 v1, s10, 4 clamp
	v_readfirstlane_b32 s11, v1
	s_lshl_b32 s12, s4, s11
	s_add_i32 s10, s4, 0x1000000
	s_lshr_b32 s12, s12, 4
	s_lshl_b32 s11, s11, 23
	s_ashr_i32 s10, s10, 8
	s_sub_i32 s11, s12, s11
	s_and_b32 s10, s10, 0x7f800000
	s_add_i32 s11, s11, 0x3c000000
	s_or_b32 s10, s11, s10
	s_cmp_lg_u32 s4, 0
	s_cselect_b32 s4, s10, 0
	s_or_b32 s4, s4, s5
	v_mov_b32_e32 v10, s4
	v_mov_b32_e32 v11, 0
	global_store_dwordx2 v[6:7], v[10:11], off
.LBB135_600:
	s_mov_b64 s[4:5], 0
.LBB135_601:
	s_andn2_b64 vcc, exec, s[4:5]
	s_cbranch_vccnz .LBB135_603
; %bb.602:
	s_lshl_b32 s4, s16, 24
	s_and_b32 s5, s4, 0x80000000
	s_and_b32 s4, s4, 0x7f000000
	s_flbit_i32_b32 s10, s4
	s_min_u32 s10, s10, 32
	v_sub_u32_e64 v1, s10, 4 clamp
	v_readfirstlane_b32 s11, v1
	s_lshl_b32 s12, s4, s11
	s_add_i32 s10, s4, 0x1000000
	s_lshr_b32 s12, s12, 4
	s_lshl_b32 s11, s11, 23
	s_ashr_i32 s10, s10, 8
	s_sub_i32 s11, s12, s11
	s_and_b32 s10, s10, 0x7f800000
	s_add_i32 s11, s11, 0x3c000000
	s_or_b32 s10, s11, s10
	s_cmp_lg_u32 s4, 0
	s_cselect_b32 s4, s10, 0
	s_or_b32 s4, s4, s5
	v_cvt_f16_f32_e32 v1, s4
	global_store_dword v[6:7], v1, off
.LBB135_603:
	s_mov_b64 s[4:5], 0
.LBB135_604:
	s_andn2_b64 vcc, exec, s[4:5]
	s_cbranch_vccnz .LBB135_613
; %bb.605:
	v_cmp_gt_i16_e32 vcc, 6, v8
	s_mov_b64 s[4:5], -1
	s_cbranch_vccnz .LBB135_611
; %bb.606:
	v_cmp_lt_i16_e32 vcc, 6, v8
	s_cbranch_vccz .LBB135_608
; %bb.607:
	s_lshl_b32 s4, s16, 24
	s_and_b32 s5, s4, 0x80000000
	s_and_b32 s4, s4, 0x7f000000
	s_flbit_i32_b32 s10, s4
	s_min_u32 s10, s10, 32
	v_sub_u32_e64 v1, s10, 4 clamp
	v_readfirstlane_b32 s11, v1
	s_lshl_b32 s12, s4, s11
	s_add_i32 s10, s4, 0x1000000
	s_lshr_b32 s12, s12, 4
	s_lshl_b32 s11, s11, 23
	s_ashr_i32 s10, s10, 8
	s_sub_i32 s11, s12, s11
	s_and_b32 s10, s10, 0x7f800000
	s_add_i32 s11, s11, 0x3c000000
	s_or_b32 s10, s11, s10
	s_cmp_lg_u32 s4, 0
	s_cselect_b32 s4, s10, 0
	s_or_b32 s4, s4, s5
	v_cvt_f64_f32_e32 v[10:11], s4
	global_store_dwordx2 v[6:7], v[10:11], off
	s_mov_b64 s[4:5], 0
.LBB135_608:
	s_andn2_b64 vcc, exec, s[4:5]
	s_cbranch_vccnz .LBB135_610
; %bb.609:
	s_lshl_b32 s4, s16, 24
	s_and_b32 s5, s4, 0x80000000
	s_and_b32 s4, s4, 0x7f000000
	s_flbit_i32_b32 s10, s4
	s_min_u32 s10, s10, 32
	v_sub_u32_e64 v1, s10, 4 clamp
	v_readfirstlane_b32 s11, v1
	s_lshl_b32 s12, s4, s11
	s_add_i32 s10, s4, 0x1000000
	s_lshr_b32 s12, s12, 4
	s_lshl_b32 s11, s11, 23
	s_ashr_i32 s10, s10, 8
	s_sub_i32 s11, s12, s11
	s_and_b32 s10, s10, 0x7f800000
	s_add_i32 s11, s11, 0x3c000000
	s_or_b32 s10, s11, s10
	s_cmp_lg_u32 s4, 0
	s_cselect_b32 s4, s10, 0
	s_or_b32 s4, s4, s5
	v_mov_b32_e32 v1, s4
	global_store_dword v[6:7], v1, off
.LBB135_610:
	s_mov_b64 s[4:5], 0
.LBB135_611:
	s_andn2_b64 vcc, exec, s[4:5]
	s_cbranch_vccnz .LBB135_613
; %bb.612:
	s_lshl_b32 s4, s16, 24
	s_and_b32 s5, s4, 0x80000000
	s_and_b32 s4, s4, 0x7f000000
	s_flbit_i32_b32 s10, s4
	s_min_u32 s10, s10, 32
	v_sub_u32_e64 v1, s10, 4 clamp
	v_readfirstlane_b32 s11, v1
	s_lshl_b32 s12, s4, s11
	s_add_i32 s10, s4, 0x1000000
	s_lshr_b32 s12, s12, 4
	s_lshl_b32 s11, s11, 23
	s_ashr_i32 s10, s10, 8
	s_sub_i32 s11, s12, s11
	s_and_b32 s10, s10, 0x7f800000
	s_add_i32 s11, s11, 0x3c000000
	s_or_b32 s10, s11, s10
	s_cmp_lg_u32 s4, 0
	s_cselect_b32 s4, s10, 0
	s_or_b32 s4, s4, s5
	v_cvt_f16_f32_e32 v1, s4
	global_store_short v[6:7], v1, off
.LBB135_613:
	s_mov_b64 s[4:5], 0
.LBB135_614:
	s_andn2_b64 vcc, exec, s[4:5]
	s_cbranch_vccnz .LBB135_630
; %bb.615:
	v_cmp_gt_i16_e32 vcc, 2, v8
	s_mov_b64 s[4:5], -1
	s_cbranch_vccnz .LBB135_625
; %bb.616:
	v_cmp_gt_i16_e32 vcc, 3, v8
	s_cbranch_vccnz .LBB135_622
; %bb.617:
	v_cmp_lt_i16_e32 vcc, 3, v8
	s_cbranch_vccz .LBB135_619
; %bb.618:
	s_lshl_b32 s4, s16, 24
	s_and_b32 s5, s4, 0x80000000
	s_and_b32 s4, s4, 0x7f000000
	s_flbit_i32_b32 s10, s4
	s_min_u32 s10, s10, 32
	v_sub_u32_e64 v1, s10, 4 clamp
	v_readfirstlane_b32 s11, v1
	s_lshl_b32 s12, s4, s11
	s_add_i32 s10, s4, 0x1000000
	s_lshr_b32 s12, s12, 4
	s_lshl_b32 s11, s11, 23
	s_ashr_i32 s10, s10, 8
	s_sub_i32 s11, s12, s11
	s_and_b32 s10, s10, 0x7f800000
	s_add_i32 s11, s11, 0x3c000000
	s_or_b32 s10, s11, s10
	s_cmp_lg_u32 s4, 0
	s_cselect_b32 s4, s10, 0
	s_or_b32 s4, s4, s5
	v_trunc_f32_e32 v1, s4
	s_mov_b32 s4, 0x2f800000
	v_mul_f32_e64 v3, |v1|, s4
	v_floor_f32_e32 v3, v3
	s_mov_b32 s4, 0xcf800000
	v_fma_f32 v5, v3, s4, |v1|
	v_cvt_u32_f32_e32 v5, v5
	v_cvt_u32_f32_e32 v3, v3
	v_ashrrev_i32_e32 v1, 31, v1
	s_mov_b64 s[4:5], 0
	v_xor_b32_e32 v5, v5, v1
	v_xor_b32_e32 v3, v3, v1
	v_sub_co_u32_e32 v10, vcc, v5, v1
	v_subb_co_u32_e32 v11, vcc, v3, v1, vcc
	global_store_dwordx2 v[6:7], v[10:11], off
.LBB135_619:
	s_andn2_b64 vcc, exec, s[4:5]
	s_cbranch_vccnz .LBB135_621
; %bb.620:
	s_lshl_b32 s4, s16, 24
	s_and_b32 s5, s4, 0x80000000
	s_and_b32 s4, s4, 0x7f000000
	s_flbit_i32_b32 s10, s4
	s_min_u32 s10, s10, 32
	v_sub_u32_e64 v1, s10, 4 clamp
	v_readfirstlane_b32 s11, v1
	s_lshl_b32 s12, s4, s11
	s_add_i32 s10, s4, 0x1000000
	s_lshr_b32 s12, s12, 4
	s_lshl_b32 s11, s11, 23
	s_ashr_i32 s10, s10, 8
	s_sub_i32 s11, s12, s11
	s_and_b32 s10, s10, 0x7f800000
	s_add_i32 s11, s11, 0x3c000000
	s_or_b32 s10, s11, s10
	s_cmp_lg_u32 s4, 0
	s_cselect_b32 s4, s10, 0
	s_or_b32 s4, s4, s5
	v_cvt_i32_f32_e32 v1, s4
	global_store_dword v[6:7], v1, off
.LBB135_621:
	s_mov_b64 s[4:5], 0
.LBB135_622:
	s_andn2_b64 vcc, exec, s[4:5]
	s_cbranch_vccnz .LBB135_624
; %bb.623:
	s_lshl_b32 s4, s16, 24
	s_and_b32 s5, s4, 0x80000000
	s_and_b32 s4, s4, 0x7f000000
	s_flbit_i32_b32 s10, s4
	s_min_u32 s10, s10, 32
	v_sub_u32_e64 v1, s10, 4 clamp
	v_readfirstlane_b32 s11, v1
	s_lshl_b32 s12, s4, s11
	s_add_i32 s10, s4, 0x1000000
	s_lshr_b32 s12, s12, 4
	s_lshl_b32 s11, s11, 23
	s_ashr_i32 s10, s10, 8
	s_sub_i32 s11, s12, s11
	s_and_b32 s10, s10, 0x7f800000
	s_add_i32 s11, s11, 0x3c000000
	s_or_b32 s10, s11, s10
	s_cmp_lg_u32 s4, 0
	s_cselect_b32 s4, s10, 0
	s_or_b32 s4, s4, s5
	v_cvt_i32_f32_e32 v1, s4
	global_store_short v[6:7], v1, off
.LBB135_624:
	s_mov_b64 s[4:5], 0
.LBB135_625:
	s_andn2_b64 vcc, exec, s[4:5]
	s_cbranch_vccnz .LBB135_630
; %bb.626:
	v_cmp_lt_i16_e32 vcc, 0, v8
	s_mov_b64 s[4:5], -1
	s_cbranch_vccz .LBB135_628
; %bb.627:
	s_lshl_b32 s4, s16, 24
	s_and_b32 s5, s4, 0x80000000
	s_and_b32 s4, s4, 0x7f000000
	s_flbit_i32_b32 s10, s4
	s_min_u32 s10, s10, 32
	v_sub_u32_e64 v1, s10, 4 clamp
	v_readfirstlane_b32 s11, v1
	s_lshl_b32 s12, s4, s11
	s_add_i32 s10, s4, 0x1000000
	s_lshr_b32 s12, s12, 4
	s_lshl_b32 s11, s11, 23
	s_ashr_i32 s10, s10, 8
	s_sub_i32 s11, s12, s11
	s_and_b32 s10, s10, 0x7f800000
	s_add_i32 s11, s11, 0x3c000000
	s_or_b32 s10, s11, s10
	s_cmp_lg_u32 s4, 0
	s_cselect_b32 s4, s10, 0
	s_or_b32 s4, s4, s5
	v_cvt_i32_f32_e32 v1, s4
	s_mov_b64 s[4:5], 0
	global_store_byte v[6:7], v1, off
.LBB135_628:
	s_andn2_b64 vcc, exec, s[4:5]
	s_cbranch_vccnz .LBB135_630
; %bb.629:
	s_lshl_b32 s4, s16, 24
	s_and_b32 s5, s4, 0x80000000
	s_and_b32 s4, s4, 0x7f000000
	s_flbit_i32_b32 s10, s4
	s_min_u32 s10, s10, 32
	v_sub_u32_e64 v1, s10, 4 clamp
	v_readfirstlane_b32 s11, v1
	s_lshl_b32 s12, s4, s11
	s_add_i32 s10, s4, 0x1000000
	s_lshr_b32 s12, s12, 4
	s_lshl_b32 s11, s11, 23
	s_ashr_i32 s10, s10, 8
	s_sub_i32 s11, s12, s11
	s_and_b32 s10, s10, 0x7f800000
	s_add_i32 s11, s11, 0x3c000000
	s_or_b32 s10, s11, s10
	s_cmp_lg_u32 s4, 0
	s_cselect_b32 s4, s10, 0
	s_or_b32 s4, s4, s5
	v_trunc_f32_e32 v1, s4
	s_mov_b32 s4, 0x2f800000
	v_mul_f32_e64 v3, |v1|, s4
	v_floor_f32_e32 v3, v3
	s_mov_b32 s4, 0xcf800000
	v_fma_f32 v3, v3, s4, |v1|
	v_cvt_u32_f32_e32 v3, v3
	v_ashrrev_i32_e32 v1, 31, v1
	v_xor_b32_e32 v3, v3, v1
	v_sub_u32_e32 v1, v3, v1
	global_store_byte v[6:7], v1, off
.LBB135_630:
.LBB135_631:
	v_mov_b32_e32 v1, s9
	v_add_co_u32_e32 v4, vcc, s8, v4
	v_addc_co_u32_e32 v5, vcc, 0, v1, vcc
	s_and_b64 vcc, exec, s[0:1]
	s_cbranch_vccnz .LBB135_659
; %bb.632:
	v_cmp_lt_i16_e32 vcc, 25, v8
	s_mov_b64 s[14:15], -1
	s_mov_b64 s[10:11], 0
	s_mov_b64 s[12:13], 0
	;; [unrolled: 1-line block ×3, first 2 shown]
	s_cbranch_vccz .LBB135_670
; %bb.633:
	v_cmp_lt_i16_e32 vcc, 28, v8
	s_cbranch_vccz .LBB135_648
; %bb.634:
	v_cmp_lt_i16_e32 vcc, 43, v8
	;; [unrolled: 3-line block ×3, first 2 shown]
	s_cbranch_vccz .LBB135_638
; %bb.636:
	v_cmp_eq_u16_e32 vcc, 46, v8
	s_mov_b64 s[4:5], -1
	s_mov_b64 s[14:15], 0
	s_cbranch_vccz .LBB135_638
; %bb.637:
	s_lshl_b32 s4, s16, 24
	s_and_b32 s5, s4, 0x80000000
	s_and_b32 s4, s4, 0x7f000000
	s_flbit_i32_b32 s12, s4
	s_min_u32 s12, s12, 32
	v_sub_u32_e64 v1, s12, 4 clamp
	v_readfirstlane_b32 s13, v1
	s_lshl_b32 s17, s4, s13
	s_add_i32 s12, s4, 0x1000000
	s_lshr_b32 s17, s17, 4
	s_lshl_b32 s13, s13, 23
	s_ashr_i32 s12, s12, 8
	s_sub_i32 s13, s17, s13
	s_and_b32 s12, s12, 0x7f800000
	s_add_i32 s13, s13, 0x3c000000
	s_or_b32 s12, s13, s12
	s_cmp_lg_u32 s4, 0
	s_cselect_b32 s4, s12, 0
	s_or_b32 s5, s4, s5
	s_bfe_u32 s4, s4, 0x10010
	s_add_i32 s4, s5, s4
	s_addk_i32 s4, 0x7fff
	s_lshr_b32 s12, s4, 16
	v_cmp_o_f32_e64 s[4:5], s5, s5
	s_and_b64 s[4:5], s[4:5], exec
	s_cselect_b32 s4, s12, 0x7fc0
	v_mov_b32_e32 v1, s4
	global_store_dword v[4:5], v1, off
	s_mov_b64 s[4:5], 0
	s_mov_b64 s[12:13], -1
.LBB135_638:
	s_and_b64 vcc, exec, s[14:15]
	s_cbranch_vccz .LBB135_643
; %bb.639:
	v_cmp_eq_u16_e32 vcc, 44, v8
	s_mov_b64 s[4:5], -1
	s_cbranch_vccz .LBB135_643
; %bb.640:
	s_lshl_b32 s4, s16, 24
	s_and_b32 s4, s4, 0x7f000000
	s_flbit_i32_b32 s5, s4
	s_min_u32 s5, s5, 32
	v_sub_u32_e64 v1, s5, 4 clamp
	v_readfirstlane_b32 s12, v1
	s_lshl_b32 s13, s4, s12
	s_add_i32 s5, s4, 0x1000000
	s_lshr_b32 s13, s13, 4
	s_lshl_b32 s12, s12, 23
	s_ashr_i32 s5, s5, 8
	s_sub_i32 s12, s13, s12
	s_and_b32 s5, s5, 0x7f800000
	s_add_i32 s12, s12, 0x3c000000
	s_or_b32 s5, s12, s5
	s_cmp_lg_u32 s4, 0
	s_cselect_b32 s5, s5, 0
	s_lshr_b32 s4, s5, 23
	s_cmpk_eq_i32 s4, 0xff
	v_mov_b32_e32 v1, 0xff
	s_cbranch_scc1 .LBB135_642
; %bb.641:
	s_bitcmp1_b32 s5, 22
	s_cselect_b64 s[12:13], -1, 0
	s_and_b32 s5, s5, 0x3fffff
	s_or_b32 s5, s4, s5
	s_cmp_lg_u32 s5, 0
	s_cselect_b64 s[14:15], -1, 0
	s_and_b64 s[12:13], s[12:13], s[14:15]
	v_cndmask_b32_e64 v1, 0, 1, s[12:13]
	v_add_u32_e32 v1, s4, v1
.LBB135_642:
	s_mov_b64 s[4:5], 0
	s_mov_b64 s[12:13], -1
	global_store_byte v[4:5], v1, off
.LBB135_643:
	s_mov_b64 s[14:15], 0
.LBB135_644:
	s_and_b64 vcc, exec, s[14:15]
	s_cbranch_vccz .LBB135_647
; %bb.645:
	v_cmp_eq_u16_e32 vcc, 29, v8
	s_mov_b64 s[4:5], -1
	s_cbranch_vccz .LBB135_647
; %bb.646:
	s_lshl_b32 s4, s16, 24
	s_and_b32 s5, s4, 0x80000000
	s_and_b32 s4, s4, 0x7f000000
	s_flbit_i32_b32 s12, s4
	s_min_u32 s12, s12, 32
	v_sub_u32_e64 v1, s12, 4 clamp
	v_readfirstlane_b32 s13, v1
	s_lshl_b32 s14, s4, s13
	s_add_i32 s12, s4, 0x1000000
	s_lshr_b32 s14, s14, 4
	s_lshl_b32 s13, s13, 23
	s_ashr_i32 s12, s12, 8
	s_sub_i32 s13, s14, s13
	s_and_b32 s12, s12, 0x7f800000
	s_add_i32 s13, s13, 0x3c000000
	s_or_b32 s12, s13, s12
	s_cmp_lg_u32 s4, 0
	s_cselect_b32 s4, s12, 0
	s_or_b32 s4, s4, s5
	v_trunc_f32_e32 v1, s4
	v_mul_f32_e32 v3, 0x2f800000, v1
	v_floor_f32_e32 v3, v3
	v_fmac_f32_e32 v1, 0xcf800000, v3
	v_cvt_u32_f32_e32 v6, v1
	v_cvt_u32_f32_e32 v7, v3
	s_mov_b64 s[4:5], 0
	s_mov_b64 s[12:13], -1
	global_store_dwordx2 v[4:5], v[6:7], off
.LBB135_647:
	s_mov_b64 s[14:15], 0
.LBB135_648:
	s_and_b64 vcc, exec, s[14:15]
	s_cbranch_vccz .LBB135_669
; %bb.649:
	v_cmp_gt_i16_e32 vcc, 27, v8
	s_mov_b64 s[12:13], -1
	s_cbranch_vccnz .LBB135_655
; %bb.650:
	v_cmp_lt_i16_e32 vcc, 27, v8
	s_cbranch_vccz .LBB135_652
; %bb.651:
	s_lshl_b32 s12, s16, 24
	s_and_b32 s13, s12, 0x80000000
	s_and_b32 s12, s12, 0x7f000000
	s_flbit_i32_b32 s14, s12
	s_min_u32 s14, s14, 32
	v_sub_u32_e64 v1, s14, 4 clamp
	v_readfirstlane_b32 s15, v1
	s_lshl_b32 s17, s12, s15
	s_add_i32 s14, s12, 0x1000000
	s_lshr_b32 s17, s17, 4
	s_lshl_b32 s15, s15, 23
	s_ashr_i32 s14, s14, 8
	s_sub_i32 s15, s17, s15
	s_and_b32 s14, s14, 0x7f800000
	s_add_i32 s15, s15, 0x3c000000
	s_or_b32 s14, s15, s14
	s_cmp_lg_u32 s12, 0
	s_cselect_b32 s12, s14, 0
	s_or_b32 s12, s12, s13
	v_cvt_u32_f32_e32 v1, s12
	s_mov_b64 s[12:13], 0
	global_store_dword v[4:5], v1, off
.LBB135_652:
	s_andn2_b64 vcc, exec, s[12:13]
	s_cbranch_vccnz .LBB135_654
; %bb.653:
	s_lshl_b32 s12, s16, 24
	s_and_b32 s13, s12, 0x80000000
	s_and_b32 s12, s12, 0x7f000000
	s_flbit_i32_b32 s14, s12
	s_min_u32 s14, s14, 32
	v_sub_u32_e64 v1, s14, 4 clamp
	v_readfirstlane_b32 s15, v1
	s_lshl_b32 s17, s12, s15
	s_add_i32 s14, s12, 0x1000000
	s_lshr_b32 s17, s17, 4
	s_lshl_b32 s15, s15, 23
	s_ashr_i32 s14, s14, 8
	s_sub_i32 s15, s17, s15
	s_and_b32 s14, s14, 0x7f800000
	s_add_i32 s15, s15, 0x3c000000
	s_or_b32 s14, s15, s14
	s_cmp_lg_u32 s12, 0
	s_cselect_b32 s12, s14, 0
	s_or_b32 s12, s12, s13
	v_cvt_u32_f32_e32 v1, s12
	global_store_short v[4:5], v1, off
.LBB135_654:
	s_mov_b64 s[12:13], 0
.LBB135_655:
	s_andn2_b64 vcc, exec, s[12:13]
	s_cbranch_vccnz .LBB135_668
; %bb.656:
	s_lshl_b32 s12, s16, 24
	s_and_b32 s13, s12, 0x80000000
	s_and_b32 s12, s12, 0x7f000000
	s_flbit_i32_b32 s14, s12
	s_min_u32 s14, s14, 32
	v_sub_u32_e64 v1, s14, 4 clamp
	v_readfirstlane_b32 s15, v1
	s_lshl_b32 s17, s12, s15
	s_add_i32 s14, s12, 0x1000000
	s_lshr_b32 s17, s17, 4
	s_lshl_b32 s15, s15, 23
	s_ashr_i32 s14, s14, 8
	s_sub_i32 s15, s17, s15
	s_and_b32 s14, s14, 0x7f800000
	s_add_i32 s15, s15, 0x3c000000
	s_or_b32 s14, s15, s14
	s_cmp_lg_u32 s12, 0
	s_cselect_b32 s12, s14, 0
	s_or_b32 s17, s12, s13
	s_and_b32 s13, s17, 0x7fffffff
	s_cmp_gt_u32 s13, 0x437fffff
	v_mov_b32_e32 v3, 0x80
	s_cbranch_scc1 .LBB135_667
; %bb.657:
	s_cmp_gt_u32 s13, 0x3bffffff
	s_cbranch_scc0 .LBB135_662
; %bb.658:
	s_bfe_u32 s12, s12, 0x10014
	s_add_i32 s12, s17, s12
	s_add_i32 s12, s12, 0x487ffff
	s_lshr_b32 s18, s12, 20
	s_mov_b64 s[14:15], 0
	s_mov_b64 s[12:13], -1
	s_branch .LBB135_663
.LBB135_659:
	s_mov_b64 s[12:13], 0
	s_cbranch_execnz .LBB135_710
.LBB135_660:
	s_andn2_b64 vcc, exec, s[12:13]
	s_cbranch_vccz .LBB135_748
	s_branch .LBB135_909
.LBB135_661:
	s_or_b64 s[2:3], s[6:7], exec
	s_trap 2
	s_cbranch_execz .LBB135_591
	s_branch .LBB135_592
.LBB135_662:
	s_mov_b64 s[14:15], -1
	s_mov_b64 s[12:13], 0
                                        ; implicit-def: $sgpr18
.LBB135_663:
	s_andn2_b64 vcc, exec, s[14:15]
	v_mov_b32_e32 v1, s18
                                        ; implicit-def: $sgpr14
	s_cbranch_vccnz .LBB135_665
; %bb.664:
	v_mov_b32_e32 v1, 0x46000000
	v_add_f32_e64 v1, |s17|, v1
	v_and_b32_e32 v1, 0xff, v1
	s_mov_b32 s14, 0
	v_cmp_ne_u32_e64 s[12:13], 0, v1
.LBB135_665:
	s_andn2_b64 vcc, exec, s[12:13]
	v_mov_b32_e32 v3, s14
	s_cbranch_vccnz .LBB135_667
; %bb.666:
	s_lshr_b32 s12, s17, 24
	s_and_b32 s12, s12, 0x80
	v_or_b32_e32 v3, s12, v1
.LBB135_667:
	global_store_byte v[4:5], v3, off
.LBB135_668:
	s_mov_b64 s[12:13], -1
.LBB135_669:
	s_mov_b64 s[14:15], 0
.LBB135_670:
	s_and_b64 vcc, exec, s[14:15]
	s_cbranch_vccz .LBB135_706
; %bb.671:
	v_cmp_lt_i16_e32 vcc, 22, v8
	s_mov_b64 s[10:11], -1
	s_cbranch_vccz .LBB135_699
; %bb.672:
	v_cmp_gt_i16_e32 vcc, 24, v8
	s_cbranch_vccnz .LBB135_686
; %bb.673:
	v_cmp_lt_i16_e32 vcc, 24, v8
	s_cbranch_vccz .LBB135_683
; %bb.674:
	s_lshl_b32 s10, s16, 24
	s_and_b32 s11, s10, 0x80000000
	s_and_b32 s10, s10, 0x7f000000
	s_flbit_i32_b32 s12, s10
	s_min_u32 s12, s12, 32
	v_sub_u32_e64 v1, s12, 4 clamp
	v_readfirstlane_b32 s13, v1
	s_lshl_b32 s14, s10, s13
	s_add_i32 s12, s10, 0x1000000
	s_lshr_b32 s14, s14, 4
	s_lshl_b32 s13, s13, 23
	s_ashr_i32 s12, s12, 8
	s_sub_i32 s13, s14, s13
	s_and_b32 s12, s12, 0x7f800000
	s_add_i32 s13, s13, 0x3c000000
	s_or_b32 s12, s13, s12
	s_cmp_lg_u32 s10, 0
	s_cselect_b32 s10, s12, 0
	s_or_b32 s14, s10, s11
	s_and_b32 s11, s14, 0x7fffffff
	s_cmp_gt_u32 s11, 0x477fffff
	v_mov_b32_e32 v3, 0x80
	s_cbranch_scc1 .LBB135_682
; %bb.675:
	s_cmp_gt_u32 s11, 0x37ffffff
	s_cbranch_scc0 .LBB135_677
; %bb.676:
	s_bfe_u32 s10, s10, 0x10015
	s_add_i32 s10, s14, s10
	s_add_i32 s10, s10, 0x88fffff
	s_lshr_b32 s15, s10, 21
	s_mov_b64 s[12:13], 0
	s_mov_b64 s[10:11], -1
	s_branch .LBB135_678
.LBB135_677:
	s_mov_b64 s[12:13], -1
	s_mov_b64 s[10:11], 0
                                        ; implicit-def: $sgpr15
.LBB135_678:
	s_andn2_b64 vcc, exec, s[12:13]
	v_mov_b32_e32 v1, s15
                                        ; implicit-def: $sgpr12
	s_cbranch_vccnz .LBB135_680
; %bb.679:
	v_mov_b32_e32 v1, 0x42800000
	v_add_f32_e64 v1, |s14|, v1
	v_and_b32_e32 v1, 0xff, v1
	s_mov_b32 s12, 0
	v_cmp_ne_u32_e64 s[10:11], 0, v1
.LBB135_680:
	s_andn2_b64 vcc, exec, s[10:11]
	v_mov_b32_e32 v3, s12
	s_cbranch_vccnz .LBB135_682
; %bb.681:
	s_lshr_b32 s10, s14, 24
	s_and_b32 s10, s10, 0x80
	v_or_b32_e32 v3, s10, v1
.LBB135_682:
	s_mov_b64 s[10:11], 0
	global_store_byte v[4:5], v3, off
.LBB135_683:
	s_and_b64 vcc, exec, s[10:11]
	s_cbranch_vccz .LBB135_685
; %bb.684:
	v_mov_b32_e32 v1, s16
	global_store_byte v[4:5], v1, off
.LBB135_685:
	s_mov_b64 s[10:11], 0
.LBB135_686:
	s_andn2_b64 vcc, exec, s[10:11]
	s_cbranch_vccnz .LBB135_698
; %bb.687:
	s_lshl_b32 s10, s16, 24
	s_and_b32 s11, s10, 0x80000000
	s_and_b32 s10, s10, 0x7f000000
	s_flbit_i32_b32 s12, s10
	s_min_u32 s12, s12, 32
	v_sub_u32_e64 v1, s12, 4 clamp
	v_readfirstlane_b32 s13, v1
	s_lshl_b32 s14, s10, s13
	s_add_i32 s12, s10, 0x1000000
	s_lshr_b32 s14, s14, 4
	s_lshl_b32 s13, s13, 23
	s_ashr_i32 s12, s12, 8
	s_sub_i32 s13, s14, s13
	s_and_b32 s12, s12, 0x7f800000
	s_add_i32 s13, s13, 0x3c000000
	s_or_b32 s12, s13, s12
	s_cmp_lg_u32 s10, 0
	s_cselect_b32 s10, s12, 0
	s_or_b32 s12, s10, s11
	s_and_b32 s13, s12, 0x7fffffff
	s_cmp_lt_u32 s13, 0x47800000
	s_cbranch_scc0 .LBB135_690
; %bb.688:
	s_cmp_gt_u32 s13, 0x387fffff
	s_cbranch_scc0 .LBB135_691
; %bb.689:
	s_bfe_u32 s10, s10, 0x10015
	s_add_i32 s10, s12, s10
	s_add_i32 s10, s10, 0x80fffff
	s_lshr_b32 s14, s10, 21
	s_mov_b64 s[10:11], 0
	s_branch .LBB135_692
.LBB135_690:
	s_mov_b64 s[10:11], -1
                                        ; implicit-def: $vgpr1
	s_branch .LBB135_695
.LBB135_691:
	s_mov_b64 s[10:11], -1
                                        ; implicit-def: $sgpr14
.LBB135_692:
	s_andn2_b64 vcc, exec, s[10:11]
	v_mov_b32_e32 v1, s14
	s_cbranch_vccnz .LBB135_694
; %bb.693:
	v_mov_b32_e32 v1, 0x43000000
	v_add_f32_e64 v1, |s12|, v1
.LBB135_694:
	s_mov_b64 s[10:11], 0
.LBB135_695:
	s_andn2_b64 vcc, exec, s[10:11]
	s_cbranch_vccnz .LBB135_697
; %bb.696:
	s_cmp_gt_u32 s13, 0x7f800000
	s_movk_i32 s10, 0x7f
	s_cselect_b32 s10, s10, 0x7c
	v_mov_b32_e32 v1, s10
.LBB135_697:
	s_lshr_b32 s10, s12, 24
	s_and_b32 s10, s10, 0x80
	v_or_b32_e32 v1, s10, v1
	global_store_byte v[4:5], v1, off
.LBB135_698:
	s_mov_b64 s[10:11], 0
	s_mov_b64 s[12:13], -1
.LBB135_699:
	s_andn2_b64 vcc, exec, s[10:11]
	s_mov_b64 s[10:11], 0
	s_cbranch_vccnz .LBB135_706
; %bb.700:
	v_cmp_lt_i16_e32 vcc, 14, v8
	s_mov_b64 s[14:15], -1
	s_cbranch_vccz .LBB135_704
; %bb.701:
	v_cmp_eq_u16_e32 vcc, 15, v8
	s_mov_b64 s[4:5], -1
	s_cbranch_vccz .LBB135_703
; %bb.702:
	s_lshl_b32 s4, s16, 24
	s_and_b32 s5, s4, 0x80000000
	s_and_b32 s4, s4, 0x7f000000
	s_flbit_i32_b32 s10, s4
	s_min_u32 s10, s10, 32
	v_sub_u32_e64 v1, s10, 4 clamp
	v_readfirstlane_b32 s11, v1
	s_lshl_b32 s12, s4, s11
	s_add_i32 s10, s4, 0x1000000
	s_lshr_b32 s12, s12, 4
	s_lshl_b32 s11, s11, 23
	s_ashr_i32 s10, s10, 8
	s_sub_i32 s11, s12, s11
	s_and_b32 s10, s10, 0x7f800000
	s_add_i32 s11, s11, 0x3c000000
	s_or_b32 s10, s11, s10
	s_cmp_lg_u32 s4, 0
	s_cselect_b32 s4, s10, 0
	s_or_b32 s5, s4, s5
	s_bfe_u32 s4, s4, 0x10010
	s_add_i32 s4, s5, s4
	s_addk_i32 s4, 0x7fff
	s_lshr_b32 s10, s4, 16
	v_cmp_o_f32_e64 s[4:5], s5, s5
	s_and_b64 s[4:5], s[4:5], exec
	s_cselect_b32 s4, s10, 0x7fc0
	v_mov_b32_e32 v1, s4
	global_store_short v[4:5], v1, off
	s_mov_b64 s[4:5], 0
	s_mov_b64 s[12:13], -1
.LBB135_703:
	s_mov_b64 s[14:15], 0
.LBB135_704:
	s_mov_b64 s[10:11], 0
	s_and_b64 vcc, exec, s[14:15]
	s_cbranch_vccz .LBB135_706
; %bb.705:
	v_cmp_ne_u16_e64 s[4:5], 11, v8
	s_mov_b64 s[10:11], -1
.LBB135_706:
	s_and_b64 vcc, exec, s[4:5]
	s_cbranch_vccnz .LBB135_808
; %bb.707:
	s_andn2_b64 vcc, exec, s[10:11]
	s_cbranch_vccnz .LBB135_709
.LBB135_708:
	s_lshl_b32 s4, s16, 24
	s_and_b32 s4, s4, 0x7f000000
	s_flbit_i32_b32 s5, s4
	s_min_u32 s5, s5, 32
	v_sub_u32_e64 v1, s5, 4 clamp
	s_add_i32 s5, s4, 0x1000000
	s_ashr_i32 s5, s5, 8
	s_and_b32 s10, s5, 0x7f800000
	v_readfirstlane_b32 s5, v1
	s_lshl_b32 s11, s4, s5
	s_lshr_b32 s11, s11, 4
	s_lshl_b32 s5, s5, 23
	s_sub_i32 s5, s11, s5
	s_add_i32 s11, s5, 0x3c000000
	s_cmp_lg_u32 s4, 0
	s_cselect_b64 s[4:5], -1, 0
	s_and_b32 s11, s11, 0x7ff00000
	s_or_b32 s10, s11, s10
	s_cmp_lg_u32 s10, 0
	s_cselect_b64 s[10:11], -1, 0
	s_and_b64 s[4:5], s[4:5], s[10:11]
	v_cndmask_b32_e64 v1, 0, 1, s[4:5]
	s_mov_b64 s[12:13], -1
	global_store_byte v[4:5], v1, off
.LBB135_709:
	s_branch .LBB135_660
.LBB135_710:
	v_cmp_gt_i16_e32 vcc, 5, v8
	s_mov_b64 s[4:5], -1
	s_cbranch_vccnz .LBB135_731
; %bb.711:
	v_cmp_gt_i16_e32 vcc, 8, v8
	s_cbranch_vccnz .LBB135_721
; %bb.712:
	v_cmp_gt_i16_e32 vcc, 9, v8
	s_cbranch_vccnz .LBB135_718
; %bb.713:
	v_cmp_lt_i16_e32 vcc, 9, v8
	s_cbranch_vccz .LBB135_715
; %bb.714:
	s_lshl_b32 s4, s16, 24
	s_and_b32 s5, s4, 0x80000000
	s_and_b32 s4, s4, 0x7f000000
	s_flbit_i32_b32 s10, s4
	s_min_u32 s10, s10, 32
	v_sub_u32_e64 v1, s10, 4 clamp
	v_readfirstlane_b32 s11, v1
	s_lshl_b32 s12, s4, s11
	s_add_i32 s10, s4, 0x1000000
	s_lshr_b32 s12, s12, 4
	s_lshl_b32 s11, s11, 23
	s_ashr_i32 s10, s10, 8
	s_sub_i32 s11, s12, s11
	s_and_b32 s10, s10, 0x7f800000
	s_add_i32 s11, s11, 0x3c000000
	s_or_b32 s10, s11, s10
	s_cmp_lg_u32 s4, 0
	s_cselect_b32 s4, s10, 0
	s_or_b32 s4, s4, s5
	v_mov_b32_e32 v12, 0
	v_cvt_f64_f32_e32 v[10:11], s4
	v_mov_b32_e32 v13, v12
	global_store_dwordx4 v[4:5], v[10:13], off
	s_mov_b64 s[4:5], 0
.LBB135_715:
	s_andn2_b64 vcc, exec, s[4:5]
	s_cbranch_vccnz .LBB135_717
; %bb.716:
	s_lshl_b32 s4, s16, 24
	s_and_b32 s5, s4, 0x80000000
	s_and_b32 s4, s4, 0x7f000000
	s_flbit_i32_b32 s10, s4
	s_min_u32 s10, s10, 32
	v_sub_u32_e64 v1, s10, 4 clamp
	v_readfirstlane_b32 s11, v1
	s_lshl_b32 s12, s4, s11
	s_add_i32 s10, s4, 0x1000000
	s_lshr_b32 s12, s12, 4
	s_lshl_b32 s11, s11, 23
	s_ashr_i32 s10, s10, 8
	s_sub_i32 s11, s12, s11
	s_and_b32 s10, s10, 0x7f800000
	s_add_i32 s11, s11, 0x3c000000
	s_or_b32 s10, s11, s10
	s_cmp_lg_u32 s4, 0
	s_cselect_b32 s4, s10, 0
	s_or_b32 s4, s4, s5
	v_mov_b32_e32 v6, s4
	v_mov_b32_e32 v7, 0
	global_store_dwordx2 v[4:5], v[6:7], off
.LBB135_717:
	s_mov_b64 s[4:5], 0
.LBB135_718:
	s_andn2_b64 vcc, exec, s[4:5]
	s_cbranch_vccnz .LBB135_720
; %bb.719:
	s_lshl_b32 s4, s16, 24
	s_and_b32 s5, s4, 0x80000000
	s_and_b32 s4, s4, 0x7f000000
	s_flbit_i32_b32 s10, s4
	s_min_u32 s10, s10, 32
	v_sub_u32_e64 v1, s10, 4 clamp
	v_readfirstlane_b32 s11, v1
	s_lshl_b32 s12, s4, s11
	s_add_i32 s10, s4, 0x1000000
	s_lshr_b32 s12, s12, 4
	s_lshl_b32 s11, s11, 23
	s_ashr_i32 s10, s10, 8
	s_sub_i32 s11, s12, s11
	s_and_b32 s10, s10, 0x7f800000
	s_add_i32 s11, s11, 0x3c000000
	s_or_b32 s10, s11, s10
	s_cmp_lg_u32 s4, 0
	s_cselect_b32 s4, s10, 0
	s_or_b32 s4, s4, s5
	v_cvt_f16_f32_e32 v1, s4
	global_store_dword v[4:5], v1, off
.LBB135_720:
	s_mov_b64 s[4:5], 0
.LBB135_721:
	s_andn2_b64 vcc, exec, s[4:5]
	s_cbranch_vccnz .LBB135_730
; %bb.722:
	v_cmp_gt_i16_e32 vcc, 6, v8
	s_mov_b64 s[4:5], -1
	s_cbranch_vccnz .LBB135_728
; %bb.723:
	v_cmp_lt_i16_e32 vcc, 6, v8
	s_cbranch_vccz .LBB135_725
; %bb.724:
	s_lshl_b32 s4, s16, 24
	s_and_b32 s5, s4, 0x80000000
	s_and_b32 s4, s4, 0x7f000000
	s_flbit_i32_b32 s10, s4
	s_min_u32 s10, s10, 32
	v_sub_u32_e64 v1, s10, 4 clamp
	v_readfirstlane_b32 s11, v1
	s_lshl_b32 s12, s4, s11
	s_add_i32 s10, s4, 0x1000000
	s_lshr_b32 s12, s12, 4
	s_lshl_b32 s11, s11, 23
	s_ashr_i32 s10, s10, 8
	s_sub_i32 s11, s12, s11
	s_and_b32 s10, s10, 0x7f800000
	s_add_i32 s11, s11, 0x3c000000
	s_or_b32 s10, s11, s10
	s_cmp_lg_u32 s4, 0
	s_cselect_b32 s4, s10, 0
	s_or_b32 s4, s4, s5
	v_cvt_f64_f32_e32 v[6:7], s4
	global_store_dwordx2 v[4:5], v[6:7], off
	s_mov_b64 s[4:5], 0
.LBB135_725:
	s_andn2_b64 vcc, exec, s[4:5]
	s_cbranch_vccnz .LBB135_727
; %bb.726:
	s_lshl_b32 s4, s16, 24
	s_and_b32 s5, s4, 0x80000000
	s_and_b32 s4, s4, 0x7f000000
	s_flbit_i32_b32 s10, s4
	s_min_u32 s10, s10, 32
	v_sub_u32_e64 v1, s10, 4 clamp
	v_readfirstlane_b32 s11, v1
	s_lshl_b32 s12, s4, s11
	s_add_i32 s10, s4, 0x1000000
	s_lshr_b32 s12, s12, 4
	s_lshl_b32 s11, s11, 23
	s_ashr_i32 s10, s10, 8
	s_sub_i32 s11, s12, s11
	s_and_b32 s10, s10, 0x7f800000
	s_add_i32 s11, s11, 0x3c000000
	s_or_b32 s10, s11, s10
	s_cmp_lg_u32 s4, 0
	s_cselect_b32 s4, s10, 0
	s_or_b32 s4, s4, s5
	v_mov_b32_e32 v1, s4
	global_store_dword v[4:5], v1, off
.LBB135_727:
	s_mov_b64 s[4:5], 0
.LBB135_728:
	s_andn2_b64 vcc, exec, s[4:5]
	s_cbranch_vccnz .LBB135_730
; %bb.729:
	s_lshl_b32 s4, s16, 24
	s_and_b32 s5, s4, 0x80000000
	s_and_b32 s4, s4, 0x7f000000
	s_flbit_i32_b32 s10, s4
	s_min_u32 s10, s10, 32
	v_sub_u32_e64 v1, s10, 4 clamp
	v_readfirstlane_b32 s11, v1
	s_lshl_b32 s12, s4, s11
	s_add_i32 s10, s4, 0x1000000
	s_lshr_b32 s12, s12, 4
	s_lshl_b32 s11, s11, 23
	s_ashr_i32 s10, s10, 8
	s_sub_i32 s11, s12, s11
	s_and_b32 s10, s10, 0x7f800000
	s_add_i32 s11, s11, 0x3c000000
	s_or_b32 s10, s11, s10
	s_cmp_lg_u32 s4, 0
	s_cselect_b32 s4, s10, 0
	s_or_b32 s4, s4, s5
	v_cvt_f16_f32_e32 v1, s4
	global_store_short v[4:5], v1, off
.LBB135_730:
	s_mov_b64 s[4:5], 0
.LBB135_731:
	s_andn2_b64 vcc, exec, s[4:5]
	s_cbranch_vccnz .LBB135_747
; %bb.732:
	v_cmp_gt_i16_e32 vcc, 2, v8
	s_mov_b64 s[4:5], -1
	s_cbranch_vccnz .LBB135_742
; %bb.733:
	v_cmp_gt_i16_e32 vcc, 3, v8
	s_cbranch_vccnz .LBB135_739
; %bb.734:
	v_cmp_lt_i16_e32 vcc, 3, v8
	s_cbranch_vccz .LBB135_736
; %bb.735:
	s_lshl_b32 s4, s16, 24
	s_and_b32 s5, s4, 0x80000000
	s_and_b32 s4, s4, 0x7f000000
	s_flbit_i32_b32 s10, s4
	s_min_u32 s10, s10, 32
	v_sub_u32_e64 v1, s10, 4 clamp
	v_readfirstlane_b32 s11, v1
	s_lshl_b32 s12, s4, s11
	s_add_i32 s10, s4, 0x1000000
	s_lshr_b32 s12, s12, 4
	s_lshl_b32 s11, s11, 23
	s_ashr_i32 s10, s10, 8
	s_sub_i32 s11, s12, s11
	s_and_b32 s10, s10, 0x7f800000
	s_add_i32 s11, s11, 0x3c000000
	s_or_b32 s10, s11, s10
	s_cmp_lg_u32 s4, 0
	s_cselect_b32 s4, s10, 0
	s_or_b32 s4, s4, s5
	v_trunc_f32_e32 v1, s4
	s_mov_b32 s4, 0x2f800000
	v_mul_f32_e64 v3, |v1|, s4
	v_floor_f32_e32 v3, v3
	s_mov_b32 s4, 0xcf800000
	v_fma_f32 v6, v3, s4, |v1|
	v_cvt_u32_f32_e32 v6, v6
	v_cvt_u32_f32_e32 v3, v3
	v_ashrrev_i32_e32 v1, 31, v1
	s_mov_b64 s[4:5], 0
	v_xor_b32_e32 v6, v6, v1
	v_xor_b32_e32 v3, v3, v1
	v_sub_co_u32_e32 v6, vcc, v6, v1
	v_subb_co_u32_e32 v7, vcc, v3, v1, vcc
	global_store_dwordx2 v[4:5], v[6:7], off
.LBB135_736:
	s_andn2_b64 vcc, exec, s[4:5]
	s_cbranch_vccnz .LBB135_738
; %bb.737:
	s_lshl_b32 s4, s16, 24
	s_and_b32 s5, s4, 0x80000000
	s_and_b32 s4, s4, 0x7f000000
	s_flbit_i32_b32 s10, s4
	s_min_u32 s10, s10, 32
	v_sub_u32_e64 v1, s10, 4 clamp
	v_readfirstlane_b32 s11, v1
	s_lshl_b32 s12, s4, s11
	s_add_i32 s10, s4, 0x1000000
	s_lshr_b32 s12, s12, 4
	s_lshl_b32 s11, s11, 23
	s_ashr_i32 s10, s10, 8
	s_sub_i32 s11, s12, s11
	s_and_b32 s10, s10, 0x7f800000
	s_add_i32 s11, s11, 0x3c000000
	s_or_b32 s10, s11, s10
	s_cmp_lg_u32 s4, 0
	s_cselect_b32 s4, s10, 0
	s_or_b32 s4, s4, s5
	v_cvt_i32_f32_e32 v1, s4
	global_store_dword v[4:5], v1, off
.LBB135_738:
	s_mov_b64 s[4:5], 0
.LBB135_739:
	s_andn2_b64 vcc, exec, s[4:5]
	s_cbranch_vccnz .LBB135_741
; %bb.740:
	s_lshl_b32 s4, s16, 24
	s_and_b32 s5, s4, 0x80000000
	s_and_b32 s4, s4, 0x7f000000
	s_flbit_i32_b32 s10, s4
	s_min_u32 s10, s10, 32
	v_sub_u32_e64 v1, s10, 4 clamp
	v_readfirstlane_b32 s11, v1
	s_lshl_b32 s12, s4, s11
	s_add_i32 s10, s4, 0x1000000
	s_lshr_b32 s12, s12, 4
	s_lshl_b32 s11, s11, 23
	s_ashr_i32 s10, s10, 8
	s_sub_i32 s11, s12, s11
	s_and_b32 s10, s10, 0x7f800000
	s_add_i32 s11, s11, 0x3c000000
	s_or_b32 s10, s11, s10
	s_cmp_lg_u32 s4, 0
	s_cselect_b32 s4, s10, 0
	s_or_b32 s4, s4, s5
	v_cvt_i32_f32_e32 v1, s4
	global_store_short v[4:5], v1, off
.LBB135_741:
	s_mov_b64 s[4:5], 0
.LBB135_742:
	s_andn2_b64 vcc, exec, s[4:5]
	s_cbranch_vccnz .LBB135_747
; %bb.743:
	v_cmp_lt_i16_e32 vcc, 0, v8
	s_mov_b64 s[4:5], -1
	s_cbranch_vccz .LBB135_745
; %bb.744:
	s_lshl_b32 s4, s16, 24
	s_and_b32 s5, s4, 0x80000000
	s_and_b32 s4, s4, 0x7f000000
	s_flbit_i32_b32 s10, s4
	s_min_u32 s10, s10, 32
	v_sub_u32_e64 v1, s10, 4 clamp
	v_readfirstlane_b32 s11, v1
	s_lshl_b32 s12, s4, s11
	s_add_i32 s10, s4, 0x1000000
	s_lshr_b32 s12, s12, 4
	s_lshl_b32 s11, s11, 23
	s_ashr_i32 s10, s10, 8
	s_sub_i32 s11, s12, s11
	s_and_b32 s10, s10, 0x7f800000
	s_add_i32 s11, s11, 0x3c000000
	s_or_b32 s10, s11, s10
	s_cmp_lg_u32 s4, 0
	s_cselect_b32 s4, s10, 0
	s_or_b32 s4, s4, s5
	v_cvt_i32_f32_e32 v1, s4
	s_mov_b64 s[4:5], 0
	global_store_byte v[4:5], v1, off
.LBB135_745:
	s_andn2_b64 vcc, exec, s[4:5]
	s_cbranch_vccnz .LBB135_747
; %bb.746:
	s_lshl_b32 s4, s16, 24
	s_and_b32 s5, s4, 0x80000000
	s_and_b32 s4, s4, 0x7f000000
	s_flbit_i32_b32 s10, s4
	s_min_u32 s10, s10, 32
	v_sub_u32_e64 v1, s10, 4 clamp
	v_readfirstlane_b32 s11, v1
	s_lshl_b32 s12, s4, s11
	s_add_i32 s10, s4, 0x1000000
	s_lshr_b32 s12, s12, 4
	s_lshl_b32 s11, s11, 23
	s_ashr_i32 s10, s10, 8
	s_sub_i32 s11, s12, s11
	s_and_b32 s10, s10, 0x7f800000
	s_add_i32 s11, s11, 0x3c000000
	s_or_b32 s10, s11, s10
	s_cmp_lg_u32 s4, 0
	s_cselect_b32 s4, s10, 0
	s_or_b32 s4, s4, s5
	v_trunc_f32_e32 v1, s4
	s_mov_b32 s4, 0x2f800000
	v_mul_f32_e64 v3, |v1|, s4
	v_floor_f32_e32 v3, v3
	s_mov_b32 s4, 0xcf800000
	v_fma_f32 v3, v3, s4, |v1|
	v_cvt_u32_f32_e32 v3, v3
	v_ashrrev_i32_e32 v1, 31, v1
	v_xor_b32_e32 v3, v3, v1
	v_sub_u32_e32 v1, v3, v1
	global_store_byte v[4:5], v1, off
.LBB135_747:
.LBB135_748:
	v_mov_b32_e32 v1, s9
	v_add_co_u32_e32 v2, vcc, s8, v2
	v_addc_co_u32_e32 v3, vcc, 0, v1, vcc
	s_and_b64 vcc, exec, s[0:1]
	s_cbranch_vccnz .LBB135_776
; %bb.749:
	v_cmp_lt_i16_e32 vcc, 25, v8
	s_mov_b64 s[14:15], -1
	s_mov_b64 s[10:11], 0
	s_mov_b64 s[12:13], 0
	s_mov_b64 s[4:5], 0
	s_cbranch_vccz .LBB135_817
; %bb.750:
	v_cmp_lt_i16_e32 vcc, 28, v8
	s_cbranch_vccz .LBB135_765
; %bb.751:
	v_cmp_lt_i16_e32 vcc, 43, v8
	;; [unrolled: 3-line block ×3, first 2 shown]
	s_cbranch_vccz .LBB135_755
; %bb.753:
	v_cmp_eq_u16_e32 vcc, 46, v8
	s_mov_b64 s[4:5], -1
	s_mov_b64 s[14:15], 0
	s_cbranch_vccz .LBB135_755
; %bb.754:
	s_lshl_b32 s4, s16, 24
	s_and_b32 s5, s4, 0x80000000
	s_and_b32 s4, s4, 0x7f000000
	s_flbit_i32_b32 s12, s4
	s_min_u32 s12, s12, 32
	v_sub_u32_e64 v1, s12, 4 clamp
	v_readfirstlane_b32 s13, v1
	s_lshl_b32 s17, s4, s13
	s_add_i32 s12, s4, 0x1000000
	s_lshr_b32 s17, s17, 4
	s_lshl_b32 s13, s13, 23
	s_ashr_i32 s12, s12, 8
	s_sub_i32 s13, s17, s13
	s_and_b32 s12, s12, 0x7f800000
	s_add_i32 s13, s13, 0x3c000000
	s_or_b32 s12, s13, s12
	s_cmp_lg_u32 s4, 0
	s_cselect_b32 s4, s12, 0
	s_or_b32 s5, s4, s5
	s_bfe_u32 s4, s4, 0x10010
	s_add_i32 s4, s5, s4
	s_addk_i32 s4, 0x7fff
	s_lshr_b32 s12, s4, 16
	v_cmp_o_f32_e64 s[4:5], s5, s5
	s_and_b64 s[4:5], s[4:5], exec
	s_cselect_b32 s4, s12, 0x7fc0
	v_mov_b32_e32 v1, s4
	global_store_dword v[2:3], v1, off
	s_mov_b64 s[4:5], 0
	s_mov_b64 s[12:13], -1
.LBB135_755:
	s_and_b64 vcc, exec, s[14:15]
	s_cbranch_vccz .LBB135_760
; %bb.756:
	v_cmp_eq_u16_e32 vcc, 44, v8
	s_mov_b64 s[4:5], -1
	s_cbranch_vccz .LBB135_760
; %bb.757:
	s_lshl_b32 s4, s16, 24
	s_and_b32 s4, s4, 0x7f000000
	s_flbit_i32_b32 s5, s4
	s_min_u32 s5, s5, 32
	v_sub_u32_e64 v1, s5, 4 clamp
	v_readfirstlane_b32 s12, v1
	s_lshl_b32 s13, s4, s12
	s_add_i32 s5, s4, 0x1000000
	s_lshr_b32 s13, s13, 4
	s_lshl_b32 s12, s12, 23
	s_ashr_i32 s5, s5, 8
	s_sub_i32 s12, s13, s12
	s_and_b32 s5, s5, 0x7f800000
	s_add_i32 s12, s12, 0x3c000000
	s_or_b32 s5, s12, s5
	s_cmp_lg_u32 s4, 0
	s_cselect_b32 s5, s5, 0
	s_lshr_b32 s4, s5, 23
	s_cmpk_eq_i32 s4, 0xff
	v_mov_b32_e32 v1, 0xff
	s_cbranch_scc1 .LBB135_759
; %bb.758:
	s_bitcmp1_b32 s5, 22
	s_cselect_b64 s[12:13], -1, 0
	s_and_b32 s5, s5, 0x3fffff
	s_or_b32 s5, s4, s5
	s_cmp_lg_u32 s5, 0
	s_cselect_b64 s[14:15], -1, 0
	s_and_b64 s[12:13], s[12:13], s[14:15]
	v_cndmask_b32_e64 v1, 0, 1, s[12:13]
	v_add_u32_e32 v1, s4, v1
.LBB135_759:
	s_mov_b64 s[4:5], 0
	s_mov_b64 s[12:13], -1
	global_store_byte v[2:3], v1, off
.LBB135_760:
	s_mov_b64 s[14:15], 0
.LBB135_761:
	s_and_b64 vcc, exec, s[14:15]
	s_cbranch_vccz .LBB135_764
; %bb.762:
	v_cmp_eq_u16_e32 vcc, 29, v8
	s_mov_b64 s[4:5], -1
	s_cbranch_vccz .LBB135_764
; %bb.763:
	s_lshl_b32 s4, s16, 24
	s_and_b32 s5, s4, 0x80000000
	s_and_b32 s4, s4, 0x7f000000
	s_flbit_i32_b32 s12, s4
	s_min_u32 s12, s12, 32
	v_sub_u32_e64 v1, s12, 4 clamp
	v_readfirstlane_b32 s13, v1
	s_lshl_b32 s14, s4, s13
	s_add_i32 s12, s4, 0x1000000
	s_lshr_b32 s14, s14, 4
	s_lshl_b32 s13, s13, 23
	s_ashr_i32 s12, s12, 8
	s_sub_i32 s13, s14, s13
	s_and_b32 s12, s12, 0x7f800000
	s_add_i32 s13, s13, 0x3c000000
	s_or_b32 s12, s13, s12
	s_cmp_lg_u32 s4, 0
	s_cselect_b32 s4, s12, 0
	s_or_b32 s4, s4, s5
	v_trunc_f32_e32 v1, s4
	v_mul_f32_e32 v4, 0x2f800000, v1
	v_floor_f32_e32 v5, v4
	v_fmac_f32_e32 v1, 0xcf800000, v5
	v_cvt_u32_f32_e32 v4, v1
	v_cvt_u32_f32_e32 v5, v5
	s_mov_b64 s[4:5], 0
	s_mov_b64 s[12:13], -1
	global_store_dwordx2 v[2:3], v[4:5], off
.LBB135_764:
	s_mov_b64 s[14:15], 0
.LBB135_765:
	s_and_b64 vcc, exec, s[14:15]
	s_cbranch_vccz .LBB135_816
; %bb.766:
	v_cmp_gt_i16_e32 vcc, 27, v8
	s_mov_b64 s[12:13], -1
	s_cbranch_vccnz .LBB135_772
; %bb.767:
	v_cmp_lt_i16_e32 vcc, 27, v8
	s_cbranch_vccz .LBB135_769
; %bb.768:
	s_lshl_b32 s12, s16, 24
	s_and_b32 s13, s12, 0x80000000
	s_and_b32 s12, s12, 0x7f000000
	s_flbit_i32_b32 s14, s12
	s_min_u32 s14, s14, 32
	v_sub_u32_e64 v1, s14, 4 clamp
	v_readfirstlane_b32 s15, v1
	s_lshl_b32 s17, s12, s15
	s_add_i32 s14, s12, 0x1000000
	s_lshr_b32 s17, s17, 4
	s_lshl_b32 s15, s15, 23
	s_ashr_i32 s14, s14, 8
	s_sub_i32 s15, s17, s15
	s_and_b32 s14, s14, 0x7f800000
	s_add_i32 s15, s15, 0x3c000000
	s_or_b32 s14, s15, s14
	s_cmp_lg_u32 s12, 0
	s_cselect_b32 s12, s14, 0
	s_or_b32 s12, s12, s13
	v_cvt_u32_f32_e32 v1, s12
	s_mov_b64 s[12:13], 0
	global_store_dword v[2:3], v1, off
.LBB135_769:
	s_andn2_b64 vcc, exec, s[12:13]
	s_cbranch_vccnz .LBB135_771
; %bb.770:
	s_lshl_b32 s12, s16, 24
	s_and_b32 s13, s12, 0x80000000
	s_and_b32 s12, s12, 0x7f000000
	s_flbit_i32_b32 s14, s12
	s_min_u32 s14, s14, 32
	v_sub_u32_e64 v1, s14, 4 clamp
	v_readfirstlane_b32 s15, v1
	s_lshl_b32 s17, s12, s15
	s_add_i32 s14, s12, 0x1000000
	s_lshr_b32 s17, s17, 4
	s_lshl_b32 s15, s15, 23
	s_ashr_i32 s14, s14, 8
	s_sub_i32 s15, s17, s15
	s_and_b32 s14, s14, 0x7f800000
	s_add_i32 s15, s15, 0x3c000000
	s_or_b32 s14, s15, s14
	s_cmp_lg_u32 s12, 0
	s_cselect_b32 s12, s14, 0
	s_or_b32 s12, s12, s13
	v_cvt_u32_f32_e32 v1, s12
	global_store_short v[2:3], v1, off
.LBB135_771:
	s_mov_b64 s[12:13], 0
.LBB135_772:
	s_andn2_b64 vcc, exec, s[12:13]
	s_cbranch_vccnz .LBB135_815
; %bb.773:
	s_lshl_b32 s12, s16, 24
	s_and_b32 s13, s12, 0x80000000
	s_and_b32 s12, s12, 0x7f000000
	s_flbit_i32_b32 s14, s12
	s_min_u32 s14, s14, 32
	v_sub_u32_e64 v1, s14, 4 clamp
	v_readfirstlane_b32 s15, v1
	s_lshl_b32 s17, s12, s15
	s_add_i32 s14, s12, 0x1000000
	s_lshr_b32 s17, s17, 4
	s_lshl_b32 s15, s15, 23
	s_ashr_i32 s14, s14, 8
	s_sub_i32 s15, s17, s15
	s_and_b32 s14, s14, 0x7f800000
	s_add_i32 s15, s15, 0x3c000000
	s_or_b32 s14, s15, s14
	s_cmp_lg_u32 s12, 0
	s_cselect_b32 s12, s14, 0
	s_or_b32 s17, s12, s13
	s_and_b32 s13, s17, 0x7fffffff
	s_cmp_gt_u32 s13, 0x437fffff
	v_mov_b32_e32 v4, 0x80
	s_cbranch_scc1 .LBB135_814
; %bb.774:
	s_cmp_gt_u32 s13, 0x3bffffff
	s_cbranch_scc0 .LBB135_809
; %bb.775:
	s_bfe_u32 s12, s12, 0x10014
	s_add_i32 s12, s17, s12
	s_add_i32 s12, s12, 0x487ffff
	s_lshr_b32 s18, s12, 20
	s_mov_b64 s[14:15], 0
	s_mov_b64 s[12:13], -1
	s_branch .LBB135_810
.LBB135_776:
	s_mov_b64 s[12:13], 0
	s_cbranch_execnz .LBB135_871
.LBB135_777:
	s_andn2_b64 vcc, exec, s[12:13]
	s_cbranch_vccnz .LBB135_909
.LBB135_778:
	v_mov_b32_e32 v1, s9
	v_add_co_u32_e32 v0, vcc, s8, v0
	v_addc_co_u32_e32 v1, vcc, 0, v1, vcc
	s_and_b64 vcc, exec, s[0:1]
	s_cbranch_vccnz .LBB135_807
; %bb.779:
	v_cmp_lt_i16_e32 vcc, 25, v8
	s_mov_b64 s[8:9], -1
	s_mov_b64 s[4:5], 0
	s_mov_b64 s[0:1], 0
	s_cbranch_vccz .LBB135_831
; %bb.780:
	v_cmp_lt_i16_e32 vcc, 28, v8
	s_cbranch_vccz .LBB135_796
; %bb.781:
	v_cmp_lt_i16_e32 vcc, 43, v8
	;; [unrolled: 3-line block ×3, first 2 shown]
	s_cbranch_vccz .LBB135_786
; %bb.783:
	v_cmp_eq_u16_e32 vcc, 46, v8
	s_mov_b64 s[0:1], -1
	s_cbranch_vccz .LBB135_785
; %bb.784:
	s_lshl_b32 s0, s16, 24
	s_and_b32 s1, s0, 0x80000000
	s_and_b32 s0, s0, 0x7f000000
	s_flbit_i32_b32 s8, s0
	s_min_u32 s8, s8, 32
	v_sub_u32_e64 v2, s8, 4 clamp
	v_readfirstlane_b32 s9, v2
	s_lshl_b32 s10, s0, s9
	s_add_i32 s8, s0, 0x1000000
	s_lshr_b32 s10, s10, 4
	s_lshl_b32 s9, s9, 23
	s_ashr_i32 s8, s8, 8
	s_sub_i32 s9, s10, s9
	s_and_b32 s8, s8, 0x7f800000
	s_add_i32 s9, s9, 0x3c000000
	s_or_b32 s8, s9, s8
	s_cmp_lg_u32 s0, 0
	s_cselect_b32 s0, s8, 0
	s_or_b32 s1, s0, s1
	s_bfe_u32 s0, s0, 0x10010
	s_add_i32 s0, s1, s0
	s_addk_i32 s0, 0x7fff
	s_lshr_b32 s8, s0, 16
	v_cmp_o_f32_e64 s[0:1], s1, s1
	s_and_b64 s[0:1], s[0:1], exec
	s_cselect_b32 s0, s8, 0x7fc0
	v_mov_b32_e32 v2, s0
	global_store_dword v[0:1], v2, off
	s_mov_b64 s[0:1], 0
.LBB135_785:
	s_mov_b64 s[8:9], 0
.LBB135_786:
	s_and_b64 vcc, exec, s[8:9]
	s_cbranch_vccz .LBB135_791
; %bb.787:
	v_cmp_eq_u16_e32 vcc, 44, v8
	s_mov_b64 s[0:1], -1
	s_cbranch_vccz .LBB135_791
; %bb.788:
	s_lshl_b32 s0, s16, 24
	s_and_b32 s0, s0, 0x7f000000
	s_flbit_i32_b32 s1, s0
	s_min_u32 s1, s1, 32
	v_sub_u32_e64 v2, s1, 4 clamp
	v_readfirstlane_b32 s8, v2
	s_lshl_b32 s9, s0, s8
	s_add_i32 s1, s0, 0x1000000
	s_lshr_b32 s9, s9, 4
	s_lshl_b32 s8, s8, 23
	s_ashr_i32 s1, s1, 8
	s_sub_i32 s8, s9, s8
	s_and_b32 s1, s1, 0x7f800000
	s_add_i32 s8, s8, 0x3c000000
	s_or_b32 s1, s8, s1
	s_cmp_lg_u32 s0, 0
	s_cselect_b32 s1, s1, 0
	s_lshr_b32 s0, s1, 23
	s_cmpk_eq_i32 s0, 0xff
	v_mov_b32_e32 v2, 0xff
	s_cbranch_scc1 .LBB135_790
; %bb.789:
	s_bitcmp1_b32 s1, 22
	s_cselect_b64 s[8:9], -1, 0
	s_and_b32 s1, s1, 0x3fffff
	s_or_b32 s1, s0, s1
	s_cmp_lg_u32 s1, 0
	s_cselect_b64 s[10:11], -1, 0
	s_and_b64 s[8:9], s[8:9], s[10:11]
	v_cndmask_b32_e64 v2, 0, 1, s[8:9]
	v_add_u32_e32 v2, s0, v2
.LBB135_790:
	s_mov_b64 s[0:1], 0
	global_store_byte v[0:1], v2, off
.LBB135_791:
	s_mov_b64 s[8:9], 0
.LBB135_792:
	s_and_b64 vcc, exec, s[8:9]
	s_cbranch_vccz .LBB135_795
; %bb.793:
	v_cmp_eq_u16_e32 vcc, 29, v8
	s_mov_b64 s[0:1], -1
	s_cbranch_vccz .LBB135_795
; %bb.794:
	s_lshl_b32 s0, s16, 24
	s_and_b32 s1, s0, 0x80000000
	s_and_b32 s0, s0, 0x7f000000
	s_flbit_i32_b32 s8, s0
	s_min_u32 s8, s8, 32
	v_sub_u32_e64 v2, s8, 4 clamp
	v_readfirstlane_b32 s9, v2
	s_lshl_b32 s10, s0, s9
	s_add_i32 s8, s0, 0x1000000
	s_lshr_b32 s10, s10, 4
	s_lshl_b32 s9, s9, 23
	s_ashr_i32 s8, s8, 8
	s_sub_i32 s9, s10, s9
	s_and_b32 s8, s8, 0x7f800000
	s_add_i32 s9, s9, 0x3c000000
	s_or_b32 s8, s9, s8
	s_cmp_lg_u32 s0, 0
	s_cselect_b32 s0, s8, 0
	s_or_b32 s0, s0, s1
	v_trunc_f32_e32 v2, s0
	v_mul_f32_e32 v3, 0x2f800000, v2
	v_floor_f32_e32 v3, v3
	v_fmac_f32_e32 v2, 0xcf800000, v3
	v_cvt_u32_f32_e32 v2, v2
	v_cvt_u32_f32_e32 v3, v3
	s_mov_b64 s[0:1], 0
	global_store_dwordx2 v[0:1], v[2:3], off
.LBB135_795:
	s_mov_b64 s[8:9], 0
.LBB135_796:
	s_and_b64 vcc, exec, s[8:9]
	s_cbranch_vccz .LBB135_830
; %bb.797:
	v_cmp_gt_i16_e32 vcc, 27, v8
	s_mov_b64 s[8:9], -1
	s_cbranch_vccnz .LBB135_803
; %bb.798:
	v_cmp_lt_i16_e32 vcc, 27, v8
	s_cbranch_vccz .LBB135_800
; %bb.799:
	s_lshl_b32 s8, s16, 24
	s_and_b32 s9, s8, 0x80000000
	s_and_b32 s8, s8, 0x7f000000
	s_flbit_i32_b32 s10, s8
	s_min_u32 s10, s10, 32
	v_sub_u32_e64 v2, s10, 4 clamp
	v_readfirstlane_b32 s11, v2
	s_lshl_b32 s12, s8, s11
	s_add_i32 s10, s8, 0x1000000
	s_lshr_b32 s12, s12, 4
	s_lshl_b32 s11, s11, 23
	s_ashr_i32 s10, s10, 8
	s_sub_i32 s11, s12, s11
	s_and_b32 s10, s10, 0x7f800000
	s_add_i32 s11, s11, 0x3c000000
	s_or_b32 s10, s11, s10
	s_cmp_lg_u32 s8, 0
	s_cselect_b32 s8, s10, 0
	s_or_b32 s8, s8, s9
	v_cvt_u32_f32_e32 v2, s8
	s_mov_b64 s[8:9], 0
	global_store_dword v[0:1], v2, off
.LBB135_800:
	s_andn2_b64 vcc, exec, s[8:9]
	s_cbranch_vccnz .LBB135_802
; %bb.801:
	s_lshl_b32 s8, s16, 24
	s_and_b32 s9, s8, 0x80000000
	s_and_b32 s8, s8, 0x7f000000
	s_flbit_i32_b32 s10, s8
	s_min_u32 s10, s10, 32
	v_sub_u32_e64 v2, s10, 4 clamp
	v_readfirstlane_b32 s11, v2
	s_lshl_b32 s12, s8, s11
	s_add_i32 s10, s8, 0x1000000
	s_lshr_b32 s12, s12, 4
	s_lshl_b32 s11, s11, 23
	s_ashr_i32 s10, s10, 8
	s_sub_i32 s11, s12, s11
	s_and_b32 s10, s10, 0x7f800000
	s_add_i32 s11, s11, 0x3c000000
	s_or_b32 s10, s11, s10
	s_cmp_lg_u32 s8, 0
	s_cselect_b32 s8, s10, 0
	s_or_b32 s8, s8, s9
	v_cvt_u32_f32_e32 v2, s8
	global_store_short v[0:1], v2, off
.LBB135_802:
	s_mov_b64 s[8:9], 0
.LBB135_803:
	s_andn2_b64 vcc, exec, s[8:9]
	s_cbranch_vccnz .LBB135_830
; %bb.804:
	s_lshl_b32 s8, s16, 24
	s_and_b32 s9, s8, 0x80000000
	s_and_b32 s8, s8, 0x7f000000
	s_flbit_i32_b32 s10, s8
	s_min_u32 s10, s10, 32
	v_sub_u32_e64 v2, s10, 4 clamp
	v_readfirstlane_b32 s11, v2
	s_lshl_b32 s12, s8, s11
	s_add_i32 s10, s8, 0x1000000
	s_lshr_b32 s12, s12, 4
	s_lshl_b32 s11, s11, 23
	s_ashr_i32 s10, s10, 8
	s_sub_i32 s11, s12, s11
	s_and_b32 s10, s10, 0x7f800000
	s_add_i32 s11, s11, 0x3c000000
	s_or_b32 s10, s11, s10
	s_cmp_lg_u32 s8, 0
	s_cselect_b32 s8, s10, 0
	s_or_b32 s12, s8, s9
	s_and_b32 s9, s12, 0x7fffffff
	s_cmp_gt_u32 s9, 0x437fffff
	v_mov_b32_e32 v3, 0x80
	s_cbranch_scc1 .LBB135_829
; %bb.805:
	s_cmp_gt_u32 s9, 0x3bffffff
	s_cbranch_scc0 .LBB135_824
; %bb.806:
	s_bfe_u32 s8, s8, 0x10014
	s_add_i32 s8, s12, s8
	s_add_i32 s8, s8, 0x487ffff
	s_lshr_b32 s13, s8, 20
	s_mov_b64 s[10:11], 0
	s_mov_b64 s[8:9], -1
	s_branch .LBB135_825
.LBB135_807:
	s_mov_b64 s[4:5], 0
	s_mov_b64 s[0:1], -1
	s_branch .LBB135_910
.LBB135_808:
	s_trap 2
	s_or_b64 s[2:3], s[2:3], exec
	s_cbranch_execz .LBB135_708
	s_branch .LBB135_709
.LBB135_809:
	s_mov_b64 s[14:15], -1
	s_mov_b64 s[12:13], 0
                                        ; implicit-def: $sgpr18
.LBB135_810:
	s_andn2_b64 vcc, exec, s[14:15]
	v_mov_b32_e32 v1, s18
                                        ; implicit-def: $sgpr14
	s_cbranch_vccnz .LBB135_812
; %bb.811:
	v_mov_b32_e32 v1, 0x46000000
	v_add_f32_e64 v1, |s17|, v1
	v_and_b32_e32 v1, 0xff, v1
	s_mov_b32 s14, 0
	v_cmp_ne_u32_e64 s[12:13], 0, v1
.LBB135_812:
	s_andn2_b64 vcc, exec, s[12:13]
	v_mov_b32_e32 v4, s14
	s_cbranch_vccnz .LBB135_814
; %bb.813:
	s_lshr_b32 s12, s17, 24
	s_and_b32 s12, s12, 0x80
	v_or_b32_e32 v4, s12, v1
.LBB135_814:
	global_store_byte v[2:3], v4, off
.LBB135_815:
	s_mov_b64 s[12:13], -1
.LBB135_816:
	s_mov_b64 s[14:15], 0
.LBB135_817:
	s_and_b64 vcc, exec, s[14:15]
	s_cbranch_vccz .LBB135_867
; %bb.818:
	v_cmp_lt_i16_e32 vcc, 22, v8
	s_mov_b64 s[10:11], -1
	s_cbranch_vccz .LBB135_860
; %bb.819:
	v_cmp_gt_i16_e32 vcc, 24, v8
	s_cbranch_vccnz .LBB135_847
; %bb.820:
	v_cmp_lt_i16_e32 vcc, 24, v8
	s_cbranch_vccz .LBB135_844
; %bb.821:
	s_lshl_b32 s10, s16, 24
	s_and_b32 s11, s10, 0x80000000
	s_and_b32 s10, s10, 0x7f000000
	s_flbit_i32_b32 s12, s10
	s_min_u32 s12, s12, 32
	v_sub_u32_e64 v1, s12, 4 clamp
	v_readfirstlane_b32 s13, v1
	s_lshl_b32 s14, s10, s13
	s_add_i32 s12, s10, 0x1000000
	s_lshr_b32 s14, s14, 4
	s_lshl_b32 s13, s13, 23
	s_ashr_i32 s12, s12, 8
	s_sub_i32 s13, s14, s13
	s_and_b32 s12, s12, 0x7f800000
	s_add_i32 s13, s13, 0x3c000000
	s_or_b32 s12, s13, s12
	s_cmp_lg_u32 s10, 0
	s_cselect_b32 s10, s12, 0
	s_or_b32 s14, s10, s11
	s_and_b32 s11, s14, 0x7fffffff
	s_cmp_gt_u32 s11, 0x477fffff
	v_mov_b32_e32 v4, 0x80
	s_cbranch_scc1 .LBB135_843
; %bb.822:
	s_cmp_gt_u32 s11, 0x37ffffff
	s_cbranch_scc0 .LBB135_838
; %bb.823:
	s_bfe_u32 s10, s10, 0x10015
	s_add_i32 s10, s14, s10
	s_add_i32 s10, s10, 0x88fffff
	s_lshr_b32 s15, s10, 21
	s_mov_b64 s[12:13], 0
	s_mov_b64 s[10:11], -1
	s_branch .LBB135_839
.LBB135_824:
	s_mov_b64 s[10:11], -1
	s_mov_b64 s[8:9], 0
                                        ; implicit-def: $sgpr13
.LBB135_825:
	s_andn2_b64 vcc, exec, s[10:11]
	v_mov_b32_e32 v2, s13
                                        ; implicit-def: $sgpr10
	s_cbranch_vccnz .LBB135_827
; %bb.826:
	v_mov_b32_e32 v2, 0x46000000
	v_add_f32_e64 v2, |s12|, v2
	v_and_b32_e32 v2, 0xff, v2
	s_mov_b32 s10, 0
	v_cmp_ne_u32_e64 s[8:9], 0, v2
.LBB135_827:
	s_andn2_b64 vcc, exec, s[8:9]
	v_mov_b32_e32 v3, s10
	s_cbranch_vccnz .LBB135_829
; %bb.828:
	s_lshr_b32 s8, s12, 24
	s_and_b32 s8, s8, 0x80
	v_or_b32_e32 v3, s8, v2
.LBB135_829:
	global_store_byte v[0:1], v3, off
.LBB135_830:
	s_mov_b64 s[8:9], 0
.LBB135_831:
	s_and_b64 vcc, exec, s[8:9]
	s_cbranch_vccz .LBB135_984
; %bb.832:
	v_cmp_lt_i16_e32 vcc, 22, v8
	s_mov_b64 s[4:5], -1
	s_cbranch_vccz .LBB135_977
; %bb.833:
	v_cmp_gt_i16_e32 vcc, 24, v8
	s_cbranch_vccnz .LBB135_964
; %bb.834:
	v_cmp_lt_i16_e32 vcc, 24, v8
	s_cbranch_vccz .LBB135_961
; %bb.835:
	s_lshl_b32 s4, s16, 24
	s_and_b32 s5, s4, 0x80000000
	s_and_b32 s4, s4, 0x7f000000
	s_flbit_i32_b32 s8, s4
	s_min_u32 s8, s8, 32
	v_sub_u32_e64 v2, s8, 4 clamp
	v_readfirstlane_b32 s9, v2
	s_lshl_b32 s10, s4, s9
	s_add_i32 s8, s4, 0x1000000
	s_lshr_b32 s10, s10, 4
	s_lshl_b32 s9, s9, 23
	s_ashr_i32 s8, s8, 8
	s_sub_i32 s9, s10, s9
	s_and_b32 s8, s8, 0x7f800000
	s_add_i32 s9, s9, 0x3c000000
	s_or_b32 s8, s9, s8
	s_cmp_lg_u32 s4, 0
	s_cselect_b32 s4, s8, 0
	s_or_b32 s10, s4, s5
	s_and_b32 s5, s10, 0x7fffffff
	s_cmp_gt_u32 s5, 0x477fffff
	v_mov_b32_e32 v3, 0x80
	s_cbranch_scc1 .LBB135_960
; %bb.836:
	s_cmp_gt_u32 s5, 0x37ffffff
	s_cbranch_scc0 .LBB135_955
; %bb.837:
	s_bfe_u32 s4, s4, 0x10015
	s_add_i32 s4, s10, s4
	s_add_i32 s4, s4, 0x88fffff
	s_lshr_b32 s11, s4, 21
	s_mov_b64 s[8:9], 0
	s_mov_b64 s[4:5], -1
	s_branch .LBB135_956
.LBB135_838:
	s_mov_b64 s[12:13], -1
	s_mov_b64 s[10:11], 0
                                        ; implicit-def: $sgpr15
.LBB135_839:
	s_andn2_b64 vcc, exec, s[12:13]
	v_mov_b32_e32 v1, s15
                                        ; implicit-def: $sgpr12
	s_cbranch_vccnz .LBB135_841
; %bb.840:
	v_mov_b32_e32 v1, 0x42800000
	v_add_f32_e64 v1, |s14|, v1
	v_and_b32_e32 v1, 0xff, v1
	s_mov_b32 s12, 0
	v_cmp_ne_u32_e64 s[10:11], 0, v1
.LBB135_841:
	s_andn2_b64 vcc, exec, s[10:11]
	v_mov_b32_e32 v4, s12
	s_cbranch_vccnz .LBB135_843
; %bb.842:
	s_lshr_b32 s10, s14, 24
	s_and_b32 s10, s10, 0x80
	v_or_b32_e32 v4, s10, v1
.LBB135_843:
	s_mov_b64 s[10:11], 0
	global_store_byte v[2:3], v4, off
.LBB135_844:
	s_and_b64 vcc, exec, s[10:11]
	s_cbranch_vccz .LBB135_846
; %bb.845:
	v_mov_b32_e32 v1, s16
	global_store_byte v[2:3], v1, off
.LBB135_846:
	s_mov_b64 s[10:11], 0
.LBB135_847:
	s_andn2_b64 vcc, exec, s[10:11]
	s_cbranch_vccnz .LBB135_859
; %bb.848:
	s_lshl_b32 s10, s16, 24
	s_and_b32 s11, s10, 0x80000000
	s_and_b32 s10, s10, 0x7f000000
	s_flbit_i32_b32 s12, s10
	s_min_u32 s12, s12, 32
	v_sub_u32_e64 v1, s12, 4 clamp
	v_readfirstlane_b32 s13, v1
	s_lshl_b32 s14, s10, s13
	s_add_i32 s12, s10, 0x1000000
	s_lshr_b32 s14, s14, 4
	s_lshl_b32 s13, s13, 23
	s_ashr_i32 s12, s12, 8
	s_sub_i32 s13, s14, s13
	s_and_b32 s12, s12, 0x7f800000
	s_add_i32 s13, s13, 0x3c000000
	s_or_b32 s12, s13, s12
	s_cmp_lg_u32 s10, 0
	s_cselect_b32 s10, s12, 0
	s_or_b32 s12, s10, s11
	s_and_b32 s13, s12, 0x7fffffff
	s_cmp_lt_u32 s13, 0x47800000
	s_cbranch_scc0 .LBB135_851
; %bb.849:
	s_cmp_gt_u32 s13, 0x387fffff
	s_cbranch_scc0 .LBB135_852
; %bb.850:
	s_bfe_u32 s10, s10, 0x10015
	s_add_i32 s10, s12, s10
	s_add_i32 s10, s10, 0x80fffff
	s_lshr_b32 s14, s10, 21
	s_mov_b64 s[10:11], 0
	s_branch .LBB135_853
.LBB135_851:
	s_mov_b64 s[10:11], -1
                                        ; implicit-def: $vgpr1
	s_branch .LBB135_856
.LBB135_852:
	s_mov_b64 s[10:11], -1
                                        ; implicit-def: $sgpr14
.LBB135_853:
	s_andn2_b64 vcc, exec, s[10:11]
	v_mov_b32_e32 v1, s14
	s_cbranch_vccnz .LBB135_855
; %bb.854:
	v_mov_b32_e32 v1, 0x43000000
	v_add_f32_e64 v1, |s12|, v1
.LBB135_855:
	s_mov_b64 s[10:11], 0
.LBB135_856:
	s_andn2_b64 vcc, exec, s[10:11]
	s_cbranch_vccnz .LBB135_858
; %bb.857:
	s_cmp_gt_u32 s13, 0x7f800000
	s_movk_i32 s10, 0x7f
	s_cselect_b32 s10, s10, 0x7c
	v_mov_b32_e32 v1, s10
.LBB135_858:
	s_lshr_b32 s10, s12, 24
	s_and_b32 s10, s10, 0x80
	v_or_b32_e32 v1, s10, v1
	global_store_byte v[2:3], v1, off
.LBB135_859:
	s_mov_b64 s[10:11], 0
	s_mov_b64 s[12:13], -1
.LBB135_860:
	s_andn2_b64 vcc, exec, s[10:11]
	s_mov_b64 s[10:11], 0
	s_cbranch_vccnz .LBB135_867
; %bb.861:
	v_cmp_lt_i16_e32 vcc, 14, v8
	s_mov_b64 s[14:15], -1
	s_cbranch_vccz .LBB135_865
; %bb.862:
	v_cmp_eq_u16_e32 vcc, 15, v8
	s_mov_b64 s[4:5], -1
	s_cbranch_vccz .LBB135_864
; %bb.863:
	s_lshl_b32 s4, s16, 24
	s_and_b32 s5, s4, 0x80000000
	s_and_b32 s4, s4, 0x7f000000
	s_flbit_i32_b32 s10, s4
	s_min_u32 s10, s10, 32
	v_sub_u32_e64 v1, s10, 4 clamp
	v_readfirstlane_b32 s11, v1
	s_lshl_b32 s12, s4, s11
	s_add_i32 s10, s4, 0x1000000
	s_lshr_b32 s12, s12, 4
	s_lshl_b32 s11, s11, 23
	s_ashr_i32 s10, s10, 8
	s_sub_i32 s11, s12, s11
	s_and_b32 s10, s10, 0x7f800000
	s_add_i32 s11, s11, 0x3c000000
	s_or_b32 s10, s11, s10
	s_cmp_lg_u32 s4, 0
	s_cselect_b32 s4, s10, 0
	s_or_b32 s5, s4, s5
	s_bfe_u32 s4, s4, 0x10010
	s_add_i32 s4, s5, s4
	s_addk_i32 s4, 0x7fff
	s_lshr_b32 s10, s4, 16
	v_cmp_o_f32_e64 s[4:5], s5, s5
	s_and_b64 s[4:5], s[4:5], exec
	s_cselect_b32 s4, s10, 0x7fc0
	v_mov_b32_e32 v1, s4
	global_store_short v[2:3], v1, off
	s_mov_b64 s[4:5], 0
	s_mov_b64 s[12:13], -1
.LBB135_864:
	s_mov_b64 s[14:15], 0
.LBB135_865:
	s_mov_b64 s[10:11], 0
	s_and_b64 vcc, exec, s[14:15]
	s_cbranch_vccz .LBB135_867
; %bb.866:
	v_cmp_ne_u16_e64 s[4:5], 11, v8
	s_mov_b64 s[10:11], -1
.LBB135_867:
	s_and_b64 vcc, exec, s[4:5]
	s_cbranch_vccnz .LBB135_954
; %bb.868:
	s_andn2_b64 vcc, exec, s[10:11]
	s_cbranch_vccnz .LBB135_870
.LBB135_869:
	s_lshl_b32 s4, s16, 24
	s_and_b32 s4, s4, 0x7f000000
	s_flbit_i32_b32 s5, s4
	s_min_u32 s5, s5, 32
	v_sub_u32_e64 v1, s5, 4 clamp
	s_add_i32 s5, s4, 0x1000000
	s_ashr_i32 s5, s5, 8
	s_and_b32 s10, s5, 0x7f800000
	v_readfirstlane_b32 s5, v1
	s_lshl_b32 s11, s4, s5
	s_lshr_b32 s11, s11, 4
	s_lshl_b32 s5, s5, 23
	s_sub_i32 s5, s11, s5
	s_add_i32 s11, s5, 0x3c000000
	s_cmp_lg_u32 s4, 0
	s_cselect_b64 s[4:5], -1, 0
	s_and_b32 s11, s11, 0x7ff00000
	s_or_b32 s10, s11, s10
	s_cmp_lg_u32 s10, 0
	s_cselect_b64 s[10:11], -1, 0
	s_and_b64 s[4:5], s[4:5], s[10:11]
	v_cndmask_b32_e64 v1, 0, 1, s[4:5]
	s_mov_b64 s[12:13], -1
	global_store_byte v[2:3], v1, off
.LBB135_870:
	s_branch .LBB135_777
.LBB135_871:
	v_cmp_gt_i16_e32 vcc, 5, v8
	s_mov_b64 s[4:5], -1
	s_cbranch_vccnz .LBB135_892
; %bb.872:
	v_cmp_gt_i16_e32 vcc, 8, v8
	s_cbranch_vccnz .LBB135_882
; %bb.873:
	v_cmp_gt_i16_e32 vcc, 9, v8
	s_cbranch_vccnz .LBB135_879
; %bb.874:
	v_cmp_lt_i16_e32 vcc, 9, v8
	s_cbranch_vccz .LBB135_876
; %bb.875:
	s_lshl_b32 s4, s16, 24
	s_and_b32 s5, s4, 0x80000000
	s_and_b32 s4, s4, 0x7f000000
	s_flbit_i32_b32 s10, s4
	s_min_u32 s10, s10, 32
	v_sub_u32_e64 v1, s10, 4 clamp
	v_readfirstlane_b32 s11, v1
	s_lshl_b32 s12, s4, s11
	s_add_i32 s10, s4, 0x1000000
	s_lshr_b32 s12, s12, 4
	s_lshl_b32 s11, s11, 23
	s_ashr_i32 s10, s10, 8
	s_sub_i32 s11, s12, s11
	s_and_b32 s10, s10, 0x7f800000
	s_add_i32 s11, s11, 0x3c000000
	s_or_b32 s10, s11, s10
	s_cmp_lg_u32 s4, 0
	s_cselect_b32 s4, s10, 0
	s_or_b32 s4, s4, s5
	v_mov_b32_e32 v6, 0
	v_cvt_f64_f32_e32 v[4:5], s4
	v_mov_b32_e32 v7, v6
	global_store_dwordx4 v[2:3], v[4:7], off
	s_mov_b64 s[4:5], 0
.LBB135_876:
	s_andn2_b64 vcc, exec, s[4:5]
	s_cbranch_vccnz .LBB135_878
; %bb.877:
	s_lshl_b32 s4, s16, 24
	s_and_b32 s5, s4, 0x80000000
	s_and_b32 s4, s4, 0x7f000000
	s_flbit_i32_b32 s10, s4
	s_min_u32 s10, s10, 32
	v_sub_u32_e64 v1, s10, 4 clamp
	v_readfirstlane_b32 s11, v1
	s_lshl_b32 s12, s4, s11
	s_add_i32 s10, s4, 0x1000000
	s_lshr_b32 s12, s12, 4
	s_lshl_b32 s11, s11, 23
	s_ashr_i32 s10, s10, 8
	s_sub_i32 s11, s12, s11
	s_and_b32 s10, s10, 0x7f800000
	s_add_i32 s11, s11, 0x3c000000
	s_or_b32 s10, s11, s10
	s_cmp_lg_u32 s4, 0
	s_cselect_b32 s4, s10, 0
	s_or_b32 s4, s4, s5
	v_mov_b32_e32 v4, s4
	v_mov_b32_e32 v5, 0
	global_store_dwordx2 v[2:3], v[4:5], off
.LBB135_878:
	s_mov_b64 s[4:5], 0
.LBB135_879:
	s_andn2_b64 vcc, exec, s[4:5]
	s_cbranch_vccnz .LBB135_881
; %bb.880:
	s_lshl_b32 s4, s16, 24
	s_and_b32 s5, s4, 0x80000000
	s_and_b32 s4, s4, 0x7f000000
	s_flbit_i32_b32 s10, s4
	s_min_u32 s10, s10, 32
	v_sub_u32_e64 v1, s10, 4 clamp
	v_readfirstlane_b32 s11, v1
	s_lshl_b32 s12, s4, s11
	s_add_i32 s10, s4, 0x1000000
	s_lshr_b32 s12, s12, 4
	s_lshl_b32 s11, s11, 23
	s_ashr_i32 s10, s10, 8
	s_sub_i32 s11, s12, s11
	s_and_b32 s10, s10, 0x7f800000
	s_add_i32 s11, s11, 0x3c000000
	s_or_b32 s10, s11, s10
	s_cmp_lg_u32 s4, 0
	s_cselect_b32 s4, s10, 0
	s_or_b32 s4, s4, s5
	v_cvt_f16_f32_e32 v1, s4
	global_store_dword v[2:3], v1, off
.LBB135_881:
	s_mov_b64 s[4:5], 0
.LBB135_882:
	s_andn2_b64 vcc, exec, s[4:5]
	s_cbranch_vccnz .LBB135_891
; %bb.883:
	v_cmp_gt_i16_e32 vcc, 6, v8
	s_mov_b64 s[4:5], -1
	s_cbranch_vccnz .LBB135_889
; %bb.884:
	v_cmp_lt_i16_e32 vcc, 6, v8
	s_cbranch_vccz .LBB135_886
; %bb.885:
	s_lshl_b32 s4, s16, 24
	s_and_b32 s5, s4, 0x80000000
	s_and_b32 s4, s4, 0x7f000000
	s_flbit_i32_b32 s10, s4
	s_min_u32 s10, s10, 32
	v_sub_u32_e64 v1, s10, 4 clamp
	v_readfirstlane_b32 s11, v1
	s_lshl_b32 s12, s4, s11
	s_add_i32 s10, s4, 0x1000000
	s_lshr_b32 s12, s12, 4
	s_lshl_b32 s11, s11, 23
	s_ashr_i32 s10, s10, 8
	s_sub_i32 s11, s12, s11
	s_and_b32 s10, s10, 0x7f800000
	s_add_i32 s11, s11, 0x3c000000
	s_or_b32 s10, s11, s10
	s_cmp_lg_u32 s4, 0
	s_cselect_b32 s4, s10, 0
	s_or_b32 s4, s4, s5
	v_cvt_f64_f32_e32 v[4:5], s4
	global_store_dwordx2 v[2:3], v[4:5], off
	s_mov_b64 s[4:5], 0
.LBB135_886:
	s_andn2_b64 vcc, exec, s[4:5]
	s_cbranch_vccnz .LBB135_888
; %bb.887:
	s_lshl_b32 s4, s16, 24
	s_and_b32 s5, s4, 0x80000000
	s_and_b32 s4, s4, 0x7f000000
	s_flbit_i32_b32 s10, s4
	s_min_u32 s10, s10, 32
	v_sub_u32_e64 v1, s10, 4 clamp
	v_readfirstlane_b32 s11, v1
	s_lshl_b32 s12, s4, s11
	s_add_i32 s10, s4, 0x1000000
	s_lshr_b32 s12, s12, 4
	s_lshl_b32 s11, s11, 23
	s_ashr_i32 s10, s10, 8
	s_sub_i32 s11, s12, s11
	s_and_b32 s10, s10, 0x7f800000
	s_add_i32 s11, s11, 0x3c000000
	s_or_b32 s10, s11, s10
	s_cmp_lg_u32 s4, 0
	s_cselect_b32 s4, s10, 0
	s_or_b32 s4, s4, s5
	v_mov_b32_e32 v1, s4
	global_store_dword v[2:3], v1, off
.LBB135_888:
	s_mov_b64 s[4:5], 0
.LBB135_889:
	s_andn2_b64 vcc, exec, s[4:5]
	s_cbranch_vccnz .LBB135_891
; %bb.890:
	s_lshl_b32 s4, s16, 24
	s_and_b32 s5, s4, 0x80000000
	s_and_b32 s4, s4, 0x7f000000
	s_flbit_i32_b32 s10, s4
	s_min_u32 s10, s10, 32
	v_sub_u32_e64 v1, s10, 4 clamp
	v_readfirstlane_b32 s11, v1
	s_lshl_b32 s12, s4, s11
	s_add_i32 s10, s4, 0x1000000
	s_lshr_b32 s12, s12, 4
	s_lshl_b32 s11, s11, 23
	s_ashr_i32 s10, s10, 8
	s_sub_i32 s11, s12, s11
	s_and_b32 s10, s10, 0x7f800000
	s_add_i32 s11, s11, 0x3c000000
	s_or_b32 s10, s11, s10
	s_cmp_lg_u32 s4, 0
	s_cselect_b32 s4, s10, 0
	s_or_b32 s4, s4, s5
	v_cvt_f16_f32_e32 v1, s4
	global_store_short v[2:3], v1, off
.LBB135_891:
	s_mov_b64 s[4:5], 0
.LBB135_892:
	s_andn2_b64 vcc, exec, s[4:5]
	s_cbranch_vccnz .LBB135_908
; %bb.893:
	v_cmp_gt_i16_e32 vcc, 2, v8
	s_mov_b64 s[4:5], -1
	s_cbranch_vccnz .LBB135_903
; %bb.894:
	v_cmp_gt_i16_e32 vcc, 3, v8
	s_cbranch_vccnz .LBB135_900
; %bb.895:
	v_cmp_lt_i16_e32 vcc, 3, v8
	s_cbranch_vccz .LBB135_897
; %bb.896:
	s_lshl_b32 s4, s16, 24
	s_and_b32 s5, s4, 0x80000000
	s_and_b32 s4, s4, 0x7f000000
	s_flbit_i32_b32 s10, s4
	s_min_u32 s10, s10, 32
	v_sub_u32_e64 v1, s10, 4 clamp
	v_readfirstlane_b32 s11, v1
	s_lshl_b32 s12, s4, s11
	s_add_i32 s10, s4, 0x1000000
	s_lshr_b32 s12, s12, 4
	s_lshl_b32 s11, s11, 23
	s_ashr_i32 s10, s10, 8
	s_sub_i32 s11, s12, s11
	s_and_b32 s10, s10, 0x7f800000
	s_add_i32 s11, s11, 0x3c000000
	s_or_b32 s10, s11, s10
	s_cmp_lg_u32 s4, 0
	s_cselect_b32 s4, s10, 0
	s_or_b32 s4, s4, s5
	v_trunc_f32_e32 v1, s4
	s_mov_b32 s4, 0x2f800000
	v_mul_f32_e64 v4, |v1|, s4
	v_floor_f32_e32 v4, v4
	s_mov_b32 s4, 0xcf800000
	v_fma_f32 v5, v4, s4, |v1|
	v_cvt_u32_f32_e32 v5, v5
	v_cvt_u32_f32_e32 v4, v4
	v_ashrrev_i32_e32 v1, 31, v1
	s_mov_b64 s[4:5], 0
	v_xor_b32_e32 v5, v5, v1
	v_xor_b32_e32 v6, v4, v1
	v_sub_co_u32_e32 v4, vcc, v5, v1
	v_subb_co_u32_e32 v5, vcc, v6, v1, vcc
	global_store_dwordx2 v[2:3], v[4:5], off
.LBB135_897:
	s_andn2_b64 vcc, exec, s[4:5]
	s_cbranch_vccnz .LBB135_899
; %bb.898:
	s_lshl_b32 s4, s16, 24
	s_and_b32 s5, s4, 0x80000000
	s_and_b32 s4, s4, 0x7f000000
	s_flbit_i32_b32 s10, s4
	s_min_u32 s10, s10, 32
	v_sub_u32_e64 v1, s10, 4 clamp
	v_readfirstlane_b32 s11, v1
	s_lshl_b32 s12, s4, s11
	s_add_i32 s10, s4, 0x1000000
	s_lshr_b32 s12, s12, 4
	s_lshl_b32 s11, s11, 23
	s_ashr_i32 s10, s10, 8
	s_sub_i32 s11, s12, s11
	s_and_b32 s10, s10, 0x7f800000
	s_add_i32 s11, s11, 0x3c000000
	s_or_b32 s10, s11, s10
	s_cmp_lg_u32 s4, 0
	s_cselect_b32 s4, s10, 0
	s_or_b32 s4, s4, s5
	v_cvt_i32_f32_e32 v1, s4
	global_store_dword v[2:3], v1, off
.LBB135_899:
	s_mov_b64 s[4:5], 0
.LBB135_900:
	s_andn2_b64 vcc, exec, s[4:5]
	s_cbranch_vccnz .LBB135_902
; %bb.901:
	s_lshl_b32 s4, s16, 24
	s_and_b32 s5, s4, 0x80000000
	s_and_b32 s4, s4, 0x7f000000
	s_flbit_i32_b32 s10, s4
	s_min_u32 s10, s10, 32
	v_sub_u32_e64 v1, s10, 4 clamp
	v_readfirstlane_b32 s11, v1
	s_lshl_b32 s12, s4, s11
	s_add_i32 s10, s4, 0x1000000
	s_lshr_b32 s12, s12, 4
	s_lshl_b32 s11, s11, 23
	s_ashr_i32 s10, s10, 8
	s_sub_i32 s11, s12, s11
	s_and_b32 s10, s10, 0x7f800000
	s_add_i32 s11, s11, 0x3c000000
	s_or_b32 s10, s11, s10
	s_cmp_lg_u32 s4, 0
	s_cselect_b32 s4, s10, 0
	s_or_b32 s4, s4, s5
	v_cvt_i32_f32_e32 v1, s4
	global_store_short v[2:3], v1, off
.LBB135_902:
	s_mov_b64 s[4:5], 0
.LBB135_903:
	s_andn2_b64 vcc, exec, s[4:5]
	s_cbranch_vccnz .LBB135_908
; %bb.904:
	v_cmp_lt_i16_e32 vcc, 0, v8
	s_mov_b64 s[4:5], -1
	s_cbranch_vccz .LBB135_906
; %bb.905:
	s_lshl_b32 s4, s16, 24
	s_and_b32 s5, s4, 0x80000000
	s_and_b32 s4, s4, 0x7f000000
	s_flbit_i32_b32 s10, s4
	s_min_u32 s10, s10, 32
	v_sub_u32_e64 v1, s10, 4 clamp
	v_readfirstlane_b32 s11, v1
	s_lshl_b32 s12, s4, s11
	s_add_i32 s10, s4, 0x1000000
	s_lshr_b32 s12, s12, 4
	s_lshl_b32 s11, s11, 23
	s_ashr_i32 s10, s10, 8
	s_sub_i32 s11, s12, s11
	s_and_b32 s10, s10, 0x7f800000
	s_add_i32 s11, s11, 0x3c000000
	s_or_b32 s10, s11, s10
	s_cmp_lg_u32 s4, 0
	s_cselect_b32 s4, s10, 0
	s_or_b32 s4, s4, s5
	v_cvt_i32_f32_e32 v1, s4
	s_mov_b64 s[4:5], 0
	global_store_byte v[2:3], v1, off
.LBB135_906:
	s_andn2_b64 vcc, exec, s[4:5]
	s_cbranch_vccnz .LBB135_908
; %bb.907:
	s_lshl_b32 s4, s16, 24
	s_and_b32 s5, s4, 0x80000000
	s_and_b32 s4, s4, 0x7f000000
	s_flbit_i32_b32 s10, s4
	s_min_u32 s10, s10, 32
	v_sub_u32_e64 v1, s10, 4 clamp
	v_readfirstlane_b32 s11, v1
	s_lshl_b32 s12, s4, s11
	s_add_i32 s10, s4, 0x1000000
	s_lshr_b32 s12, s12, 4
	s_lshl_b32 s11, s11, 23
	s_ashr_i32 s10, s10, 8
	s_sub_i32 s11, s12, s11
	s_and_b32 s10, s10, 0x7f800000
	s_add_i32 s11, s11, 0x3c000000
	s_or_b32 s10, s11, s10
	s_cmp_lg_u32 s4, 0
	s_cselect_b32 s4, s10, 0
	s_or_b32 s4, s4, s5
	v_trunc_f32_e32 v1, s4
	s_mov_b32 s4, 0x2f800000
	v_mul_f32_e64 v4, |v1|, s4
	v_floor_f32_e32 v4, v4
	s_mov_b32 s4, 0xcf800000
	v_fma_f32 v4, v4, s4, |v1|
	v_cvt_u32_f32_e32 v4, v4
	v_ashrrev_i32_e32 v1, 31, v1
	v_xor_b32_e32 v4, v4, v1
	v_sub_u32_e32 v1, v4, v1
	global_store_byte v[2:3], v1, off
.LBB135_908:
	s_branch .LBB135_778
.LBB135_909:
	s_mov_b64 s[0:1], 0
	s_mov_b64 s[4:5], 0
                                        ; implicit-def: $vgpr8
                                        ; implicit-def: $vgpr0_vgpr1
.LBB135_910:
	s_and_b64 s[28:29], s[4:5], exec
	s_andn2_b64 s[4:5], s[6:7], exec
	s_and_b64 s[2:3], s[2:3], exec
	s_and_b64 s[0:1], s[0:1], exec
	s_or_b64 s[6:7], s[4:5], s[2:3]
.LBB135_911:
	s_or_b64 exec, exec, s[24:25]
	s_and_saveexec_b64 s[2:3], s[6:7]
	s_cbranch_execz .LBB135_914
; %bb.912:
	; divergent unreachable
	s_or_b64 exec, exec, s[2:3]
	s_and_saveexec_b64 s[2:3], s[28:29]
	s_xor_b64 s[2:3], exec, s[2:3]
	s_cbranch_execnz .LBB135_915
.LBB135_913:
	s_or_b64 exec, exec, s[2:3]
	s_and_saveexec_b64 s[2:3], s[0:1]
	s_cbranch_execnz .LBB135_916
	s_branch .LBB135_953
.LBB135_914:
	s_or_b64 exec, exec, s[2:3]
	s_and_saveexec_b64 s[2:3], s[28:29]
	s_xor_b64 s[2:3], exec, s[2:3]
	s_cbranch_execz .LBB135_913
.LBB135_915:
	s_lshl_b32 s4, s16, 24
	s_and_b32 s4, s4, 0x7f000000
	s_flbit_i32_b32 s5, s4
	s_min_u32 s5, s5, 32
	v_sub_u32_e64 v2, s5, 4 clamp
	s_add_i32 s5, s4, 0x1000000
	s_ashr_i32 s5, s5, 8
	s_and_b32 s6, s5, 0x7f800000
	v_readfirstlane_b32 s5, v2
	s_lshl_b32 s7, s4, s5
	s_lshr_b32 s7, s7, 4
	s_lshl_b32 s5, s5, 23
	s_sub_i32 s5, s7, s5
	s_add_i32 s7, s5, 0x3c000000
	s_cmp_lg_u32 s4, 0
	s_cselect_b64 s[4:5], -1, 0
	s_and_b32 s7, s7, 0x7ff00000
	s_or_b32 s6, s7, s6
	s_cmp_lg_u32 s6, 0
	s_cselect_b64 s[6:7], -1, 0
	s_and_b64 s[4:5], s[4:5], s[6:7]
	v_cndmask_b32_e64 v2, 0, 1, s[4:5]
	global_store_byte v[0:1], v2, off
	s_or_b64 exec, exec, s[2:3]
	s_and_saveexec_b64 s[2:3], s[0:1]
	s_cbranch_execz .LBB135_953
.LBB135_916:
	v_cmp_gt_i16_e32 vcc, 5, v8
	s_mov_b64 s[0:1], -1
	s_cbranch_vccnz .LBB135_937
; %bb.917:
	v_cmp_gt_i16_e32 vcc, 8, v8
	s_cbranch_vccnz .LBB135_927
; %bb.918:
	v_cmp_gt_i16_e32 vcc, 9, v8
	s_cbranch_vccnz .LBB135_924
; %bb.919:
	v_cmp_lt_i16_e32 vcc, 9, v8
	s_cbranch_vccz .LBB135_921
; %bb.920:
	s_lshl_b32 s0, s16, 24
	s_and_b32 s1, s0, 0x80000000
	s_and_b32 s0, s0, 0x7f000000
	s_flbit_i32_b32 s2, s0
	s_min_u32 s2, s2, 32
	v_sub_u32_e64 v2, s2, 4 clamp
	v_readfirstlane_b32 s3, v2
	s_lshl_b32 s4, s0, s3
	s_add_i32 s2, s0, 0x1000000
	s_lshr_b32 s4, s4, 4
	s_lshl_b32 s3, s3, 23
	s_ashr_i32 s2, s2, 8
	s_sub_i32 s3, s4, s3
	s_and_b32 s2, s2, 0x7f800000
	s_add_i32 s3, s3, 0x3c000000
	s_or_b32 s2, s3, s2
	s_cmp_lg_u32 s0, 0
	s_cselect_b32 s0, s2, 0
	s_or_b32 s0, s0, s1
	v_mov_b32_e32 v4, 0
	v_cvt_f64_f32_e32 v[2:3], s0
	v_mov_b32_e32 v5, v4
	global_store_dwordx4 v[0:1], v[2:5], off
	s_mov_b64 s[0:1], 0
.LBB135_921:
	s_andn2_b64 vcc, exec, s[0:1]
	s_cbranch_vccnz .LBB135_923
; %bb.922:
	s_lshl_b32 s0, s16, 24
	s_and_b32 s1, s0, 0x80000000
	s_and_b32 s0, s0, 0x7f000000
	s_flbit_i32_b32 s2, s0
	s_min_u32 s2, s2, 32
	v_sub_u32_e64 v2, s2, 4 clamp
	v_readfirstlane_b32 s3, v2
	s_lshl_b32 s4, s0, s3
	s_add_i32 s2, s0, 0x1000000
	s_lshr_b32 s4, s4, 4
	s_lshl_b32 s3, s3, 23
	s_ashr_i32 s2, s2, 8
	s_sub_i32 s3, s4, s3
	s_and_b32 s2, s2, 0x7f800000
	s_add_i32 s3, s3, 0x3c000000
	s_or_b32 s2, s3, s2
	s_cmp_lg_u32 s0, 0
	s_cselect_b32 s0, s2, 0
	s_or_b32 s0, s0, s1
	v_mov_b32_e32 v2, s0
	v_mov_b32_e32 v3, 0
	global_store_dwordx2 v[0:1], v[2:3], off
.LBB135_923:
	s_mov_b64 s[0:1], 0
.LBB135_924:
	s_andn2_b64 vcc, exec, s[0:1]
	s_cbranch_vccnz .LBB135_926
; %bb.925:
	s_lshl_b32 s0, s16, 24
	s_and_b32 s1, s0, 0x80000000
	s_and_b32 s0, s0, 0x7f000000
	s_flbit_i32_b32 s2, s0
	s_min_u32 s2, s2, 32
	v_sub_u32_e64 v2, s2, 4 clamp
	v_readfirstlane_b32 s3, v2
	s_lshl_b32 s4, s0, s3
	s_add_i32 s2, s0, 0x1000000
	s_lshr_b32 s4, s4, 4
	s_lshl_b32 s3, s3, 23
	s_ashr_i32 s2, s2, 8
	s_sub_i32 s3, s4, s3
	s_and_b32 s2, s2, 0x7f800000
	s_add_i32 s3, s3, 0x3c000000
	s_or_b32 s2, s3, s2
	s_cmp_lg_u32 s0, 0
	s_cselect_b32 s0, s2, 0
	s_or_b32 s0, s0, s1
	v_cvt_f16_f32_e32 v2, s0
	global_store_dword v[0:1], v2, off
.LBB135_926:
	s_mov_b64 s[0:1], 0
.LBB135_927:
	s_andn2_b64 vcc, exec, s[0:1]
	s_cbranch_vccnz .LBB135_936
; %bb.928:
	v_cmp_gt_i16_e32 vcc, 6, v8
	s_mov_b64 s[0:1], -1
	s_cbranch_vccnz .LBB135_934
; %bb.929:
	v_cmp_lt_i16_e32 vcc, 6, v8
	s_cbranch_vccz .LBB135_931
; %bb.930:
	s_lshl_b32 s0, s16, 24
	s_and_b32 s1, s0, 0x80000000
	s_and_b32 s0, s0, 0x7f000000
	s_flbit_i32_b32 s2, s0
	s_min_u32 s2, s2, 32
	v_sub_u32_e64 v2, s2, 4 clamp
	v_readfirstlane_b32 s3, v2
	s_lshl_b32 s4, s0, s3
	s_add_i32 s2, s0, 0x1000000
	s_lshr_b32 s4, s4, 4
	s_lshl_b32 s3, s3, 23
	s_ashr_i32 s2, s2, 8
	s_sub_i32 s3, s4, s3
	s_and_b32 s2, s2, 0x7f800000
	s_add_i32 s3, s3, 0x3c000000
	s_or_b32 s2, s3, s2
	s_cmp_lg_u32 s0, 0
	s_cselect_b32 s0, s2, 0
	s_or_b32 s0, s0, s1
	v_cvt_f64_f32_e32 v[2:3], s0
	global_store_dwordx2 v[0:1], v[2:3], off
	s_mov_b64 s[0:1], 0
.LBB135_931:
	s_andn2_b64 vcc, exec, s[0:1]
	s_cbranch_vccnz .LBB135_933
; %bb.932:
	s_lshl_b32 s0, s16, 24
	s_and_b32 s1, s0, 0x80000000
	s_and_b32 s0, s0, 0x7f000000
	s_flbit_i32_b32 s2, s0
	s_min_u32 s2, s2, 32
	v_sub_u32_e64 v2, s2, 4 clamp
	v_readfirstlane_b32 s3, v2
	s_lshl_b32 s4, s0, s3
	s_add_i32 s2, s0, 0x1000000
	s_lshr_b32 s4, s4, 4
	s_lshl_b32 s3, s3, 23
	s_ashr_i32 s2, s2, 8
	s_sub_i32 s3, s4, s3
	s_and_b32 s2, s2, 0x7f800000
	s_add_i32 s3, s3, 0x3c000000
	s_or_b32 s2, s3, s2
	s_cmp_lg_u32 s0, 0
	s_cselect_b32 s0, s2, 0
	s_or_b32 s0, s0, s1
	v_mov_b32_e32 v2, s0
	global_store_dword v[0:1], v2, off
.LBB135_933:
	s_mov_b64 s[0:1], 0
.LBB135_934:
	s_andn2_b64 vcc, exec, s[0:1]
	s_cbranch_vccnz .LBB135_936
; %bb.935:
	s_lshl_b32 s0, s16, 24
	s_and_b32 s1, s0, 0x80000000
	s_and_b32 s0, s0, 0x7f000000
	s_flbit_i32_b32 s2, s0
	s_min_u32 s2, s2, 32
	v_sub_u32_e64 v2, s2, 4 clamp
	v_readfirstlane_b32 s3, v2
	s_lshl_b32 s4, s0, s3
	s_add_i32 s2, s0, 0x1000000
	s_lshr_b32 s4, s4, 4
	s_lshl_b32 s3, s3, 23
	s_ashr_i32 s2, s2, 8
	s_sub_i32 s3, s4, s3
	s_and_b32 s2, s2, 0x7f800000
	s_add_i32 s3, s3, 0x3c000000
	s_or_b32 s2, s3, s2
	s_cmp_lg_u32 s0, 0
	s_cselect_b32 s0, s2, 0
	s_or_b32 s0, s0, s1
	v_cvt_f16_f32_e32 v2, s0
	global_store_short v[0:1], v2, off
.LBB135_936:
	s_mov_b64 s[0:1], 0
.LBB135_937:
	s_andn2_b64 vcc, exec, s[0:1]
	s_cbranch_vccnz .LBB135_953
; %bb.938:
	v_cmp_gt_i16_e32 vcc, 2, v8
	s_mov_b64 s[0:1], -1
	s_cbranch_vccnz .LBB135_948
; %bb.939:
	v_cmp_gt_i16_e32 vcc, 3, v8
	s_cbranch_vccnz .LBB135_945
; %bb.940:
	v_cmp_lt_i16_e32 vcc, 3, v8
	s_cbranch_vccz .LBB135_942
; %bb.941:
	s_lshl_b32 s0, s16, 24
	s_and_b32 s1, s0, 0x80000000
	s_and_b32 s0, s0, 0x7f000000
	s_flbit_i32_b32 s2, s0
	s_min_u32 s2, s2, 32
	v_sub_u32_e64 v2, s2, 4 clamp
	v_readfirstlane_b32 s3, v2
	s_lshl_b32 s4, s0, s3
	s_add_i32 s2, s0, 0x1000000
	s_lshr_b32 s4, s4, 4
	s_lshl_b32 s3, s3, 23
	s_ashr_i32 s2, s2, 8
	s_sub_i32 s3, s4, s3
	s_and_b32 s2, s2, 0x7f800000
	s_add_i32 s3, s3, 0x3c000000
	s_or_b32 s2, s3, s2
	s_cmp_lg_u32 s0, 0
	s_cselect_b32 s0, s2, 0
	s_or_b32 s0, s0, s1
	v_trunc_f32_e32 v2, s0
	s_mov_b32 s0, 0x2f800000
	v_mul_f32_e64 v3, |v2|, s0
	v_floor_f32_e32 v3, v3
	s_mov_b32 s0, 0xcf800000
	v_fma_f32 v4, v3, s0, |v2|
	v_cvt_u32_f32_e32 v4, v4
	v_cvt_u32_f32_e32 v3, v3
	v_ashrrev_i32_e32 v5, 31, v2
	s_mov_b64 s[0:1], 0
	v_xor_b32_e32 v2, v4, v5
	v_xor_b32_e32 v3, v3, v5
	v_sub_co_u32_e32 v2, vcc, v2, v5
	v_subb_co_u32_e32 v3, vcc, v3, v5, vcc
	global_store_dwordx2 v[0:1], v[2:3], off
.LBB135_942:
	s_andn2_b64 vcc, exec, s[0:1]
	s_cbranch_vccnz .LBB135_944
; %bb.943:
	s_lshl_b32 s0, s16, 24
	s_and_b32 s1, s0, 0x80000000
	s_and_b32 s0, s0, 0x7f000000
	s_flbit_i32_b32 s2, s0
	s_min_u32 s2, s2, 32
	v_sub_u32_e64 v2, s2, 4 clamp
	v_readfirstlane_b32 s3, v2
	s_lshl_b32 s4, s0, s3
	s_add_i32 s2, s0, 0x1000000
	s_lshr_b32 s4, s4, 4
	s_lshl_b32 s3, s3, 23
	s_ashr_i32 s2, s2, 8
	s_sub_i32 s3, s4, s3
	s_and_b32 s2, s2, 0x7f800000
	s_add_i32 s3, s3, 0x3c000000
	s_or_b32 s2, s3, s2
	s_cmp_lg_u32 s0, 0
	s_cselect_b32 s0, s2, 0
	s_or_b32 s0, s0, s1
	v_cvt_i32_f32_e32 v2, s0
	global_store_dword v[0:1], v2, off
.LBB135_944:
	s_mov_b64 s[0:1], 0
.LBB135_945:
	s_andn2_b64 vcc, exec, s[0:1]
	s_cbranch_vccnz .LBB135_947
; %bb.946:
	s_lshl_b32 s0, s16, 24
	s_and_b32 s1, s0, 0x80000000
	s_and_b32 s0, s0, 0x7f000000
	s_flbit_i32_b32 s2, s0
	s_min_u32 s2, s2, 32
	v_sub_u32_e64 v2, s2, 4 clamp
	v_readfirstlane_b32 s3, v2
	s_lshl_b32 s4, s0, s3
	s_add_i32 s2, s0, 0x1000000
	s_lshr_b32 s4, s4, 4
	s_lshl_b32 s3, s3, 23
	s_ashr_i32 s2, s2, 8
	s_sub_i32 s3, s4, s3
	s_and_b32 s2, s2, 0x7f800000
	s_add_i32 s3, s3, 0x3c000000
	s_or_b32 s2, s3, s2
	s_cmp_lg_u32 s0, 0
	s_cselect_b32 s0, s2, 0
	s_or_b32 s0, s0, s1
	v_cvt_i32_f32_e32 v2, s0
	global_store_short v[0:1], v2, off
.LBB135_947:
	s_mov_b64 s[0:1], 0
.LBB135_948:
	s_andn2_b64 vcc, exec, s[0:1]
	s_cbranch_vccnz .LBB135_953
; %bb.949:
	v_cmp_lt_i16_e32 vcc, 0, v8
	s_mov_b64 s[0:1], -1
	s_cbranch_vccz .LBB135_951
; %bb.950:
	s_lshl_b32 s0, s16, 24
	s_and_b32 s1, s0, 0x80000000
	s_and_b32 s0, s0, 0x7f000000
	s_flbit_i32_b32 s2, s0
	s_min_u32 s2, s2, 32
	v_sub_u32_e64 v2, s2, 4 clamp
	v_readfirstlane_b32 s3, v2
	s_lshl_b32 s4, s0, s3
	s_add_i32 s2, s0, 0x1000000
	s_lshr_b32 s4, s4, 4
	s_lshl_b32 s3, s3, 23
	s_ashr_i32 s2, s2, 8
	s_sub_i32 s3, s4, s3
	s_and_b32 s2, s2, 0x7f800000
	s_add_i32 s3, s3, 0x3c000000
	s_or_b32 s2, s3, s2
	s_cmp_lg_u32 s0, 0
	s_cselect_b32 s0, s2, 0
	s_or_b32 s0, s0, s1
	v_cvt_i32_f32_e32 v2, s0
	s_mov_b64 s[0:1], 0
	global_store_byte v[0:1], v2, off
.LBB135_951:
	s_andn2_b64 vcc, exec, s[0:1]
	s_cbranch_vccnz .LBB135_953
; %bb.952:
	s_lshl_b32 s0, s16, 24
	s_and_b32 s1, s0, 0x80000000
	s_and_b32 s0, s0, 0x7f000000
	s_flbit_i32_b32 s2, s0
	s_min_u32 s2, s2, 32
	v_sub_u32_e64 v2, s2, 4 clamp
	v_readfirstlane_b32 s3, v2
	s_lshl_b32 s4, s0, s3
	s_add_i32 s2, s0, 0x1000000
	s_lshr_b32 s4, s4, 4
	s_lshl_b32 s3, s3, 23
	s_ashr_i32 s2, s2, 8
	s_sub_i32 s3, s4, s3
	s_and_b32 s2, s2, 0x7f800000
	s_add_i32 s3, s3, 0x3c000000
	s_or_b32 s2, s3, s2
	s_cmp_lg_u32 s0, 0
	s_cselect_b32 s0, s2, 0
	s_or_b32 s0, s0, s1
	v_trunc_f32_e32 v2, s0
	s_mov_b32 s0, 0x2f800000
	v_mul_f32_e64 v3, |v2|, s0
	v_floor_f32_e32 v3, v3
	s_mov_b32 s0, 0xcf800000
	v_fma_f32 v3, v3, s0, |v2|
	v_cvt_u32_f32_e32 v3, v3
	v_ashrrev_i32_e32 v2, 31, v2
	v_xor_b32_e32 v3, v3, v2
	v_sub_u32_e32 v2, v3, v2
	global_store_byte v[0:1], v2, off
	s_endpgm
.LBB135_953:
	s_endpgm
.LBB135_954:
	s_trap 2
	s_or_b64 s[2:3], s[2:3], exec
	s_cbranch_execz .LBB135_869
	s_branch .LBB135_870
.LBB135_955:
	s_mov_b64 s[8:9], -1
	s_mov_b64 s[4:5], 0
                                        ; implicit-def: $sgpr11
.LBB135_956:
	s_andn2_b64 vcc, exec, s[8:9]
	v_mov_b32_e32 v2, s11
                                        ; implicit-def: $sgpr8
	s_cbranch_vccnz .LBB135_958
; %bb.957:
	v_mov_b32_e32 v2, 0x42800000
	v_add_f32_e64 v2, |s10|, v2
	v_and_b32_e32 v2, 0xff, v2
	s_mov_b32 s8, 0
	v_cmp_ne_u32_e64 s[4:5], 0, v2
.LBB135_958:
	s_andn2_b64 vcc, exec, s[4:5]
	v_mov_b32_e32 v3, s8
	s_cbranch_vccnz .LBB135_960
; %bb.959:
	s_lshr_b32 s4, s10, 24
	s_and_b32 s4, s4, 0x80
	v_or_b32_e32 v3, s4, v2
.LBB135_960:
	s_mov_b64 s[4:5], 0
	global_store_byte v[0:1], v3, off
.LBB135_961:
	s_and_b64 vcc, exec, s[4:5]
	s_cbranch_vccz .LBB135_963
; %bb.962:
	v_mov_b32_e32 v2, s16
	global_store_byte v[0:1], v2, off
.LBB135_963:
	s_mov_b64 s[4:5], 0
.LBB135_964:
	s_andn2_b64 vcc, exec, s[4:5]
	s_cbranch_vccnz .LBB135_976
; %bb.965:
	s_lshl_b32 s4, s16, 24
	s_and_b32 s5, s4, 0x80000000
	s_and_b32 s4, s4, 0x7f000000
	s_flbit_i32_b32 s8, s4
	s_min_u32 s8, s8, 32
	v_sub_u32_e64 v2, s8, 4 clamp
	v_readfirstlane_b32 s9, v2
	s_lshl_b32 s10, s4, s9
	s_add_i32 s8, s4, 0x1000000
	s_lshr_b32 s10, s10, 4
	s_lshl_b32 s9, s9, 23
	s_ashr_i32 s8, s8, 8
	s_sub_i32 s9, s10, s9
	s_and_b32 s8, s8, 0x7f800000
	s_add_i32 s9, s9, 0x3c000000
	s_or_b32 s8, s9, s8
	s_cmp_lg_u32 s4, 0
	s_cselect_b32 s4, s8, 0
	s_or_b32 s8, s4, s5
	s_and_b32 s9, s8, 0x7fffffff
	s_cmp_lt_u32 s9, 0x47800000
	s_cbranch_scc0 .LBB135_968
; %bb.966:
	s_cmp_gt_u32 s9, 0x387fffff
	s_cbranch_scc0 .LBB135_969
; %bb.967:
	s_bfe_u32 s4, s4, 0x10015
	s_add_i32 s4, s8, s4
	s_add_i32 s4, s4, 0x80fffff
	s_lshr_b32 s10, s4, 21
	s_mov_b64 s[4:5], 0
	s_branch .LBB135_970
.LBB135_968:
	s_mov_b64 s[4:5], -1
                                        ; implicit-def: $vgpr2
	s_branch .LBB135_973
.LBB135_969:
	s_mov_b64 s[4:5], -1
                                        ; implicit-def: $sgpr10
.LBB135_970:
	s_andn2_b64 vcc, exec, s[4:5]
	v_mov_b32_e32 v2, s10
	s_cbranch_vccnz .LBB135_972
; %bb.971:
	v_mov_b32_e32 v2, 0x43000000
	v_add_f32_e64 v2, |s8|, v2
.LBB135_972:
	s_mov_b64 s[4:5], 0
.LBB135_973:
	s_andn2_b64 vcc, exec, s[4:5]
	s_cbranch_vccnz .LBB135_975
; %bb.974:
	s_cmp_gt_u32 s9, 0x7f800000
	s_movk_i32 s4, 0x7f
	s_cselect_b32 s4, s4, 0x7c
	v_mov_b32_e32 v2, s4
.LBB135_975:
	s_lshr_b32 s4, s8, 24
	s_and_b32 s4, s4, 0x80
	v_or_b32_e32 v2, s4, v2
	global_store_byte v[0:1], v2, off
.LBB135_976:
	s_mov_b64 s[4:5], 0
.LBB135_977:
	s_andn2_b64 vcc, exec, s[4:5]
	s_mov_b64 s[4:5], 0
	s_cbranch_vccnz .LBB135_984
; %bb.978:
	v_cmp_lt_i16_e32 vcc, 14, v8
	s_mov_b64 s[8:9], -1
	s_cbranch_vccz .LBB135_982
; %bb.979:
	v_cmp_eq_u16_e32 vcc, 15, v8
	s_mov_b64 s[0:1], -1
	s_cbranch_vccz .LBB135_981
; %bb.980:
	s_lshl_b32 s0, s16, 24
	s_and_b32 s1, s0, 0x80000000
	s_and_b32 s0, s0, 0x7f000000
	s_flbit_i32_b32 s4, s0
	s_min_u32 s4, s4, 32
	v_sub_u32_e64 v2, s4, 4 clamp
	v_readfirstlane_b32 s5, v2
	s_lshl_b32 s8, s0, s5
	s_add_i32 s4, s0, 0x1000000
	s_lshr_b32 s8, s8, 4
	s_lshl_b32 s5, s5, 23
	s_ashr_i32 s4, s4, 8
	s_sub_i32 s5, s8, s5
	s_and_b32 s4, s4, 0x7f800000
	s_add_i32 s5, s5, 0x3c000000
	s_or_b32 s4, s5, s4
	s_cmp_lg_u32 s0, 0
	s_cselect_b32 s0, s4, 0
	s_or_b32 s1, s0, s1
	s_bfe_u32 s0, s0, 0x10010
	s_add_i32 s0, s1, s0
	s_addk_i32 s0, 0x7fff
	s_lshr_b32 s4, s0, 16
	v_cmp_o_f32_e64 s[0:1], s1, s1
	s_and_b64 s[0:1], s[0:1], exec
	s_cselect_b32 s0, s4, 0x7fc0
	v_mov_b32_e32 v2, s0
	global_store_short v[0:1], v2, off
	s_mov_b64 s[0:1], 0
.LBB135_981:
	s_mov_b64 s[8:9], 0
.LBB135_982:
	s_mov_b64 s[4:5], 0
	s_and_b64 vcc, exec, s[8:9]
	s_cbranch_vccz .LBB135_984
; %bb.983:
	v_cmp_ne_u16_e64 s[0:1], 11, v8
	s_mov_b64 s[4:5], -1
.LBB135_984:
	s_and_b64 vcc, exec, s[0:1]
	s_cbranch_vccnz .LBB135_986
.LBB135_985:
	s_mov_b64 s[0:1], 0
	s_branch .LBB135_910
.LBB135_986:
	s_mov_b64 s[4:5], 0
	s_or_b64 s[2:3], s[2:3], exec
	s_trap 2
	s_branch .LBB135_985
	.section	.rodata,"a",@progbits
	.p2align	6, 0x0
	.amdhsa_kernel _ZN2at6native32elementwise_kernel_manual_unrollILi128ELi4EZNS0_15gpu_kernel_implINS0_11FillFunctorIN3c1013Float8_e4m3fnEEEEEvRNS_18TensorIteratorBaseERKT_EUlibE0_EEviT1_
		.amdhsa_group_segment_fixed_size 0
		.amdhsa_private_segment_fixed_size 0
		.amdhsa_kernarg_size 288
		.amdhsa_user_sgpr_count 6
		.amdhsa_user_sgpr_private_segment_buffer 1
		.amdhsa_user_sgpr_dispatch_ptr 0
		.amdhsa_user_sgpr_queue_ptr 0
		.amdhsa_user_sgpr_kernarg_segment_ptr 1
		.amdhsa_user_sgpr_dispatch_id 0
		.amdhsa_user_sgpr_flat_scratch_init 0
		.amdhsa_user_sgpr_kernarg_preload_length 0
		.amdhsa_user_sgpr_kernarg_preload_offset 0
		.amdhsa_user_sgpr_private_segment_size 0
		.amdhsa_uses_dynamic_stack 0
		.amdhsa_system_sgpr_private_segment_wavefront_offset 0
		.amdhsa_system_sgpr_workgroup_id_x 1
		.amdhsa_system_sgpr_workgroup_id_y 0
		.amdhsa_system_sgpr_workgroup_id_z 0
		.amdhsa_system_sgpr_workgroup_info 0
		.amdhsa_system_vgpr_workitem_id 0
		.amdhsa_next_free_vgpr 21
		.amdhsa_next_free_sgpr 89
		.amdhsa_accum_offset 24
		.amdhsa_reserve_vcc 1
		.amdhsa_reserve_flat_scratch 0
		.amdhsa_float_round_mode_32 0
		.amdhsa_float_round_mode_16_64 0
		.amdhsa_float_denorm_mode_32 3
		.amdhsa_float_denorm_mode_16_64 3
		.amdhsa_dx10_clamp 1
		.amdhsa_ieee_mode 1
		.amdhsa_fp16_overflow 0
		.amdhsa_tg_split 0
		.amdhsa_exception_fp_ieee_invalid_op 0
		.amdhsa_exception_fp_denorm_src 0
		.amdhsa_exception_fp_ieee_div_zero 0
		.amdhsa_exception_fp_ieee_overflow 0
		.amdhsa_exception_fp_ieee_underflow 0
		.amdhsa_exception_fp_ieee_inexact 0
		.amdhsa_exception_int_div_zero 0
	.end_amdhsa_kernel
	.section	.text._ZN2at6native32elementwise_kernel_manual_unrollILi128ELi4EZNS0_15gpu_kernel_implINS0_11FillFunctorIN3c1013Float8_e4m3fnEEEEEvRNS_18TensorIteratorBaseERKT_EUlibE0_EEviT1_,"axG",@progbits,_ZN2at6native32elementwise_kernel_manual_unrollILi128ELi4EZNS0_15gpu_kernel_implINS0_11FillFunctorIN3c1013Float8_e4m3fnEEEEEvRNS_18TensorIteratorBaseERKT_EUlibE0_EEviT1_,comdat
.Lfunc_end135:
	.size	_ZN2at6native32elementwise_kernel_manual_unrollILi128ELi4EZNS0_15gpu_kernel_implINS0_11FillFunctorIN3c1013Float8_e4m3fnEEEEEvRNS_18TensorIteratorBaseERKT_EUlibE0_EEviT1_, .Lfunc_end135-_ZN2at6native32elementwise_kernel_manual_unrollILi128ELi4EZNS0_15gpu_kernel_implINS0_11FillFunctorIN3c1013Float8_e4m3fnEEEEEvRNS_18TensorIteratorBaseERKT_EUlibE0_EEviT1_
                                        ; -- End function
	.section	.AMDGPU.csdata,"",@progbits
; Kernel info:
; codeLenInByte = 24808
; NumSgprs: 93
; NumVgprs: 21
; NumAgprs: 0
; TotalNumVgprs: 21
; ScratchSize: 0
; MemoryBound: 0
; FloatMode: 240
; IeeeMode: 1
; LDSByteSize: 0 bytes/workgroup (compile time only)
; SGPRBlocks: 11
; VGPRBlocks: 2
; NumSGPRsForWavesPerEU: 93
; NumVGPRsForWavesPerEU: 21
; AccumOffset: 24
; Occupancy: 8
; WaveLimiterHint : 1
; COMPUTE_PGM_RSRC2:SCRATCH_EN: 0
; COMPUTE_PGM_RSRC2:USER_SGPR: 6
; COMPUTE_PGM_RSRC2:TRAP_HANDLER: 0
; COMPUTE_PGM_RSRC2:TGID_X_EN: 1
; COMPUTE_PGM_RSRC2:TGID_Y_EN: 0
; COMPUTE_PGM_RSRC2:TGID_Z_EN: 0
; COMPUTE_PGM_RSRC2:TIDIG_COMP_CNT: 0
; COMPUTE_PGM_RSRC3_GFX90A:ACCUM_OFFSET: 5
; COMPUTE_PGM_RSRC3_GFX90A:TG_SPLIT: 0
	.section	.text._ZN2at6native29vectorized_elementwise_kernelILi16ENS0_11FillFunctorIN3c1015Float8_e4m3fnuzEEESt5arrayIPcLm1EEEEviT0_T1_,"axG",@progbits,_ZN2at6native29vectorized_elementwise_kernelILi16ENS0_11FillFunctorIN3c1015Float8_e4m3fnuzEEESt5arrayIPcLm1EEEEviT0_T1_,comdat
	.protected	_ZN2at6native29vectorized_elementwise_kernelILi16ENS0_11FillFunctorIN3c1015Float8_e4m3fnuzEEESt5arrayIPcLm1EEEEviT0_T1_ ; -- Begin function _ZN2at6native29vectorized_elementwise_kernelILi16ENS0_11FillFunctorIN3c1015Float8_e4m3fnuzEEESt5arrayIPcLm1EEEEviT0_T1_
	.globl	_ZN2at6native29vectorized_elementwise_kernelILi16ENS0_11FillFunctorIN3c1015Float8_e4m3fnuzEEESt5arrayIPcLm1EEEEviT0_T1_
	.p2align	8
	.type	_ZN2at6native29vectorized_elementwise_kernelILi16ENS0_11FillFunctorIN3c1015Float8_e4m3fnuzEEESt5arrayIPcLm1EEEEviT0_T1_,@function
_ZN2at6native29vectorized_elementwise_kernelILi16ENS0_11FillFunctorIN3c1015Float8_e4m3fnuzEEESt5arrayIPcLm1EEEEviT0_T1_: ; @_ZN2at6native29vectorized_elementwise_kernelILi16ENS0_11FillFunctorIN3c1015Float8_e4m3fnuzEEESt5arrayIPcLm1EEEEviT0_T1_
; %bb.0:
	s_load_dwordx4 s[0:3], s[4:5], 0x0
	s_lshl_b32 s8, s6, 12
	s_waitcnt lgkmcnt(0)
	s_sub_i32 s0, s0, s8
	s_cmpk_gt_i32 s0, 0xfff
	s_cbranch_scc0 .LBB136_4
; %bb.1:
	s_ashr_i32 s5, s8, 31
	s_add_u32 s4, s2, s8
	s_addc_u32 s5, s3, s5
	v_lshlrev_b32_e32 v1, 4, v0
	v_mov_b32_e32 v2, s5
	v_add_co_u32_e32 v5, vcc, s4, v1
	v_addc_co_u32_e32 v6, vcc, 0, v2, vcc
	v_lshlrev_b16_e64 v2, 8, s1
	v_or_b32_sdwa v7, s1, v2 dst_sel:DWORD dst_unused:UNUSED_PAD src0_sel:BYTE_0 src1_sel:DWORD
	v_lshlrev_b32_e32 v2, 16, v7
	v_mov_b32_e32 v4, s1
	v_or_b32_sdwa v2, v7, v2 dst_sel:DWORD dst_unused:UNUSED_PAD src0_sel:WORD_0 src1_sel:DWORD
	v_mov_b32_e32 v3, v2
	global_store_byte v1, v4, s[4:5] offset:14
	global_store_short v1, v7, s[4:5] offset:12
	v_mov_b32_e32 v4, v2
	global_store_dwordx3 v1, v[2:4], s[4:5]
	s_nop 0
	v_add_co_u32_e32 v2, vcc, 15, v5
	v_addc_co_u32_e32 v3, vcc, 0, v6, vcc
	s_mov_b64 s[4:5], -1
	s_cbranch_execz .LBB136_5
; %bb.2:
	s_and_saveexec_b64 s[2:3], s[4:5]
	s_cbranch_execz .LBB136_24
.LBB136_3:
	v_mov_b32_e32 v0, s1
	global_store_byte v[2:3], v0, off
	s_endpgm
.LBB136_4:
	s_mov_b64 s[4:5], 0
                                        ; implicit-def: $vgpr2_vgpr3
.LBB136_5:
	v_cmp_gt_i32_e32 vcc, s0, v0
	s_and_saveexec_b64 s[6:7], vcc
	s_cbranch_execz .LBB136_25
; %bb.6:
	v_or_b32_e32 v1, 0x100, v0
	v_or_b32_e32 v0, s8, v0
	v_mov_b32_e32 v2, s1
	global_store_byte v0, v2, s[2:3]
	v_mov_b32_e32 v0, v1
	s_or_b64 exec, exec, s[6:7]
	v_cmp_gt_i32_e32 vcc, s0, v0
	s_and_saveexec_b64 s[6:7], vcc
	s_cbranch_execnz .LBB136_26
.LBB136_7:
	s_or_b64 exec, exec, s[6:7]
	v_cmp_gt_i32_e32 vcc, s0, v0
	s_and_saveexec_b64 s[6:7], vcc
	s_cbranch_execz .LBB136_27
.LBB136_8:
	v_add_u32_e32 v1, s8, v0
	v_add_u32_e32 v0, 0x100, v0
	v_mov_b32_e32 v2, s1
	global_store_byte v1, v2, s[2:3]
	s_or_b64 exec, exec, s[6:7]
	v_cmp_gt_i32_e32 vcc, s0, v0
	s_and_saveexec_b64 s[6:7], vcc
	s_cbranch_execnz .LBB136_28
.LBB136_9:
	s_or_b64 exec, exec, s[6:7]
	v_cmp_gt_i32_e32 vcc, s0, v0
	s_and_saveexec_b64 s[6:7], vcc
	s_cbranch_execz .LBB136_29
.LBB136_10:
	v_add_u32_e32 v1, s8, v0
	v_add_u32_e32 v0, 0x100, v0
	v_mov_b32_e32 v2, s1
	global_store_byte v1, v2, s[2:3]
	s_or_b64 exec, exec, s[6:7]
	v_cmp_gt_i32_e32 vcc, s0, v0
	s_and_saveexec_b64 s[6:7], vcc
	s_cbranch_execnz .LBB136_30
.LBB136_11:
	s_or_b64 exec, exec, s[6:7]
	v_cmp_gt_i32_e32 vcc, s0, v0
	s_and_saveexec_b64 s[6:7], vcc
	s_cbranch_execz .LBB136_31
.LBB136_12:
	v_add_u32_e32 v1, s8, v0
	v_add_u32_e32 v0, 0x100, v0
	v_mov_b32_e32 v2, s1
	global_store_byte v1, v2, s[2:3]
	s_or_b64 exec, exec, s[6:7]
	v_cmp_gt_i32_e32 vcc, s0, v0
	s_and_saveexec_b64 s[6:7], vcc
	s_cbranch_execnz .LBB136_32
.LBB136_13:
	s_or_b64 exec, exec, s[6:7]
	v_cmp_gt_i32_e32 vcc, s0, v0
	s_and_saveexec_b64 s[6:7], vcc
	s_cbranch_execz .LBB136_33
.LBB136_14:
	v_add_u32_e32 v1, s8, v0
	v_add_u32_e32 v0, 0x100, v0
	v_mov_b32_e32 v2, s1
	global_store_byte v1, v2, s[2:3]
	s_or_b64 exec, exec, s[6:7]
	v_cmp_gt_i32_e32 vcc, s0, v0
	s_and_saveexec_b64 s[6:7], vcc
	s_cbranch_execnz .LBB136_34
.LBB136_15:
	s_or_b64 exec, exec, s[6:7]
	v_cmp_gt_i32_e32 vcc, s0, v0
	s_and_saveexec_b64 s[6:7], vcc
	s_cbranch_execz .LBB136_35
.LBB136_16:
	v_add_u32_e32 v1, s8, v0
	v_add_u32_e32 v0, 0x100, v0
	v_mov_b32_e32 v2, s1
	global_store_byte v1, v2, s[2:3]
	s_or_b64 exec, exec, s[6:7]
	v_cmp_gt_i32_e32 vcc, s0, v0
	s_and_saveexec_b64 s[6:7], vcc
	s_cbranch_execnz .LBB136_36
.LBB136_17:
	s_or_b64 exec, exec, s[6:7]
	v_cmp_gt_i32_e32 vcc, s0, v0
	s_and_saveexec_b64 s[6:7], vcc
	s_cbranch_execz .LBB136_37
.LBB136_18:
	v_add_u32_e32 v1, s8, v0
	v_add_u32_e32 v0, 0x100, v0
	v_mov_b32_e32 v2, s1
	global_store_byte v1, v2, s[2:3]
	s_or_b64 exec, exec, s[6:7]
	v_cmp_gt_i32_e32 vcc, s0, v0
	s_and_saveexec_b64 s[6:7], vcc
	s_cbranch_execnz .LBB136_38
.LBB136_19:
	s_or_b64 exec, exec, s[6:7]
	v_cmp_gt_i32_e32 vcc, s0, v0
	s_and_saveexec_b64 s[6:7], vcc
	s_cbranch_execz .LBB136_21
.LBB136_20:
	v_add_u32_e32 v1, s8, v0
	v_add_u32_e32 v0, 0x100, v0
	v_mov_b32_e32 v2, s1
	global_store_byte v1, v2, s[2:3]
.LBB136_21:
	s_or_b64 exec, exec, s[6:7]
	v_cmp_gt_i32_e32 vcc, s0, v0
                                        ; implicit-def: $vgpr2_vgpr3
	s_and_saveexec_b64 s[6:7], vcc
; %bb.22:
	v_add_u32_e32 v0, s8, v0
	v_mov_b32_e32 v1, s3
	v_add_co_u32_e32 v2, vcc, s2, v0
	v_addc_co_u32_e32 v3, vcc, 0, v1, vcc
	s_or_b64 s[4:5], s[4:5], exec
; %bb.23:
	s_or_b64 exec, exec, s[6:7]
	s_and_saveexec_b64 s[2:3], s[4:5]
	s_cbranch_execnz .LBB136_3
.LBB136_24:
	s_endpgm
.LBB136_25:
	s_or_b64 exec, exec, s[6:7]
	v_cmp_gt_i32_e32 vcc, s0, v0
	s_and_saveexec_b64 s[6:7], vcc
	s_cbranch_execz .LBB136_7
.LBB136_26:
	v_add_u32_e32 v1, s8, v0
	v_add_u32_e32 v0, 0x100, v0
	v_mov_b32_e32 v2, s1
	global_store_byte v1, v2, s[2:3]
	s_or_b64 exec, exec, s[6:7]
	v_cmp_gt_i32_e32 vcc, s0, v0
	s_and_saveexec_b64 s[6:7], vcc
	s_cbranch_execnz .LBB136_8
.LBB136_27:
	s_or_b64 exec, exec, s[6:7]
	v_cmp_gt_i32_e32 vcc, s0, v0
	s_and_saveexec_b64 s[6:7], vcc
	s_cbranch_execz .LBB136_9
.LBB136_28:
	v_add_u32_e32 v1, s8, v0
	v_add_u32_e32 v0, 0x100, v0
	v_mov_b32_e32 v2, s1
	global_store_byte v1, v2, s[2:3]
	s_or_b64 exec, exec, s[6:7]
	v_cmp_gt_i32_e32 vcc, s0, v0
	s_and_saveexec_b64 s[6:7], vcc
	s_cbranch_execnz .LBB136_10
.LBB136_29:
	s_or_b64 exec, exec, s[6:7]
	v_cmp_gt_i32_e32 vcc, s0, v0
	s_and_saveexec_b64 s[6:7], vcc
	s_cbranch_execz .LBB136_11
.LBB136_30:
	v_add_u32_e32 v1, s8, v0
	v_add_u32_e32 v0, 0x100, v0
	v_mov_b32_e32 v2, s1
	global_store_byte v1, v2, s[2:3]
	s_or_b64 exec, exec, s[6:7]
	v_cmp_gt_i32_e32 vcc, s0, v0
	s_and_saveexec_b64 s[6:7], vcc
	s_cbranch_execnz .LBB136_12
.LBB136_31:
	s_or_b64 exec, exec, s[6:7]
	v_cmp_gt_i32_e32 vcc, s0, v0
	s_and_saveexec_b64 s[6:7], vcc
	s_cbranch_execz .LBB136_13
.LBB136_32:
	v_add_u32_e32 v1, s8, v0
	v_add_u32_e32 v0, 0x100, v0
	v_mov_b32_e32 v2, s1
	global_store_byte v1, v2, s[2:3]
	s_or_b64 exec, exec, s[6:7]
	v_cmp_gt_i32_e32 vcc, s0, v0
	s_and_saveexec_b64 s[6:7], vcc
	s_cbranch_execnz .LBB136_14
.LBB136_33:
	s_or_b64 exec, exec, s[6:7]
	v_cmp_gt_i32_e32 vcc, s0, v0
	s_and_saveexec_b64 s[6:7], vcc
	s_cbranch_execz .LBB136_15
.LBB136_34:
	v_add_u32_e32 v1, s8, v0
	v_add_u32_e32 v0, 0x100, v0
	v_mov_b32_e32 v2, s1
	global_store_byte v1, v2, s[2:3]
	s_or_b64 exec, exec, s[6:7]
	v_cmp_gt_i32_e32 vcc, s0, v0
	s_and_saveexec_b64 s[6:7], vcc
	s_cbranch_execnz .LBB136_16
.LBB136_35:
	s_or_b64 exec, exec, s[6:7]
	v_cmp_gt_i32_e32 vcc, s0, v0
	s_and_saveexec_b64 s[6:7], vcc
	s_cbranch_execz .LBB136_17
.LBB136_36:
	v_add_u32_e32 v1, s8, v0
	v_add_u32_e32 v0, 0x100, v0
	v_mov_b32_e32 v2, s1
	global_store_byte v1, v2, s[2:3]
	s_or_b64 exec, exec, s[6:7]
	v_cmp_gt_i32_e32 vcc, s0, v0
	s_and_saveexec_b64 s[6:7], vcc
	s_cbranch_execnz .LBB136_18
.LBB136_37:
	s_or_b64 exec, exec, s[6:7]
	v_cmp_gt_i32_e32 vcc, s0, v0
	s_and_saveexec_b64 s[6:7], vcc
	s_cbranch_execz .LBB136_19
.LBB136_38:
	v_add_u32_e32 v1, s8, v0
	v_add_u32_e32 v0, 0x100, v0
	v_mov_b32_e32 v2, s1
	global_store_byte v1, v2, s[2:3]
	s_or_b64 exec, exec, s[6:7]
	v_cmp_gt_i32_e32 vcc, s0, v0
	s_and_saveexec_b64 s[6:7], vcc
	s_cbranch_execz .LBB136_21
	s_branch .LBB136_20
	.section	.rodata,"a",@progbits
	.p2align	6, 0x0
	.amdhsa_kernel _ZN2at6native29vectorized_elementwise_kernelILi16ENS0_11FillFunctorIN3c1015Float8_e4m3fnuzEEESt5arrayIPcLm1EEEEviT0_T1_
		.amdhsa_group_segment_fixed_size 0
		.amdhsa_private_segment_fixed_size 0
		.amdhsa_kernarg_size 16
		.amdhsa_user_sgpr_count 6
		.amdhsa_user_sgpr_private_segment_buffer 1
		.amdhsa_user_sgpr_dispatch_ptr 0
		.amdhsa_user_sgpr_queue_ptr 0
		.amdhsa_user_sgpr_kernarg_segment_ptr 1
		.amdhsa_user_sgpr_dispatch_id 0
		.amdhsa_user_sgpr_flat_scratch_init 0
		.amdhsa_user_sgpr_kernarg_preload_length 0
		.amdhsa_user_sgpr_kernarg_preload_offset 0
		.amdhsa_user_sgpr_private_segment_size 0
		.amdhsa_uses_dynamic_stack 0
		.amdhsa_system_sgpr_private_segment_wavefront_offset 0
		.amdhsa_system_sgpr_workgroup_id_x 1
		.amdhsa_system_sgpr_workgroup_id_y 0
		.amdhsa_system_sgpr_workgroup_id_z 0
		.amdhsa_system_sgpr_workgroup_info 0
		.amdhsa_system_vgpr_workitem_id 0
		.amdhsa_next_free_vgpr 8
		.amdhsa_next_free_sgpr 9
		.amdhsa_accum_offset 8
		.amdhsa_reserve_vcc 1
		.amdhsa_reserve_flat_scratch 0
		.amdhsa_float_round_mode_32 0
		.amdhsa_float_round_mode_16_64 0
		.amdhsa_float_denorm_mode_32 3
		.amdhsa_float_denorm_mode_16_64 3
		.amdhsa_dx10_clamp 1
		.amdhsa_ieee_mode 1
		.amdhsa_fp16_overflow 0
		.amdhsa_tg_split 0
		.amdhsa_exception_fp_ieee_invalid_op 0
		.amdhsa_exception_fp_denorm_src 0
		.amdhsa_exception_fp_ieee_div_zero 0
		.amdhsa_exception_fp_ieee_overflow 0
		.amdhsa_exception_fp_ieee_underflow 0
		.amdhsa_exception_fp_ieee_inexact 0
		.amdhsa_exception_int_div_zero 0
	.end_amdhsa_kernel
	.section	.text._ZN2at6native29vectorized_elementwise_kernelILi16ENS0_11FillFunctorIN3c1015Float8_e4m3fnuzEEESt5arrayIPcLm1EEEEviT0_T1_,"axG",@progbits,_ZN2at6native29vectorized_elementwise_kernelILi16ENS0_11FillFunctorIN3c1015Float8_e4m3fnuzEEESt5arrayIPcLm1EEEEviT0_T1_,comdat
.Lfunc_end136:
	.size	_ZN2at6native29vectorized_elementwise_kernelILi16ENS0_11FillFunctorIN3c1015Float8_e4m3fnuzEEESt5arrayIPcLm1EEEEviT0_T1_, .Lfunc_end136-_ZN2at6native29vectorized_elementwise_kernelILi16ENS0_11FillFunctorIN3c1015Float8_e4m3fnuzEEESt5arrayIPcLm1EEEEviT0_T1_
                                        ; -- End function
	.section	.AMDGPU.csdata,"",@progbits
; Kernel info:
; codeLenInByte = 1044
; NumSgprs: 13
; NumVgprs: 8
; NumAgprs: 0
; TotalNumVgprs: 8
; ScratchSize: 0
; MemoryBound: 0
; FloatMode: 240
; IeeeMode: 1
; LDSByteSize: 0 bytes/workgroup (compile time only)
; SGPRBlocks: 1
; VGPRBlocks: 0
; NumSGPRsForWavesPerEU: 13
; NumVGPRsForWavesPerEU: 8
; AccumOffset: 8
; Occupancy: 8
; WaveLimiterHint : 0
; COMPUTE_PGM_RSRC2:SCRATCH_EN: 0
; COMPUTE_PGM_RSRC2:USER_SGPR: 6
; COMPUTE_PGM_RSRC2:TRAP_HANDLER: 0
; COMPUTE_PGM_RSRC2:TGID_X_EN: 1
; COMPUTE_PGM_RSRC2:TGID_Y_EN: 0
; COMPUTE_PGM_RSRC2:TGID_Z_EN: 0
; COMPUTE_PGM_RSRC2:TIDIG_COMP_CNT: 0
; COMPUTE_PGM_RSRC3_GFX90A:ACCUM_OFFSET: 1
; COMPUTE_PGM_RSRC3_GFX90A:TG_SPLIT: 0
	.section	.text._ZN2at6native29vectorized_elementwise_kernelILi8ENS0_11FillFunctorIN3c1015Float8_e4m3fnuzEEESt5arrayIPcLm1EEEEviT0_T1_,"axG",@progbits,_ZN2at6native29vectorized_elementwise_kernelILi8ENS0_11FillFunctorIN3c1015Float8_e4m3fnuzEEESt5arrayIPcLm1EEEEviT0_T1_,comdat
	.protected	_ZN2at6native29vectorized_elementwise_kernelILi8ENS0_11FillFunctorIN3c1015Float8_e4m3fnuzEEESt5arrayIPcLm1EEEEviT0_T1_ ; -- Begin function _ZN2at6native29vectorized_elementwise_kernelILi8ENS0_11FillFunctorIN3c1015Float8_e4m3fnuzEEESt5arrayIPcLm1EEEEviT0_T1_
	.globl	_ZN2at6native29vectorized_elementwise_kernelILi8ENS0_11FillFunctorIN3c1015Float8_e4m3fnuzEEESt5arrayIPcLm1EEEEviT0_T1_
	.p2align	8
	.type	_ZN2at6native29vectorized_elementwise_kernelILi8ENS0_11FillFunctorIN3c1015Float8_e4m3fnuzEEESt5arrayIPcLm1EEEEviT0_T1_,@function
_ZN2at6native29vectorized_elementwise_kernelILi8ENS0_11FillFunctorIN3c1015Float8_e4m3fnuzEEESt5arrayIPcLm1EEEEviT0_T1_: ; @_ZN2at6native29vectorized_elementwise_kernelILi8ENS0_11FillFunctorIN3c1015Float8_e4m3fnuzEEESt5arrayIPcLm1EEEEviT0_T1_
; %bb.0:
	s_load_dwordx4 s[0:3], s[4:5], 0x0
	s_lshl_b32 s6, s6, 12
	s_mov_b64 s[4:5], -1
	s_waitcnt lgkmcnt(0)
	s_sub_i32 s0, s0, s6
	s_cmpk_gt_i32 s0, 0xfff
	s_cbranch_scc0 .LBB137_2
; %bb.1:
	s_ashr_i32 s5, s6, 31
	s_add_u32 s4, s2, s6
	s_addc_u32 s5, s3, s5
	s_and_b32 s7, s1, 0xff
	s_mul_i32 s8, s7, 0x1010101
	s_mov_b32 s9, s8
	v_lshlrev_b32_e32 v1, 3, v0
	v_pk_mov_b32 v[2:3], s[8:9], s[8:9] op_sel:[0,1]
	global_store_dwordx2 v1, v[2:3], s[4:5]
	global_store_dwordx2 v1, v[2:3], s[4:5] offset:2048
	s_mov_b64 s[4:5], 0
.LBB137_2:
	s_andn2_b64 vcc, exec, s[4:5]
	s_cbranch_vccnz .LBB137_20
; %bb.3:
	v_cmp_gt_i32_e32 vcc, s0, v0
	s_and_saveexec_b64 s[4:5], vcc
	s_cbranch_execnz .LBB137_21
; %bb.4:
	s_or_b64 exec, exec, s[4:5]
	v_cmp_gt_i32_e32 vcc, s0, v0
	s_and_saveexec_b64 s[4:5], vcc
	s_cbranch_execnz .LBB137_22
.LBB137_5:
	s_or_b64 exec, exec, s[4:5]
	v_cmp_gt_i32_e32 vcc, s0, v0
	s_and_saveexec_b64 s[4:5], vcc
	s_cbranch_execnz .LBB137_23
.LBB137_6:
	s_or_b64 exec, exec, s[4:5]
	v_cmp_gt_i32_e32 vcc, s0, v0
	s_and_saveexec_b64 s[4:5], vcc
	s_cbranch_execnz .LBB137_24
.LBB137_7:
	s_or_b64 exec, exec, s[4:5]
	v_cmp_gt_i32_e32 vcc, s0, v0
	s_and_saveexec_b64 s[4:5], vcc
	s_cbranch_execnz .LBB137_25
.LBB137_8:
	s_or_b64 exec, exec, s[4:5]
	v_cmp_gt_i32_e32 vcc, s0, v0
	s_and_saveexec_b64 s[4:5], vcc
	s_cbranch_execnz .LBB137_26
.LBB137_9:
	s_or_b64 exec, exec, s[4:5]
	v_cmp_gt_i32_e32 vcc, s0, v0
	s_and_saveexec_b64 s[4:5], vcc
	s_cbranch_execnz .LBB137_27
.LBB137_10:
	s_or_b64 exec, exec, s[4:5]
	v_cmp_gt_i32_e32 vcc, s0, v0
	s_and_saveexec_b64 s[4:5], vcc
	s_cbranch_execnz .LBB137_28
.LBB137_11:
	s_or_b64 exec, exec, s[4:5]
	v_cmp_gt_i32_e32 vcc, s0, v0
	s_and_saveexec_b64 s[4:5], vcc
	s_cbranch_execnz .LBB137_29
.LBB137_12:
	s_or_b64 exec, exec, s[4:5]
	v_cmp_gt_i32_e32 vcc, s0, v0
	s_and_saveexec_b64 s[4:5], vcc
	s_cbranch_execnz .LBB137_30
.LBB137_13:
	s_or_b64 exec, exec, s[4:5]
	v_cmp_gt_i32_e32 vcc, s0, v0
	s_and_saveexec_b64 s[4:5], vcc
	s_cbranch_execnz .LBB137_31
.LBB137_14:
	s_or_b64 exec, exec, s[4:5]
	v_cmp_gt_i32_e32 vcc, s0, v0
	s_and_saveexec_b64 s[4:5], vcc
	s_cbranch_execnz .LBB137_32
.LBB137_15:
	s_or_b64 exec, exec, s[4:5]
	v_cmp_gt_i32_e32 vcc, s0, v0
	s_and_saveexec_b64 s[4:5], vcc
	s_cbranch_execnz .LBB137_33
.LBB137_16:
	s_or_b64 exec, exec, s[4:5]
	v_cmp_gt_i32_e32 vcc, s0, v0
	s_and_saveexec_b64 s[4:5], vcc
	s_cbranch_execnz .LBB137_34
.LBB137_17:
	s_or_b64 exec, exec, s[4:5]
	v_cmp_gt_i32_e32 vcc, s0, v0
	s_and_saveexec_b64 s[4:5], vcc
	s_cbranch_execnz .LBB137_35
.LBB137_18:
	s_or_b64 exec, exec, s[4:5]
	v_cmp_gt_i32_e32 vcc, s0, v0
	s_and_saveexec_b64 s[4:5], vcc
	s_cbranch_execz .LBB137_20
.LBB137_19:
	v_add_u32_e32 v0, s6, v0
	v_mov_b32_e32 v1, s1
	global_store_byte v0, v1, s[2:3]
.LBB137_20:
	s_endpgm
.LBB137_21:
	v_or_b32_e32 v1, 0x100, v0
	v_or_b32_e32 v0, s6, v0
	v_mov_b32_e32 v2, s1
	global_store_byte v0, v2, s[2:3]
	v_mov_b32_e32 v0, v1
	s_or_b64 exec, exec, s[4:5]
	v_cmp_gt_i32_e32 vcc, s0, v0
	s_and_saveexec_b64 s[4:5], vcc
	s_cbranch_execz .LBB137_5
.LBB137_22:
	v_add_u32_e32 v1, s6, v0
	v_add_u32_e32 v0, 0x100, v0
	v_mov_b32_e32 v2, s1
	global_store_byte v1, v2, s[2:3]
	s_or_b64 exec, exec, s[4:5]
	v_cmp_gt_i32_e32 vcc, s0, v0
	s_and_saveexec_b64 s[4:5], vcc
	s_cbranch_execz .LBB137_6
.LBB137_23:
	v_add_u32_e32 v1, s6, v0
	v_add_u32_e32 v0, 0x100, v0
	v_mov_b32_e32 v2, s1
	global_store_byte v1, v2, s[2:3]
	s_or_b64 exec, exec, s[4:5]
	v_cmp_gt_i32_e32 vcc, s0, v0
	s_and_saveexec_b64 s[4:5], vcc
	s_cbranch_execz .LBB137_7
.LBB137_24:
	v_add_u32_e32 v1, s6, v0
	v_add_u32_e32 v0, 0x100, v0
	v_mov_b32_e32 v2, s1
	global_store_byte v1, v2, s[2:3]
	s_or_b64 exec, exec, s[4:5]
	v_cmp_gt_i32_e32 vcc, s0, v0
	s_and_saveexec_b64 s[4:5], vcc
	s_cbranch_execz .LBB137_8
.LBB137_25:
	v_add_u32_e32 v1, s6, v0
	v_add_u32_e32 v0, 0x100, v0
	v_mov_b32_e32 v2, s1
	global_store_byte v1, v2, s[2:3]
	s_or_b64 exec, exec, s[4:5]
	v_cmp_gt_i32_e32 vcc, s0, v0
	s_and_saveexec_b64 s[4:5], vcc
	s_cbranch_execz .LBB137_9
.LBB137_26:
	v_add_u32_e32 v1, s6, v0
	v_add_u32_e32 v0, 0x100, v0
	v_mov_b32_e32 v2, s1
	global_store_byte v1, v2, s[2:3]
	s_or_b64 exec, exec, s[4:5]
	v_cmp_gt_i32_e32 vcc, s0, v0
	s_and_saveexec_b64 s[4:5], vcc
	s_cbranch_execz .LBB137_10
.LBB137_27:
	v_add_u32_e32 v1, s6, v0
	v_add_u32_e32 v0, 0x100, v0
	v_mov_b32_e32 v2, s1
	global_store_byte v1, v2, s[2:3]
	s_or_b64 exec, exec, s[4:5]
	v_cmp_gt_i32_e32 vcc, s0, v0
	s_and_saveexec_b64 s[4:5], vcc
	s_cbranch_execz .LBB137_11
.LBB137_28:
	v_add_u32_e32 v1, s6, v0
	v_add_u32_e32 v0, 0x100, v0
	v_mov_b32_e32 v2, s1
	global_store_byte v1, v2, s[2:3]
	s_or_b64 exec, exec, s[4:5]
	v_cmp_gt_i32_e32 vcc, s0, v0
	s_and_saveexec_b64 s[4:5], vcc
	s_cbranch_execz .LBB137_12
.LBB137_29:
	v_add_u32_e32 v1, s6, v0
	v_add_u32_e32 v0, 0x100, v0
	v_mov_b32_e32 v2, s1
	global_store_byte v1, v2, s[2:3]
	s_or_b64 exec, exec, s[4:5]
	v_cmp_gt_i32_e32 vcc, s0, v0
	s_and_saveexec_b64 s[4:5], vcc
	s_cbranch_execz .LBB137_13
.LBB137_30:
	v_add_u32_e32 v1, s6, v0
	v_add_u32_e32 v0, 0x100, v0
	v_mov_b32_e32 v2, s1
	global_store_byte v1, v2, s[2:3]
	s_or_b64 exec, exec, s[4:5]
	v_cmp_gt_i32_e32 vcc, s0, v0
	s_and_saveexec_b64 s[4:5], vcc
	s_cbranch_execz .LBB137_14
.LBB137_31:
	v_add_u32_e32 v1, s6, v0
	v_add_u32_e32 v0, 0x100, v0
	v_mov_b32_e32 v2, s1
	global_store_byte v1, v2, s[2:3]
	s_or_b64 exec, exec, s[4:5]
	v_cmp_gt_i32_e32 vcc, s0, v0
	s_and_saveexec_b64 s[4:5], vcc
	s_cbranch_execz .LBB137_15
.LBB137_32:
	v_add_u32_e32 v1, s6, v0
	v_add_u32_e32 v0, 0x100, v0
	v_mov_b32_e32 v2, s1
	global_store_byte v1, v2, s[2:3]
	s_or_b64 exec, exec, s[4:5]
	v_cmp_gt_i32_e32 vcc, s0, v0
	s_and_saveexec_b64 s[4:5], vcc
	s_cbranch_execz .LBB137_16
.LBB137_33:
	v_add_u32_e32 v1, s6, v0
	v_add_u32_e32 v0, 0x100, v0
	v_mov_b32_e32 v2, s1
	global_store_byte v1, v2, s[2:3]
	s_or_b64 exec, exec, s[4:5]
	v_cmp_gt_i32_e32 vcc, s0, v0
	s_and_saveexec_b64 s[4:5], vcc
	s_cbranch_execz .LBB137_17
.LBB137_34:
	v_add_u32_e32 v1, s6, v0
	v_add_u32_e32 v0, 0x100, v0
	v_mov_b32_e32 v2, s1
	global_store_byte v1, v2, s[2:3]
	s_or_b64 exec, exec, s[4:5]
	v_cmp_gt_i32_e32 vcc, s0, v0
	s_and_saveexec_b64 s[4:5], vcc
	s_cbranch_execz .LBB137_18
.LBB137_35:
	v_add_u32_e32 v1, s6, v0
	v_add_u32_e32 v0, 0x100, v0
	v_mov_b32_e32 v2, s1
	global_store_byte v1, v2, s[2:3]
	s_or_b64 exec, exec, s[4:5]
	v_cmp_gt_i32_e32 vcc, s0, v0
	s_and_saveexec_b64 s[4:5], vcc
	s_cbranch_execnz .LBB137_19
	s_branch .LBB137_20
	.section	.rodata,"a",@progbits
	.p2align	6, 0x0
	.amdhsa_kernel _ZN2at6native29vectorized_elementwise_kernelILi8ENS0_11FillFunctorIN3c1015Float8_e4m3fnuzEEESt5arrayIPcLm1EEEEviT0_T1_
		.amdhsa_group_segment_fixed_size 0
		.amdhsa_private_segment_fixed_size 0
		.amdhsa_kernarg_size 16
		.amdhsa_user_sgpr_count 6
		.amdhsa_user_sgpr_private_segment_buffer 1
		.amdhsa_user_sgpr_dispatch_ptr 0
		.amdhsa_user_sgpr_queue_ptr 0
		.amdhsa_user_sgpr_kernarg_segment_ptr 1
		.amdhsa_user_sgpr_dispatch_id 0
		.amdhsa_user_sgpr_flat_scratch_init 0
		.amdhsa_user_sgpr_kernarg_preload_length 0
		.amdhsa_user_sgpr_kernarg_preload_offset 0
		.amdhsa_user_sgpr_private_segment_size 0
		.amdhsa_uses_dynamic_stack 0
		.amdhsa_system_sgpr_private_segment_wavefront_offset 0
		.amdhsa_system_sgpr_workgroup_id_x 1
		.amdhsa_system_sgpr_workgroup_id_y 0
		.amdhsa_system_sgpr_workgroup_id_z 0
		.amdhsa_system_sgpr_workgroup_info 0
		.amdhsa_system_vgpr_workitem_id 0
		.amdhsa_next_free_vgpr 4
		.amdhsa_next_free_sgpr 10
		.amdhsa_accum_offset 4
		.amdhsa_reserve_vcc 1
		.amdhsa_reserve_flat_scratch 0
		.amdhsa_float_round_mode_32 0
		.amdhsa_float_round_mode_16_64 0
		.amdhsa_float_denorm_mode_32 3
		.amdhsa_float_denorm_mode_16_64 3
		.amdhsa_dx10_clamp 1
		.amdhsa_ieee_mode 1
		.amdhsa_fp16_overflow 0
		.amdhsa_tg_split 0
		.amdhsa_exception_fp_ieee_invalid_op 0
		.amdhsa_exception_fp_denorm_src 0
		.amdhsa_exception_fp_ieee_div_zero 0
		.amdhsa_exception_fp_ieee_overflow 0
		.amdhsa_exception_fp_ieee_underflow 0
		.amdhsa_exception_fp_ieee_inexact 0
		.amdhsa_exception_int_div_zero 0
	.end_amdhsa_kernel
	.section	.text._ZN2at6native29vectorized_elementwise_kernelILi8ENS0_11FillFunctorIN3c1015Float8_e4m3fnuzEEESt5arrayIPcLm1EEEEviT0_T1_,"axG",@progbits,_ZN2at6native29vectorized_elementwise_kernelILi8ENS0_11FillFunctorIN3c1015Float8_e4m3fnuzEEESt5arrayIPcLm1EEEEviT0_T1_,comdat
.Lfunc_end137:
	.size	_ZN2at6native29vectorized_elementwise_kernelILi8ENS0_11FillFunctorIN3c1015Float8_e4m3fnuzEEESt5arrayIPcLm1EEEEviT0_T1_, .Lfunc_end137-_ZN2at6native29vectorized_elementwise_kernelILi8ENS0_11FillFunctorIN3c1015Float8_e4m3fnuzEEESt5arrayIPcLm1EEEEviT0_T1_
                                        ; -- End function
	.section	.AMDGPU.csdata,"",@progbits
; Kernel info:
; codeLenInByte = 984
; NumSgprs: 14
; NumVgprs: 4
; NumAgprs: 0
; TotalNumVgprs: 4
; ScratchSize: 0
; MemoryBound: 0
; FloatMode: 240
; IeeeMode: 1
; LDSByteSize: 0 bytes/workgroup (compile time only)
; SGPRBlocks: 1
; VGPRBlocks: 0
; NumSGPRsForWavesPerEU: 14
; NumVGPRsForWavesPerEU: 4
; AccumOffset: 4
; Occupancy: 8
; WaveLimiterHint : 1
; COMPUTE_PGM_RSRC2:SCRATCH_EN: 0
; COMPUTE_PGM_RSRC2:USER_SGPR: 6
; COMPUTE_PGM_RSRC2:TRAP_HANDLER: 0
; COMPUTE_PGM_RSRC2:TGID_X_EN: 1
; COMPUTE_PGM_RSRC2:TGID_Y_EN: 0
; COMPUTE_PGM_RSRC2:TGID_Z_EN: 0
; COMPUTE_PGM_RSRC2:TIDIG_COMP_CNT: 0
; COMPUTE_PGM_RSRC3_GFX90A:ACCUM_OFFSET: 0
; COMPUTE_PGM_RSRC3_GFX90A:TG_SPLIT: 0
	.section	.text._ZN2at6native29vectorized_elementwise_kernelILi4ENS0_11FillFunctorIN3c1015Float8_e4m3fnuzEEESt5arrayIPcLm1EEEEviT0_T1_,"axG",@progbits,_ZN2at6native29vectorized_elementwise_kernelILi4ENS0_11FillFunctorIN3c1015Float8_e4m3fnuzEEESt5arrayIPcLm1EEEEviT0_T1_,comdat
	.protected	_ZN2at6native29vectorized_elementwise_kernelILi4ENS0_11FillFunctorIN3c1015Float8_e4m3fnuzEEESt5arrayIPcLm1EEEEviT0_T1_ ; -- Begin function _ZN2at6native29vectorized_elementwise_kernelILi4ENS0_11FillFunctorIN3c1015Float8_e4m3fnuzEEESt5arrayIPcLm1EEEEviT0_T1_
	.globl	_ZN2at6native29vectorized_elementwise_kernelILi4ENS0_11FillFunctorIN3c1015Float8_e4m3fnuzEEESt5arrayIPcLm1EEEEviT0_T1_
	.p2align	8
	.type	_ZN2at6native29vectorized_elementwise_kernelILi4ENS0_11FillFunctorIN3c1015Float8_e4m3fnuzEEESt5arrayIPcLm1EEEEviT0_T1_,@function
_ZN2at6native29vectorized_elementwise_kernelILi4ENS0_11FillFunctorIN3c1015Float8_e4m3fnuzEEESt5arrayIPcLm1EEEEviT0_T1_: ; @_ZN2at6native29vectorized_elementwise_kernelILi4ENS0_11FillFunctorIN3c1015Float8_e4m3fnuzEEESt5arrayIPcLm1EEEEviT0_T1_
; %bb.0:
	s_load_dwordx4 s[0:3], s[4:5], 0x0
	s_lshl_b32 s6, s6, 12
	s_mov_b64 s[4:5], -1
	s_waitcnt lgkmcnt(0)
	s_sub_i32 s0, s0, s6
	s_cmpk_gt_i32 s0, 0xfff
	s_cbranch_scc0 .LBB138_2
; %bb.1:
	s_ashr_i32 s5, s6, 31
	s_add_u32 s4, s2, s6
	s_addc_u32 s5, s3, s5
	s_and_b32 s7, s1, 0xff
	s_mul_i32 s7, s7, 0x1010101
	v_lshlrev_b32_e32 v1, 2, v0
	v_mov_b32_e32 v2, s7
	global_store_dword v1, v2, s[4:5]
	global_store_dword v1, v2, s[4:5] offset:1024
	global_store_dword v1, v2, s[4:5] offset:2048
	;; [unrolled: 1-line block ×3, first 2 shown]
	s_mov_b64 s[4:5], 0
.LBB138_2:
	s_andn2_b64 vcc, exec, s[4:5]
	s_cbranch_vccnz .LBB138_20
; %bb.3:
	v_cmp_gt_i32_e32 vcc, s0, v0
	s_and_saveexec_b64 s[4:5], vcc
	s_cbranch_execnz .LBB138_21
; %bb.4:
	s_or_b64 exec, exec, s[4:5]
	v_cmp_gt_i32_e32 vcc, s0, v0
	s_and_saveexec_b64 s[4:5], vcc
	s_cbranch_execnz .LBB138_22
.LBB138_5:
	s_or_b64 exec, exec, s[4:5]
	v_cmp_gt_i32_e32 vcc, s0, v0
	s_and_saveexec_b64 s[4:5], vcc
	s_cbranch_execnz .LBB138_23
.LBB138_6:
	s_or_b64 exec, exec, s[4:5]
	v_cmp_gt_i32_e32 vcc, s0, v0
	s_and_saveexec_b64 s[4:5], vcc
	s_cbranch_execnz .LBB138_24
.LBB138_7:
	s_or_b64 exec, exec, s[4:5]
	v_cmp_gt_i32_e32 vcc, s0, v0
	s_and_saveexec_b64 s[4:5], vcc
	s_cbranch_execnz .LBB138_25
.LBB138_8:
	s_or_b64 exec, exec, s[4:5]
	v_cmp_gt_i32_e32 vcc, s0, v0
	s_and_saveexec_b64 s[4:5], vcc
	s_cbranch_execnz .LBB138_26
.LBB138_9:
	s_or_b64 exec, exec, s[4:5]
	v_cmp_gt_i32_e32 vcc, s0, v0
	s_and_saveexec_b64 s[4:5], vcc
	s_cbranch_execnz .LBB138_27
.LBB138_10:
	s_or_b64 exec, exec, s[4:5]
	v_cmp_gt_i32_e32 vcc, s0, v0
	s_and_saveexec_b64 s[4:5], vcc
	s_cbranch_execnz .LBB138_28
.LBB138_11:
	s_or_b64 exec, exec, s[4:5]
	v_cmp_gt_i32_e32 vcc, s0, v0
	s_and_saveexec_b64 s[4:5], vcc
	s_cbranch_execnz .LBB138_29
.LBB138_12:
	s_or_b64 exec, exec, s[4:5]
	v_cmp_gt_i32_e32 vcc, s0, v0
	s_and_saveexec_b64 s[4:5], vcc
	s_cbranch_execnz .LBB138_30
.LBB138_13:
	s_or_b64 exec, exec, s[4:5]
	v_cmp_gt_i32_e32 vcc, s0, v0
	s_and_saveexec_b64 s[4:5], vcc
	s_cbranch_execnz .LBB138_31
.LBB138_14:
	s_or_b64 exec, exec, s[4:5]
	v_cmp_gt_i32_e32 vcc, s0, v0
	s_and_saveexec_b64 s[4:5], vcc
	s_cbranch_execnz .LBB138_32
.LBB138_15:
	s_or_b64 exec, exec, s[4:5]
	v_cmp_gt_i32_e32 vcc, s0, v0
	s_and_saveexec_b64 s[4:5], vcc
	s_cbranch_execnz .LBB138_33
.LBB138_16:
	s_or_b64 exec, exec, s[4:5]
	v_cmp_gt_i32_e32 vcc, s0, v0
	s_and_saveexec_b64 s[4:5], vcc
	s_cbranch_execnz .LBB138_34
.LBB138_17:
	s_or_b64 exec, exec, s[4:5]
	v_cmp_gt_i32_e32 vcc, s0, v0
	s_and_saveexec_b64 s[4:5], vcc
	s_cbranch_execnz .LBB138_35
.LBB138_18:
	s_or_b64 exec, exec, s[4:5]
	v_cmp_gt_i32_e32 vcc, s0, v0
	s_and_saveexec_b64 s[4:5], vcc
	s_cbranch_execz .LBB138_20
.LBB138_19:
	v_add_u32_e32 v0, s6, v0
	v_mov_b32_e32 v1, s1
	global_store_byte v0, v1, s[2:3]
.LBB138_20:
	s_endpgm
.LBB138_21:
	v_or_b32_e32 v1, 0x100, v0
	v_or_b32_e32 v0, s6, v0
	v_mov_b32_e32 v2, s1
	global_store_byte v0, v2, s[2:3]
	v_mov_b32_e32 v0, v1
	s_or_b64 exec, exec, s[4:5]
	v_cmp_gt_i32_e32 vcc, s0, v0
	s_and_saveexec_b64 s[4:5], vcc
	s_cbranch_execz .LBB138_5
.LBB138_22:
	v_add_u32_e32 v1, s6, v0
	v_add_u32_e32 v0, 0x100, v0
	v_mov_b32_e32 v2, s1
	global_store_byte v1, v2, s[2:3]
	s_or_b64 exec, exec, s[4:5]
	v_cmp_gt_i32_e32 vcc, s0, v0
	s_and_saveexec_b64 s[4:5], vcc
	s_cbranch_execz .LBB138_6
.LBB138_23:
	v_add_u32_e32 v1, s6, v0
	v_add_u32_e32 v0, 0x100, v0
	v_mov_b32_e32 v2, s1
	global_store_byte v1, v2, s[2:3]
	s_or_b64 exec, exec, s[4:5]
	v_cmp_gt_i32_e32 vcc, s0, v0
	s_and_saveexec_b64 s[4:5], vcc
	s_cbranch_execz .LBB138_7
.LBB138_24:
	v_add_u32_e32 v1, s6, v0
	v_add_u32_e32 v0, 0x100, v0
	v_mov_b32_e32 v2, s1
	global_store_byte v1, v2, s[2:3]
	s_or_b64 exec, exec, s[4:5]
	v_cmp_gt_i32_e32 vcc, s0, v0
	s_and_saveexec_b64 s[4:5], vcc
	s_cbranch_execz .LBB138_8
.LBB138_25:
	v_add_u32_e32 v1, s6, v0
	v_add_u32_e32 v0, 0x100, v0
	v_mov_b32_e32 v2, s1
	global_store_byte v1, v2, s[2:3]
	s_or_b64 exec, exec, s[4:5]
	v_cmp_gt_i32_e32 vcc, s0, v0
	s_and_saveexec_b64 s[4:5], vcc
	s_cbranch_execz .LBB138_9
.LBB138_26:
	v_add_u32_e32 v1, s6, v0
	v_add_u32_e32 v0, 0x100, v0
	v_mov_b32_e32 v2, s1
	global_store_byte v1, v2, s[2:3]
	s_or_b64 exec, exec, s[4:5]
	v_cmp_gt_i32_e32 vcc, s0, v0
	s_and_saveexec_b64 s[4:5], vcc
	s_cbranch_execz .LBB138_10
.LBB138_27:
	v_add_u32_e32 v1, s6, v0
	v_add_u32_e32 v0, 0x100, v0
	v_mov_b32_e32 v2, s1
	global_store_byte v1, v2, s[2:3]
	s_or_b64 exec, exec, s[4:5]
	v_cmp_gt_i32_e32 vcc, s0, v0
	s_and_saveexec_b64 s[4:5], vcc
	s_cbranch_execz .LBB138_11
.LBB138_28:
	v_add_u32_e32 v1, s6, v0
	v_add_u32_e32 v0, 0x100, v0
	v_mov_b32_e32 v2, s1
	global_store_byte v1, v2, s[2:3]
	s_or_b64 exec, exec, s[4:5]
	v_cmp_gt_i32_e32 vcc, s0, v0
	s_and_saveexec_b64 s[4:5], vcc
	s_cbranch_execz .LBB138_12
.LBB138_29:
	v_add_u32_e32 v1, s6, v0
	v_add_u32_e32 v0, 0x100, v0
	v_mov_b32_e32 v2, s1
	global_store_byte v1, v2, s[2:3]
	s_or_b64 exec, exec, s[4:5]
	v_cmp_gt_i32_e32 vcc, s0, v0
	s_and_saveexec_b64 s[4:5], vcc
	s_cbranch_execz .LBB138_13
.LBB138_30:
	v_add_u32_e32 v1, s6, v0
	v_add_u32_e32 v0, 0x100, v0
	v_mov_b32_e32 v2, s1
	global_store_byte v1, v2, s[2:3]
	s_or_b64 exec, exec, s[4:5]
	v_cmp_gt_i32_e32 vcc, s0, v0
	s_and_saveexec_b64 s[4:5], vcc
	s_cbranch_execz .LBB138_14
.LBB138_31:
	v_add_u32_e32 v1, s6, v0
	v_add_u32_e32 v0, 0x100, v0
	v_mov_b32_e32 v2, s1
	global_store_byte v1, v2, s[2:3]
	s_or_b64 exec, exec, s[4:5]
	v_cmp_gt_i32_e32 vcc, s0, v0
	s_and_saveexec_b64 s[4:5], vcc
	s_cbranch_execz .LBB138_15
.LBB138_32:
	v_add_u32_e32 v1, s6, v0
	v_add_u32_e32 v0, 0x100, v0
	v_mov_b32_e32 v2, s1
	global_store_byte v1, v2, s[2:3]
	s_or_b64 exec, exec, s[4:5]
	v_cmp_gt_i32_e32 vcc, s0, v0
	s_and_saveexec_b64 s[4:5], vcc
	s_cbranch_execz .LBB138_16
.LBB138_33:
	v_add_u32_e32 v1, s6, v0
	v_add_u32_e32 v0, 0x100, v0
	v_mov_b32_e32 v2, s1
	global_store_byte v1, v2, s[2:3]
	s_or_b64 exec, exec, s[4:5]
	v_cmp_gt_i32_e32 vcc, s0, v0
	s_and_saveexec_b64 s[4:5], vcc
	s_cbranch_execz .LBB138_17
.LBB138_34:
	v_add_u32_e32 v1, s6, v0
	v_add_u32_e32 v0, 0x100, v0
	v_mov_b32_e32 v2, s1
	global_store_byte v1, v2, s[2:3]
	s_or_b64 exec, exec, s[4:5]
	v_cmp_gt_i32_e32 vcc, s0, v0
	s_and_saveexec_b64 s[4:5], vcc
	s_cbranch_execz .LBB138_18
.LBB138_35:
	v_add_u32_e32 v1, s6, v0
	v_add_u32_e32 v0, 0x100, v0
	v_mov_b32_e32 v2, s1
	global_store_byte v1, v2, s[2:3]
	s_or_b64 exec, exec, s[4:5]
	v_cmp_gt_i32_e32 vcc, s0, v0
	s_and_saveexec_b64 s[4:5], vcc
	s_cbranch_execnz .LBB138_19
	s_branch .LBB138_20
	.section	.rodata,"a",@progbits
	.p2align	6, 0x0
	.amdhsa_kernel _ZN2at6native29vectorized_elementwise_kernelILi4ENS0_11FillFunctorIN3c1015Float8_e4m3fnuzEEESt5arrayIPcLm1EEEEviT0_T1_
		.amdhsa_group_segment_fixed_size 0
		.amdhsa_private_segment_fixed_size 0
		.amdhsa_kernarg_size 16
		.amdhsa_user_sgpr_count 6
		.amdhsa_user_sgpr_private_segment_buffer 1
		.amdhsa_user_sgpr_dispatch_ptr 0
		.amdhsa_user_sgpr_queue_ptr 0
		.amdhsa_user_sgpr_kernarg_segment_ptr 1
		.amdhsa_user_sgpr_dispatch_id 0
		.amdhsa_user_sgpr_flat_scratch_init 0
		.amdhsa_user_sgpr_kernarg_preload_length 0
		.amdhsa_user_sgpr_kernarg_preload_offset 0
		.amdhsa_user_sgpr_private_segment_size 0
		.amdhsa_uses_dynamic_stack 0
		.amdhsa_system_sgpr_private_segment_wavefront_offset 0
		.amdhsa_system_sgpr_workgroup_id_x 1
		.amdhsa_system_sgpr_workgroup_id_y 0
		.amdhsa_system_sgpr_workgroup_id_z 0
		.amdhsa_system_sgpr_workgroup_info 0
		.amdhsa_system_vgpr_workitem_id 0
		.amdhsa_next_free_vgpr 3
		.amdhsa_next_free_sgpr 8
		.amdhsa_accum_offset 4
		.amdhsa_reserve_vcc 1
		.amdhsa_reserve_flat_scratch 0
		.amdhsa_float_round_mode_32 0
		.amdhsa_float_round_mode_16_64 0
		.amdhsa_float_denorm_mode_32 3
		.amdhsa_float_denorm_mode_16_64 3
		.amdhsa_dx10_clamp 1
		.amdhsa_ieee_mode 1
		.amdhsa_fp16_overflow 0
		.amdhsa_tg_split 0
		.amdhsa_exception_fp_ieee_invalid_op 0
		.amdhsa_exception_fp_denorm_src 0
		.amdhsa_exception_fp_ieee_div_zero 0
		.amdhsa_exception_fp_ieee_overflow 0
		.amdhsa_exception_fp_ieee_underflow 0
		.amdhsa_exception_fp_ieee_inexact 0
		.amdhsa_exception_int_div_zero 0
	.end_amdhsa_kernel
	.section	.text._ZN2at6native29vectorized_elementwise_kernelILi4ENS0_11FillFunctorIN3c1015Float8_e4m3fnuzEEESt5arrayIPcLm1EEEEviT0_T1_,"axG",@progbits,_ZN2at6native29vectorized_elementwise_kernelILi4ENS0_11FillFunctorIN3c1015Float8_e4m3fnuzEEESt5arrayIPcLm1EEEEviT0_T1_,comdat
.Lfunc_end138:
	.size	_ZN2at6native29vectorized_elementwise_kernelILi4ENS0_11FillFunctorIN3c1015Float8_e4m3fnuzEEESt5arrayIPcLm1EEEEviT0_T1_, .Lfunc_end138-_ZN2at6native29vectorized_elementwise_kernelILi4ENS0_11FillFunctorIN3c1015Float8_e4m3fnuzEEESt5arrayIPcLm1EEEEviT0_T1_
                                        ; -- End function
	.section	.AMDGPU.csdata,"",@progbits
; Kernel info:
; codeLenInByte = 992
; NumSgprs: 12
; NumVgprs: 3
; NumAgprs: 0
; TotalNumVgprs: 3
; ScratchSize: 0
; MemoryBound: 0
; FloatMode: 240
; IeeeMode: 1
; LDSByteSize: 0 bytes/workgroup (compile time only)
; SGPRBlocks: 1
; VGPRBlocks: 0
; NumSGPRsForWavesPerEU: 12
; NumVGPRsForWavesPerEU: 3
; AccumOffset: 4
; Occupancy: 8
; WaveLimiterHint : 1
; COMPUTE_PGM_RSRC2:SCRATCH_EN: 0
; COMPUTE_PGM_RSRC2:USER_SGPR: 6
; COMPUTE_PGM_RSRC2:TRAP_HANDLER: 0
; COMPUTE_PGM_RSRC2:TGID_X_EN: 1
; COMPUTE_PGM_RSRC2:TGID_Y_EN: 0
; COMPUTE_PGM_RSRC2:TGID_Z_EN: 0
; COMPUTE_PGM_RSRC2:TIDIG_COMP_CNT: 0
; COMPUTE_PGM_RSRC3_GFX90A:ACCUM_OFFSET: 0
; COMPUTE_PGM_RSRC3_GFX90A:TG_SPLIT: 0
	.section	.text._ZN2at6native29vectorized_elementwise_kernelILi2ENS0_11FillFunctorIN3c1015Float8_e4m3fnuzEEESt5arrayIPcLm1EEEEviT0_T1_,"axG",@progbits,_ZN2at6native29vectorized_elementwise_kernelILi2ENS0_11FillFunctorIN3c1015Float8_e4m3fnuzEEESt5arrayIPcLm1EEEEviT0_T1_,comdat
	.protected	_ZN2at6native29vectorized_elementwise_kernelILi2ENS0_11FillFunctorIN3c1015Float8_e4m3fnuzEEESt5arrayIPcLm1EEEEviT0_T1_ ; -- Begin function _ZN2at6native29vectorized_elementwise_kernelILi2ENS0_11FillFunctorIN3c1015Float8_e4m3fnuzEEESt5arrayIPcLm1EEEEviT0_T1_
	.globl	_ZN2at6native29vectorized_elementwise_kernelILi2ENS0_11FillFunctorIN3c1015Float8_e4m3fnuzEEESt5arrayIPcLm1EEEEviT0_T1_
	.p2align	8
	.type	_ZN2at6native29vectorized_elementwise_kernelILi2ENS0_11FillFunctorIN3c1015Float8_e4m3fnuzEEESt5arrayIPcLm1EEEEviT0_T1_,@function
_ZN2at6native29vectorized_elementwise_kernelILi2ENS0_11FillFunctorIN3c1015Float8_e4m3fnuzEEESt5arrayIPcLm1EEEEviT0_T1_: ; @_ZN2at6native29vectorized_elementwise_kernelILi2ENS0_11FillFunctorIN3c1015Float8_e4m3fnuzEEESt5arrayIPcLm1EEEEviT0_T1_
; %bb.0:
	s_load_dwordx4 s[0:3], s[4:5], 0x0
	s_lshl_b32 s6, s6, 12
	s_mov_b64 s[4:5], -1
	s_waitcnt lgkmcnt(0)
	s_sub_i32 s0, s0, s6
	s_cmpk_gt_i32 s0, 0xfff
	s_cbranch_scc0 .LBB139_2
; %bb.1:
	s_ashr_i32 s5, s6, 31
	s_add_u32 s4, s2, s6
	v_mov_b32_e32 v2, 0x101
	s_addc_u32 s5, s3, s5
	v_lshlrev_b32_e32 v1, 1, v0
	v_mul_lo_u16_sdwa v2, s1, v2 dst_sel:DWORD dst_unused:UNUSED_PAD src0_sel:BYTE_0 src1_sel:DWORD
	global_store_short v1, v2, s[4:5]
	global_store_short v1, v2, s[4:5] offset:512
	global_store_short v1, v2, s[4:5] offset:1024
	;; [unrolled: 1-line block ×7, first 2 shown]
	s_mov_b64 s[4:5], 0
.LBB139_2:
	s_andn2_b64 vcc, exec, s[4:5]
	s_cbranch_vccnz .LBB139_20
; %bb.3:
	v_cmp_gt_i32_e32 vcc, s0, v0
	s_and_saveexec_b64 s[4:5], vcc
	s_cbranch_execnz .LBB139_21
; %bb.4:
	s_or_b64 exec, exec, s[4:5]
	v_cmp_gt_i32_e32 vcc, s0, v0
	s_and_saveexec_b64 s[4:5], vcc
	s_cbranch_execnz .LBB139_22
.LBB139_5:
	s_or_b64 exec, exec, s[4:5]
	v_cmp_gt_i32_e32 vcc, s0, v0
	s_and_saveexec_b64 s[4:5], vcc
	s_cbranch_execnz .LBB139_23
.LBB139_6:
	s_or_b64 exec, exec, s[4:5]
	v_cmp_gt_i32_e32 vcc, s0, v0
	s_and_saveexec_b64 s[4:5], vcc
	s_cbranch_execnz .LBB139_24
.LBB139_7:
	s_or_b64 exec, exec, s[4:5]
	v_cmp_gt_i32_e32 vcc, s0, v0
	s_and_saveexec_b64 s[4:5], vcc
	s_cbranch_execnz .LBB139_25
.LBB139_8:
	s_or_b64 exec, exec, s[4:5]
	v_cmp_gt_i32_e32 vcc, s0, v0
	s_and_saveexec_b64 s[4:5], vcc
	s_cbranch_execnz .LBB139_26
.LBB139_9:
	s_or_b64 exec, exec, s[4:5]
	v_cmp_gt_i32_e32 vcc, s0, v0
	s_and_saveexec_b64 s[4:5], vcc
	s_cbranch_execnz .LBB139_27
.LBB139_10:
	s_or_b64 exec, exec, s[4:5]
	v_cmp_gt_i32_e32 vcc, s0, v0
	s_and_saveexec_b64 s[4:5], vcc
	s_cbranch_execnz .LBB139_28
.LBB139_11:
	s_or_b64 exec, exec, s[4:5]
	v_cmp_gt_i32_e32 vcc, s0, v0
	s_and_saveexec_b64 s[4:5], vcc
	s_cbranch_execnz .LBB139_29
.LBB139_12:
	s_or_b64 exec, exec, s[4:5]
	v_cmp_gt_i32_e32 vcc, s0, v0
	s_and_saveexec_b64 s[4:5], vcc
	s_cbranch_execnz .LBB139_30
.LBB139_13:
	s_or_b64 exec, exec, s[4:5]
	v_cmp_gt_i32_e32 vcc, s0, v0
	s_and_saveexec_b64 s[4:5], vcc
	s_cbranch_execnz .LBB139_31
.LBB139_14:
	s_or_b64 exec, exec, s[4:5]
	v_cmp_gt_i32_e32 vcc, s0, v0
	s_and_saveexec_b64 s[4:5], vcc
	s_cbranch_execnz .LBB139_32
.LBB139_15:
	s_or_b64 exec, exec, s[4:5]
	v_cmp_gt_i32_e32 vcc, s0, v0
	s_and_saveexec_b64 s[4:5], vcc
	s_cbranch_execnz .LBB139_33
.LBB139_16:
	s_or_b64 exec, exec, s[4:5]
	v_cmp_gt_i32_e32 vcc, s0, v0
	s_and_saveexec_b64 s[4:5], vcc
	s_cbranch_execnz .LBB139_34
.LBB139_17:
	s_or_b64 exec, exec, s[4:5]
	v_cmp_gt_i32_e32 vcc, s0, v0
	s_and_saveexec_b64 s[4:5], vcc
	s_cbranch_execnz .LBB139_35
.LBB139_18:
	s_or_b64 exec, exec, s[4:5]
	v_cmp_gt_i32_e32 vcc, s0, v0
	s_and_saveexec_b64 s[4:5], vcc
	s_cbranch_execz .LBB139_20
.LBB139_19:
	v_add_u32_e32 v0, s6, v0
	v_mov_b32_e32 v1, s1
	global_store_byte v0, v1, s[2:3]
.LBB139_20:
	s_endpgm
.LBB139_21:
	v_or_b32_e32 v1, 0x100, v0
	v_or_b32_e32 v0, s6, v0
	v_mov_b32_e32 v2, s1
	global_store_byte v0, v2, s[2:3]
	v_mov_b32_e32 v0, v1
	s_or_b64 exec, exec, s[4:5]
	v_cmp_gt_i32_e32 vcc, s0, v0
	s_and_saveexec_b64 s[4:5], vcc
	s_cbranch_execz .LBB139_5
.LBB139_22:
	v_add_u32_e32 v1, s6, v0
	v_add_u32_e32 v0, 0x100, v0
	v_mov_b32_e32 v2, s1
	global_store_byte v1, v2, s[2:3]
	s_or_b64 exec, exec, s[4:5]
	v_cmp_gt_i32_e32 vcc, s0, v0
	s_and_saveexec_b64 s[4:5], vcc
	s_cbranch_execz .LBB139_6
.LBB139_23:
	v_add_u32_e32 v1, s6, v0
	v_add_u32_e32 v0, 0x100, v0
	v_mov_b32_e32 v2, s1
	global_store_byte v1, v2, s[2:3]
	s_or_b64 exec, exec, s[4:5]
	v_cmp_gt_i32_e32 vcc, s0, v0
	s_and_saveexec_b64 s[4:5], vcc
	s_cbranch_execz .LBB139_7
.LBB139_24:
	v_add_u32_e32 v1, s6, v0
	v_add_u32_e32 v0, 0x100, v0
	v_mov_b32_e32 v2, s1
	global_store_byte v1, v2, s[2:3]
	s_or_b64 exec, exec, s[4:5]
	v_cmp_gt_i32_e32 vcc, s0, v0
	s_and_saveexec_b64 s[4:5], vcc
	s_cbranch_execz .LBB139_8
.LBB139_25:
	v_add_u32_e32 v1, s6, v0
	v_add_u32_e32 v0, 0x100, v0
	v_mov_b32_e32 v2, s1
	global_store_byte v1, v2, s[2:3]
	s_or_b64 exec, exec, s[4:5]
	v_cmp_gt_i32_e32 vcc, s0, v0
	s_and_saveexec_b64 s[4:5], vcc
	s_cbranch_execz .LBB139_9
.LBB139_26:
	v_add_u32_e32 v1, s6, v0
	v_add_u32_e32 v0, 0x100, v0
	v_mov_b32_e32 v2, s1
	global_store_byte v1, v2, s[2:3]
	s_or_b64 exec, exec, s[4:5]
	v_cmp_gt_i32_e32 vcc, s0, v0
	s_and_saveexec_b64 s[4:5], vcc
	s_cbranch_execz .LBB139_10
.LBB139_27:
	v_add_u32_e32 v1, s6, v0
	v_add_u32_e32 v0, 0x100, v0
	v_mov_b32_e32 v2, s1
	global_store_byte v1, v2, s[2:3]
	s_or_b64 exec, exec, s[4:5]
	v_cmp_gt_i32_e32 vcc, s0, v0
	s_and_saveexec_b64 s[4:5], vcc
	s_cbranch_execz .LBB139_11
.LBB139_28:
	v_add_u32_e32 v1, s6, v0
	v_add_u32_e32 v0, 0x100, v0
	v_mov_b32_e32 v2, s1
	global_store_byte v1, v2, s[2:3]
	s_or_b64 exec, exec, s[4:5]
	v_cmp_gt_i32_e32 vcc, s0, v0
	s_and_saveexec_b64 s[4:5], vcc
	s_cbranch_execz .LBB139_12
.LBB139_29:
	v_add_u32_e32 v1, s6, v0
	v_add_u32_e32 v0, 0x100, v0
	v_mov_b32_e32 v2, s1
	global_store_byte v1, v2, s[2:3]
	s_or_b64 exec, exec, s[4:5]
	v_cmp_gt_i32_e32 vcc, s0, v0
	s_and_saveexec_b64 s[4:5], vcc
	s_cbranch_execz .LBB139_13
.LBB139_30:
	v_add_u32_e32 v1, s6, v0
	v_add_u32_e32 v0, 0x100, v0
	v_mov_b32_e32 v2, s1
	global_store_byte v1, v2, s[2:3]
	s_or_b64 exec, exec, s[4:5]
	v_cmp_gt_i32_e32 vcc, s0, v0
	s_and_saveexec_b64 s[4:5], vcc
	s_cbranch_execz .LBB139_14
.LBB139_31:
	v_add_u32_e32 v1, s6, v0
	v_add_u32_e32 v0, 0x100, v0
	v_mov_b32_e32 v2, s1
	global_store_byte v1, v2, s[2:3]
	s_or_b64 exec, exec, s[4:5]
	v_cmp_gt_i32_e32 vcc, s0, v0
	s_and_saveexec_b64 s[4:5], vcc
	s_cbranch_execz .LBB139_15
.LBB139_32:
	v_add_u32_e32 v1, s6, v0
	v_add_u32_e32 v0, 0x100, v0
	v_mov_b32_e32 v2, s1
	global_store_byte v1, v2, s[2:3]
	s_or_b64 exec, exec, s[4:5]
	v_cmp_gt_i32_e32 vcc, s0, v0
	s_and_saveexec_b64 s[4:5], vcc
	s_cbranch_execz .LBB139_16
.LBB139_33:
	v_add_u32_e32 v1, s6, v0
	v_add_u32_e32 v0, 0x100, v0
	v_mov_b32_e32 v2, s1
	global_store_byte v1, v2, s[2:3]
	s_or_b64 exec, exec, s[4:5]
	v_cmp_gt_i32_e32 vcc, s0, v0
	s_and_saveexec_b64 s[4:5], vcc
	s_cbranch_execz .LBB139_17
.LBB139_34:
	v_add_u32_e32 v1, s6, v0
	v_add_u32_e32 v0, 0x100, v0
	v_mov_b32_e32 v2, s1
	global_store_byte v1, v2, s[2:3]
	s_or_b64 exec, exec, s[4:5]
	v_cmp_gt_i32_e32 vcc, s0, v0
	s_and_saveexec_b64 s[4:5], vcc
	s_cbranch_execz .LBB139_18
.LBB139_35:
	v_add_u32_e32 v1, s6, v0
	v_add_u32_e32 v0, 0x100, v0
	v_mov_b32_e32 v2, s1
	global_store_byte v1, v2, s[2:3]
	s_or_b64 exec, exec, s[4:5]
	v_cmp_gt_i32_e32 vcc, s0, v0
	s_and_saveexec_b64 s[4:5], vcc
	s_cbranch_execnz .LBB139_19
	s_branch .LBB139_20
	.section	.rodata,"a",@progbits
	.p2align	6, 0x0
	.amdhsa_kernel _ZN2at6native29vectorized_elementwise_kernelILi2ENS0_11FillFunctorIN3c1015Float8_e4m3fnuzEEESt5arrayIPcLm1EEEEviT0_T1_
		.amdhsa_group_segment_fixed_size 0
		.amdhsa_private_segment_fixed_size 0
		.amdhsa_kernarg_size 16
		.amdhsa_user_sgpr_count 6
		.amdhsa_user_sgpr_private_segment_buffer 1
		.amdhsa_user_sgpr_dispatch_ptr 0
		.amdhsa_user_sgpr_queue_ptr 0
		.amdhsa_user_sgpr_kernarg_segment_ptr 1
		.amdhsa_user_sgpr_dispatch_id 0
		.amdhsa_user_sgpr_flat_scratch_init 0
		.amdhsa_user_sgpr_kernarg_preload_length 0
		.amdhsa_user_sgpr_kernarg_preload_offset 0
		.amdhsa_user_sgpr_private_segment_size 0
		.amdhsa_uses_dynamic_stack 0
		.amdhsa_system_sgpr_private_segment_wavefront_offset 0
		.amdhsa_system_sgpr_workgroup_id_x 1
		.amdhsa_system_sgpr_workgroup_id_y 0
		.amdhsa_system_sgpr_workgroup_id_z 0
		.amdhsa_system_sgpr_workgroup_info 0
		.amdhsa_system_vgpr_workitem_id 0
		.amdhsa_next_free_vgpr 3
		.amdhsa_next_free_sgpr 7
		.amdhsa_accum_offset 4
		.amdhsa_reserve_vcc 1
		.amdhsa_reserve_flat_scratch 0
		.amdhsa_float_round_mode_32 0
		.amdhsa_float_round_mode_16_64 0
		.amdhsa_float_denorm_mode_32 3
		.amdhsa_float_denorm_mode_16_64 3
		.amdhsa_dx10_clamp 1
		.amdhsa_ieee_mode 1
		.amdhsa_fp16_overflow 0
		.amdhsa_tg_split 0
		.amdhsa_exception_fp_ieee_invalid_op 0
		.amdhsa_exception_fp_denorm_src 0
		.amdhsa_exception_fp_ieee_div_zero 0
		.amdhsa_exception_fp_ieee_overflow 0
		.amdhsa_exception_fp_ieee_underflow 0
		.amdhsa_exception_fp_ieee_inexact 0
		.amdhsa_exception_int_div_zero 0
	.end_amdhsa_kernel
	.section	.text._ZN2at6native29vectorized_elementwise_kernelILi2ENS0_11FillFunctorIN3c1015Float8_e4m3fnuzEEESt5arrayIPcLm1EEEEviT0_T1_,"axG",@progbits,_ZN2at6native29vectorized_elementwise_kernelILi2ENS0_11FillFunctorIN3c1015Float8_e4m3fnuzEEESt5arrayIPcLm1EEEEviT0_T1_,comdat
.Lfunc_end139:
	.size	_ZN2at6native29vectorized_elementwise_kernelILi2ENS0_11FillFunctorIN3c1015Float8_e4m3fnuzEEESt5arrayIPcLm1EEEEviT0_T1_, .Lfunc_end139-_ZN2at6native29vectorized_elementwise_kernelILi2ENS0_11FillFunctorIN3c1015Float8_e4m3fnuzEEESt5arrayIPcLm1EEEEviT0_T1_
                                        ; -- End function
	.section	.AMDGPU.csdata,"",@progbits
; Kernel info:
; codeLenInByte = 1020
; NumSgprs: 11
; NumVgprs: 3
; NumAgprs: 0
; TotalNumVgprs: 3
; ScratchSize: 0
; MemoryBound: 0
; FloatMode: 240
; IeeeMode: 1
; LDSByteSize: 0 bytes/workgroup (compile time only)
; SGPRBlocks: 1
; VGPRBlocks: 0
; NumSGPRsForWavesPerEU: 11
; NumVGPRsForWavesPerEU: 3
; AccumOffset: 4
; Occupancy: 8
; WaveLimiterHint : 1
; COMPUTE_PGM_RSRC2:SCRATCH_EN: 0
; COMPUTE_PGM_RSRC2:USER_SGPR: 6
; COMPUTE_PGM_RSRC2:TRAP_HANDLER: 0
; COMPUTE_PGM_RSRC2:TGID_X_EN: 1
; COMPUTE_PGM_RSRC2:TGID_Y_EN: 0
; COMPUTE_PGM_RSRC2:TGID_Z_EN: 0
; COMPUTE_PGM_RSRC2:TIDIG_COMP_CNT: 0
; COMPUTE_PGM_RSRC3_GFX90A:ACCUM_OFFSET: 0
; COMPUTE_PGM_RSRC3_GFX90A:TG_SPLIT: 0
	.section	.text._ZN2at6native27unrolled_elementwise_kernelINS0_11FillFunctorIN3c1015Float8_e4m3fnuzEEESt5arrayIPcLm1EELi4E23TrivialOffsetCalculatorILi0EjES9_ILi1EjENS0_6memory15LoadWithoutCastENSC_16StoreWithoutCastEEEviT_T0_T2_T3_T4_T5_,"axG",@progbits,_ZN2at6native27unrolled_elementwise_kernelINS0_11FillFunctorIN3c1015Float8_e4m3fnuzEEESt5arrayIPcLm1EELi4E23TrivialOffsetCalculatorILi0EjES9_ILi1EjENS0_6memory15LoadWithoutCastENSC_16StoreWithoutCastEEEviT_T0_T2_T3_T4_T5_,comdat
	.protected	_ZN2at6native27unrolled_elementwise_kernelINS0_11FillFunctorIN3c1015Float8_e4m3fnuzEEESt5arrayIPcLm1EELi4E23TrivialOffsetCalculatorILi0EjES9_ILi1EjENS0_6memory15LoadWithoutCastENSC_16StoreWithoutCastEEEviT_T0_T2_T3_T4_T5_ ; -- Begin function _ZN2at6native27unrolled_elementwise_kernelINS0_11FillFunctorIN3c1015Float8_e4m3fnuzEEESt5arrayIPcLm1EELi4E23TrivialOffsetCalculatorILi0EjES9_ILi1EjENS0_6memory15LoadWithoutCastENSC_16StoreWithoutCastEEEviT_T0_T2_T3_T4_T5_
	.globl	_ZN2at6native27unrolled_elementwise_kernelINS0_11FillFunctorIN3c1015Float8_e4m3fnuzEEESt5arrayIPcLm1EELi4E23TrivialOffsetCalculatorILi0EjES9_ILi1EjENS0_6memory15LoadWithoutCastENSC_16StoreWithoutCastEEEviT_T0_T2_T3_T4_T5_
	.p2align	8
	.type	_ZN2at6native27unrolled_elementwise_kernelINS0_11FillFunctorIN3c1015Float8_e4m3fnuzEEESt5arrayIPcLm1EELi4E23TrivialOffsetCalculatorILi0EjES9_ILi1EjENS0_6memory15LoadWithoutCastENSC_16StoreWithoutCastEEEviT_T0_T2_T3_T4_T5_,@function
_ZN2at6native27unrolled_elementwise_kernelINS0_11FillFunctorIN3c1015Float8_e4m3fnuzEEESt5arrayIPcLm1EELi4E23TrivialOffsetCalculatorILi0EjES9_ILi1EjENS0_6memory15LoadWithoutCastENSC_16StoreWithoutCastEEEviT_T0_T2_T3_T4_T5_: ; @_ZN2at6native27unrolled_elementwise_kernelINS0_11FillFunctorIN3c1015Float8_e4m3fnuzEEESt5arrayIPcLm1EELi4E23TrivialOffsetCalculatorILi0EjES9_ILi1EjENS0_6memory15LoadWithoutCastENSC_16StoreWithoutCastEEEviT_T0_T2_T3_T4_T5_
; %bb.0:
	s_load_dwordx4 s[0:3], s[4:5], 0x0
	s_lshl_b32 s6, s6, 10
	s_waitcnt lgkmcnt(0)
	s_sub_i32 s0, s0, s6
	v_cmp_gt_i32_e32 vcc, s0, v0
	s_and_saveexec_b64 s[4:5], vcc
	s_cbranch_execnz .LBB140_5
; %bb.1:
	s_or_b64 exec, exec, s[4:5]
	v_cmp_gt_i32_e32 vcc, s0, v0
	s_and_saveexec_b64 s[4:5], vcc
	s_cbranch_execnz .LBB140_6
.LBB140_2:
	s_or_b64 exec, exec, s[4:5]
	v_cmp_gt_i32_e32 vcc, s0, v0
	s_and_saveexec_b64 s[4:5], vcc
	s_cbranch_execnz .LBB140_7
.LBB140_3:
	s_or_b64 exec, exec, s[4:5]
	v_cmp_gt_i32_e32 vcc, s0, v0
	s_and_saveexec_b64 s[4:5], vcc
	s_cbranch_execnz .LBB140_8
.LBB140_4:
	s_endpgm
.LBB140_5:
	v_or_b32_e32 v1, s6, v0
	v_or_b32_e32 v0, 0x100, v0
	v_mov_b32_e32 v2, s1
	global_store_byte v1, v2, s[2:3]
	s_or_b64 exec, exec, s[4:5]
	v_cmp_gt_i32_e32 vcc, s0, v0
	s_and_saveexec_b64 s[4:5], vcc
	s_cbranch_execz .LBB140_2
.LBB140_6:
	v_add_u32_e32 v1, 0x100, v0
	v_add_u32_e32 v0, s6, v0
	v_mov_b32_e32 v2, s1
	global_store_byte v0, v2, s[2:3]
	v_mov_b32_e32 v0, v1
	s_or_b64 exec, exec, s[4:5]
	v_cmp_gt_i32_e32 vcc, s0, v0
	s_and_saveexec_b64 s[4:5], vcc
	s_cbranch_execz .LBB140_3
.LBB140_7:
	v_add_u32_e32 v1, 0x100, v0
	v_add_u32_e32 v0, s6, v0
	v_mov_b32_e32 v2, s1
	global_store_byte v0, v2, s[2:3]
	v_mov_b32_e32 v0, v1
	s_or_b64 exec, exec, s[4:5]
	v_cmp_gt_i32_e32 vcc, s0, v0
	s_and_saveexec_b64 s[4:5], vcc
	s_cbranch_execz .LBB140_4
.LBB140_8:
	v_add_u32_e32 v0, s6, v0
	v_mov_b32_e32 v1, s1
	global_store_byte v0, v1, s[2:3]
	s_endpgm
	.section	.rodata,"a",@progbits
	.p2align	6, 0x0
	.amdhsa_kernel _ZN2at6native27unrolled_elementwise_kernelINS0_11FillFunctorIN3c1015Float8_e4m3fnuzEEESt5arrayIPcLm1EELi4E23TrivialOffsetCalculatorILi0EjES9_ILi1EjENS0_6memory15LoadWithoutCastENSC_16StoreWithoutCastEEEviT_T0_T2_T3_T4_T5_
		.amdhsa_group_segment_fixed_size 0
		.amdhsa_private_segment_fixed_size 0
		.amdhsa_kernarg_size 20
		.amdhsa_user_sgpr_count 6
		.amdhsa_user_sgpr_private_segment_buffer 1
		.amdhsa_user_sgpr_dispatch_ptr 0
		.amdhsa_user_sgpr_queue_ptr 0
		.amdhsa_user_sgpr_kernarg_segment_ptr 1
		.amdhsa_user_sgpr_dispatch_id 0
		.amdhsa_user_sgpr_flat_scratch_init 0
		.amdhsa_user_sgpr_kernarg_preload_length 0
		.amdhsa_user_sgpr_kernarg_preload_offset 0
		.amdhsa_user_sgpr_private_segment_size 0
		.amdhsa_uses_dynamic_stack 0
		.amdhsa_system_sgpr_private_segment_wavefront_offset 0
		.amdhsa_system_sgpr_workgroup_id_x 1
		.amdhsa_system_sgpr_workgroup_id_y 0
		.amdhsa_system_sgpr_workgroup_id_z 0
		.amdhsa_system_sgpr_workgroup_info 0
		.amdhsa_system_vgpr_workitem_id 0
		.amdhsa_next_free_vgpr 3
		.amdhsa_next_free_sgpr 7
		.amdhsa_accum_offset 4
		.amdhsa_reserve_vcc 1
		.amdhsa_reserve_flat_scratch 0
		.amdhsa_float_round_mode_32 0
		.amdhsa_float_round_mode_16_64 0
		.amdhsa_float_denorm_mode_32 3
		.amdhsa_float_denorm_mode_16_64 3
		.amdhsa_dx10_clamp 1
		.amdhsa_ieee_mode 1
		.amdhsa_fp16_overflow 0
		.amdhsa_tg_split 0
		.amdhsa_exception_fp_ieee_invalid_op 0
		.amdhsa_exception_fp_denorm_src 0
		.amdhsa_exception_fp_ieee_div_zero 0
		.amdhsa_exception_fp_ieee_overflow 0
		.amdhsa_exception_fp_ieee_underflow 0
		.amdhsa_exception_fp_ieee_inexact 0
		.amdhsa_exception_int_div_zero 0
	.end_amdhsa_kernel
	.section	.text._ZN2at6native27unrolled_elementwise_kernelINS0_11FillFunctorIN3c1015Float8_e4m3fnuzEEESt5arrayIPcLm1EELi4E23TrivialOffsetCalculatorILi0EjES9_ILi1EjENS0_6memory15LoadWithoutCastENSC_16StoreWithoutCastEEEviT_T0_T2_T3_T4_T5_,"axG",@progbits,_ZN2at6native27unrolled_elementwise_kernelINS0_11FillFunctorIN3c1015Float8_e4m3fnuzEEESt5arrayIPcLm1EELi4E23TrivialOffsetCalculatorILi0EjES9_ILi1EjENS0_6memory15LoadWithoutCastENSC_16StoreWithoutCastEEEviT_T0_T2_T3_T4_T5_,comdat
.Lfunc_end140:
	.size	_ZN2at6native27unrolled_elementwise_kernelINS0_11FillFunctorIN3c1015Float8_e4m3fnuzEEESt5arrayIPcLm1EELi4E23TrivialOffsetCalculatorILi0EjES9_ILi1EjENS0_6memory15LoadWithoutCastENSC_16StoreWithoutCastEEEviT_T0_T2_T3_T4_T5_, .Lfunc_end140-_ZN2at6native27unrolled_elementwise_kernelINS0_11FillFunctorIN3c1015Float8_e4m3fnuzEEESt5arrayIPcLm1EELi4E23TrivialOffsetCalculatorILi0EjES9_ILi1EjENS0_6memory15LoadWithoutCastENSC_16StoreWithoutCastEEEviT_T0_T2_T3_T4_T5_
                                        ; -- End function
	.section	.AMDGPU.csdata,"",@progbits
; Kernel info:
; codeLenInByte = 232
; NumSgprs: 11
; NumVgprs: 3
; NumAgprs: 0
; TotalNumVgprs: 3
; ScratchSize: 0
; MemoryBound: 0
; FloatMode: 240
; IeeeMode: 1
; LDSByteSize: 0 bytes/workgroup (compile time only)
; SGPRBlocks: 1
; VGPRBlocks: 0
; NumSGPRsForWavesPerEU: 11
; NumVGPRsForWavesPerEU: 3
; AccumOffset: 4
; Occupancy: 8
; WaveLimiterHint : 0
; COMPUTE_PGM_RSRC2:SCRATCH_EN: 0
; COMPUTE_PGM_RSRC2:USER_SGPR: 6
; COMPUTE_PGM_RSRC2:TRAP_HANDLER: 0
; COMPUTE_PGM_RSRC2:TGID_X_EN: 1
; COMPUTE_PGM_RSRC2:TGID_Y_EN: 0
; COMPUTE_PGM_RSRC2:TGID_Z_EN: 0
; COMPUTE_PGM_RSRC2:TIDIG_COMP_CNT: 0
; COMPUTE_PGM_RSRC3_GFX90A:ACCUM_OFFSET: 0
; COMPUTE_PGM_RSRC3_GFX90A:TG_SPLIT: 0
	.section	.text._ZN2at6native32elementwise_kernel_manual_unrollILi128ELi8EZNS0_22gpu_kernel_impl_nocastINS0_11FillFunctorIN3c1015Float8_e4m3fnuzEEEEEvRNS_18TensorIteratorBaseERKT_EUlibE_EEviT1_,"axG",@progbits,_ZN2at6native32elementwise_kernel_manual_unrollILi128ELi8EZNS0_22gpu_kernel_impl_nocastINS0_11FillFunctorIN3c1015Float8_e4m3fnuzEEEEEvRNS_18TensorIteratorBaseERKT_EUlibE_EEviT1_,comdat
	.protected	_ZN2at6native32elementwise_kernel_manual_unrollILi128ELi8EZNS0_22gpu_kernel_impl_nocastINS0_11FillFunctorIN3c1015Float8_e4m3fnuzEEEEEvRNS_18TensorIteratorBaseERKT_EUlibE_EEviT1_ ; -- Begin function _ZN2at6native32elementwise_kernel_manual_unrollILi128ELi8EZNS0_22gpu_kernel_impl_nocastINS0_11FillFunctorIN3c1015Float8_e4m3fnuzEEEEEvRNS_18TensorIteratorBaseERKT_EUlibE_EEviT1_
	.globl	_ZN2at6native32elementwise_kernel_manual_unrollILi128ELi8EZNS0_22gpu_kernel_impl_nocastINS0_11FillFunctorIN3c1015Float8_e4m3fnuzEEEEEvRNS_18TensorIteratorBaseERKT_EUlibE_EEviT1_
	.p2align	8
	.type	_ZN2at6native32elementwise_kernel_manual_unrollILi128ELi8EZNS0_22gpu_kernel_impl_nocastINS0_11FillFunctorIN3c1015Float8_e4m3fnuzEEEEEvRNS_18TensorIteratorBaseERKT_EUlibE_EEviT1_,@function
_ZN2at6native32elementwise_kernel_manual_unrollILi128ELi8EZNS0_22gpu_kernel_impl_nocastINS0_11FillFunctorIN3c1015Float8_e4m3fnuzEEEEEvRNS_18TensorIteratorBaseERKT_EUlibE_EEviT1_: ; @_ZN2at6native32elementwise_kernel_manual_unrollILi128ELi8EZNS0_22gpu_kernel_impl_nocastINS0_11FillFunctorIN3c1015Float8_e4m3fnuzEEEEEvRNS_18TensorIteratorBaseERKT_EUlibE_EEviT1_
; %bb.0:
	s_load_dword s48, s[4:5], 0x0
	s_load_dword s33, s[4:5], 0x8
	s_or_b32 s4, s4, 8
	v_lshl_or_b32 v12, s6, 10, v0
	v_or_b32_e32 v16, 0x380, v12
	s_waitcnt lgkmcnt(0)
	v_cmp_le_i32_e32 vcc, s48, v16
	s_add_i32 s46, s33, -1
	s_cmp_gt_u32 s46, 1
	s_cselect_b64 s[6:7], -1, 0
	s_and_saveexec_b64 s[0:1], vcc
	s_xor_b64 s[24:25], exec, s[0:1]
	s_cbranch_execz .LBB141_7
; %bb.1:
	s_load_dwordx4 s[0:3], s[4:5], 0x4
	s_load_dwordx2 s[30:31], s[4:5], 0x14
	s_load_dwordx2 s[28:29], s[4:5], 0xc4
	;; [unrolled: 1-line block ×3, first 2 shown]
	s_load_dword s47, s[4:5], 0x110
	s_cmp_lg_u32 s33, 0
	s_cselect_b64 s[38:39], -1, 0
	s_add_u32 s36, s4, 0xc4
	s_addc_u32 s37, s5, 0
	s_min_u32 s49, s46, 15
	s_cmp_gt_u32 s33, 1
	s_cselect_b64 s[34:35], -1, 0
	v_cmp_gt_i32_e32 vcc, s48, v12
	s_and_saveexec_b64 s[40:41], vcc
	s_cbranch_execz .LBB141_14
; %bb.2:
	s_andn2_b64 vcc, exec, s[6:7]
	s_cbranch_vccnz .LBB141_21
; %bb.3:
	s_andn2_b64 vcc, exec, s[38:39]
	s_cbranch_vccnz .LBB141_121
; %bb.4:
	s_add_i32 s51, s49, 1
	s_mov_b32 s50, 0
	s_cmp_eq_u32 s46, 2
	v_mov_b32_e32 v0, 0
	s_cbranch_scc1 .LBB141_123
; %bb.5:
	s_and_b32 s50, s51, 28
	s_mov_b32 s52, 0
	v_mov_b32_e32 v0, 0
	s_mov_b64 s[42:43], s[4:5]
	s_mov_b64 s[44:45], s[36:37]
	v_mov_b32_e32 v2, v12
.LBB141_6:                              ; =>This Inner Loop Header: Depth=1
	s_load_dwordx8 s[8:15], s[42:43], 0x4
	s_load_dwordx4 s[16:19], s[42:43], 0x24
	s_load_dwordx4 s[20:23], s[44:45], 0x0
	s_add_u32 s42, s42, 48
	s_addc_u32 s43, s43, 0
	s_waitcnt lgkmcnt(0)
	v_mul_hi_u32 v1, s9, v2
	v_add_u32_e32 v1, v2, v1
	v_lshrrev_b32_e32 v1, s10, v1
	v_mul_lo_u32 v3, v1, s8
	v_mul_hi_u32 v4, s12, v1
	v_sub_u32_e32 v2, v2, v3
	v_add_u32_e32 v3, v1, v4
	v_lshrrev_b32_e32 v3, s13, v3
	v_mul_lo_u32 v4, v3, s11
	v_mul_hi_u32 v5, s15, v3
	v_sub_u32_e32 v1, v1, v4
	v_add_u32_e32 v4, v3, v5
	v_mul_lo_u32 v2, v2, s20
	v_mul_lo_u32 v1, v1, s21
	v_lshrrev_b32_e32 v4, s16, v4
	v_add3_u32 v0, v2, v0, v1
	v_mul_hi_u32 v2, s18, v4
	v_add_u32_e32 v2, v4, v2
	v_mul_lo_u32 v1, v4, s14
	v_lshrrev_b32_e32 v2, s19, v2
	s_add_i32 s52, s52, 4
	v_sub_u32_e32 v1, v3, v1
	v_mul_lo_u32 v3, v2, s17
	s_add_u32 s44, s44, 16
	v_sub_u32_e32 v3, v4, v3
	s_addc_u32 s45, s45, 0
	v_mul_lo_u32 v1, v1, s22
	v_mul_lo_u32 v3, v3, s23
	s_cmp_lg_u32 s50, s52
	v_add3_u32 v0, v1, v0, v3
	s_cbranch_scc1 .LBB141_6
	s_branch .LBB141_124
.LBB141_7:
	s_andn2_saveexec_b64 s[0:1], s[24:25]
	s_cbranch_execz .LBB141_213
.LBB141_8:
	v_cndmask_b32_e64 v0, 0, 1, s[6:7]
	v_cmp_ne_u32_e64 s[0:1], 1, v0
	s_andn2_b64 vcc, exec, s[6:7]
	s_cbranch_vccnz .LBB141_20
; %bb.9:
	s_mov_b32 s24, 0
	s_cmp_eq_u32 s33, 0
	v_mov_b32_e32 v0, 0
	s_cbranch_scc1 .LBB141_26
; %bb.10:
	s_min_u32 s25, s46, 15
	s_add_i32 s25, s25, 1
	s_cmp_eq_u32 s46, 2
	v_mov_b32_e32 v0, 0
	s_cbranch_scc1 .LBB141_23
; %bb.11:
	s_add_u32 s2, s4, 0xc4
	s_addc_u32 s3, s5, 0
	s_and_b32 s24, s25, 28
	s_mov_b32 s26, 0
	v_mov_b32_e32 v0, 0
	s_mov_b64 s[6:7], s[4:5]
	v_mov_b32_e32 v2, v12
.LBB141_12:                             ; =>This Inner Loop Header: Depth=1
	s_load_dwordx8 s[8:15], s[6:7], 0x4
	s_load_dwordx4 s[16:19], s[6:7], 0x24
	s_load_dwordx4 s[20:23], s[2:3], 0x0
	s_add_u32 s6, s6, 48
	s_addc_u32 s7, s7, 0
	s_waitcnt lgkmcnt(0)
	v_mul_hi_u32 v1, s9, v2
	v_add_u32_e32 v1, v2, v1
	v_lshrrev_b32_e32 v1, s10, v1
	v_mul_lo_u32 v3, v1, s8
	v_mul_hi_u32 v4, s12, v1
	v_sub_u32_e32 v2, v2, v3
	v_add_u32_e32 v3, v1, v4
	v_lshrrev_b32_e32 v3, s13, v3
	v_mul_lo_u32 v4, v3, s11
	v_mul_hi_u32 v5, s15, v3
	v_sub_u32_e32 v1, v1, v4
	v_add_u32_e32 v4, v3, v5
	v_mul_lo_u32 v2, v2, s20
	v_mul_lo_u32 v1, v1, s21
	v_lshrrev_b32_e32 v4, s16, v4
	v_add3_u32 v0, v2, v0, v1
	v_mul_hi_u32 v2, s18, v4
	v_add_u32_e32 v2, v4, v2
	v_mul_lo_u32 v1, v4, s14
	v_lshrrev_b32_e32 v2, s19, v2
	s_add_i32 s26, s26, 4
	v_sub_u32_e32 v1, v3, v1
	v_mul_lo_u32 v3, v2, s17
	s_add_u32 s2, s2, 16
	v_sub_u32_e32 v3, v4, v3
	s_addc_u32 s3, s3, 0
	v_mul_lo_u32 v1, v1, s22
	v_mul_lo_u32 v3, v3, s23
	s_cmp_lg_u32 s24, s26
	v_add3_u32 v0, v1, v0, v3
	s_cbranch_scc1 .LBB141_12
; %bb.13:
	s_and_b32 s8, s25, 3
	s_cmp_eq_u32 s8, 0
	s_cbranch_scc0 .LBB141_24
	s_branch .LBB141_26
.LBB141_14:
	s_or_b64 exec, exec, s[40:41]
	v_cmp_gt_i32_e32 vcc, s48, v12
	s_and_saveexec_b64 s[40:41], vcc
	s_cbranch_execz .LBB141_131
.LBB141_15:
	s_andn2_b64 vcc, exec, s[6:7]
	s_cbranch_vccnz .LBB141_22
; %bb.16:
	s_andn2_b64 vcc, exec, s[38:39]
	s_cbranch_vccnz .LBB141_122
; %bb.17:
	s_add_i32 s51, s49, 1
	s_mov_b32 s50, 0
	s_cmp_eq_u32 s46, 2
	v_mov_b32_e32 v0, 0
	s_cbranch_scc1 .LBB141_139
; %bb.18:
	s_and_b32 s50, s51, 28
	s_mov_b32 s52, 0
	v_mov_b32_e32 v0, 0
	s_mov_b64 s[42:43], s[4:5]
	s_mov_b64 s[44:45], s[36:37]
	v_mov_b32_e32 v2, v12
.LBB141_19:                             ; =>This Inner Loop Header: Depth=1
	s_load_dwordx8 s[8:15], s[42:43], 0x4
	s_load_dwordx4 s[16:19], s[42:43], 0x24
	s_load_dwordx4 s[20:23], s[44:45], 0x0
	s_add_u32 s42, s42, 48
	s_addc_u32 s43, s43, 0
	s_waitcnt lgkmcnt(0)
	v_mul_hi_u32 v1, s9, v2
	v_add_u32_e32 v1, v2, v1
	v_lshrrev_b32_e32 v1, s10, v1
	v_mul_lo_u32 v3, v1, s8
	v_mul_hi_u32 v4, s12, v1
	v_sub_u32_e32 v2, v2, v3
	v_add_u32_e32 v3, v1, v4
	v_lshrrev_b32_e32 v3, s13, v3
	v_mul_lo_u32 v4, v3, s11
	v_mul_hi_u32 v5, s15, v3
	v_sub_u32_e32 v1, v1, v4
	v_add_u32_e32 v4, v3, v5
	v_mul_lo_u32 v2, v2, s20
	v_mul_lo_u32 v1, v1, s21
	v_lshrrev_b32_e32 v4, s16, v4
	v_add3_u32 v0, v2, v0, v1
	v_mul_hi_u32 v2, s18, v4
	v_add_u32_e32 v2, v4, v2
	v_mul_lo_u32 v1, v4, s14
	v_lshrrev_b32_e32 v2, s19, v2
	s_add_i32 s52, s52, 4
	v_sub_u32_e32 v1, v3, v1
	v_mul_lo_u32 v3, v2, s17
	s_add_u32 s44, s44, 16
	v_sub_u32_e32 v3, v4, v3
	s_addc_u32 s45, s45, 0
	v_mul_lo_u32 v1, v1, s22
	v_mul_lo_u32 v3, v3, s23
	s_cmp_eq_u32 s50, s52
	v_add3_u32 v0, v1, v0, v3
	s_cbranch_scc0 .LBB141_19
	s_branch .LBB141_140
.LBB141_20:
                                        ; implicit-def: $vgpr0
	s_branch .LBB141_27
.LBB141_21:
                                        ; implicit-def: $vgpr0
	s_branch .LBB141_128
.LBB141_22:
                                        ; implicit-def: $vgpr0
	s_branch .LBB141_144
.LBB141_23:
	v_mov_b32_e32 v2, v12
	s_and_b32 s8, s25, 3
	s_cmp_eq_u32 s8, 0
	s_cbranch_scc1 .LBB141_26
.LBB141_24:
	s_lshl_b32 s2, s24, 2
	s_add_u32 s2, s2, s4
	s_addc_u32 s3, 0, s5
	s_add_u32 s2, s2, 0xc4
	s_addc_u32 s3, s3, 0
	s_mul_i32 s6, s24, 12
	s_add_u32 s6, s4, s6
	s_addc_u32 s7, 0, s5
.LBB141_25:                             ; =>This Inner Loop Header: Depth=1
	s_load_dwordx2 s[10:11], s[6:7], 0x4
	s_load_dword s9, s[6:7], 0xc
	s_load_dword s12, s[2:3], 0x0
	s_add_u32 s6, s6, 12
	s_addc_u32 s7, s7, 0
	s_waitcnt lgkmcnt(0)
	v_mul_hi_u32 v1, s11, v2
	v_add_u32_e32 v1, v2, v1
	v_lshrrev_b32_e32 v1, s9, v1
	s_add_u32 s2, s2, 4
	v_mul_lo_u32 v3, v1, s10
	s_addc_u32 s3, s3, 0
	s_add_i32 s8, s8, -1
	v_sub_u32_e32 v3, v2, v3
	s_cmp_lg_u32 s8, 0
	v_mov_b32_e32 v2, v1
	v_mad_u64_u32 v[0:1], s[10:11], v3, s12, v[0:1]
	s_cbranch_scc1 .LBB141_25
.LBB141_26:
	s_cbranch_execnz .LBB141_29
.LBB141_27:
	s_load_dwordx4 s[8:11], s[4:5], 0x4
	s_load_dword s2, s[4:5], 0xc4
	s_cmp_lt_u32 s33, 2
	s_waitcnt lgkmcnt(0)
	v_mul_hi_u32 v0, s9, v12
	v_add_u32_e32 v0, v12, v0
	v_lshrrev_b32_e32 v1, s10, v0
	v_mul_lo_u32 v0, v1, s8
	v_sub_u32_e32 v0, v12, v0
	v_mul_lo_u32 v0, v0, s2
	s_cbranch_scc1 .LBB141_29
; %bb.28:
	s_load_dwordx4 s[8:11], s[4:5], 0x10
	s_load_dword s2, s[4:5], 0xc8
	s_waitcnt lgkmcnt(0)
	v_mul_hi_u32 v2, s9, v1
	v_add_u32_e32 v2, v1, v2
	v_lshrrev_b32_e32 v2, s10, v2
	v_mul_lo_u32 v2, v2, s8
	v_sub_u32_e32 v1, v1, v2
	v_mad_u64_u32 v[0:1], s[2:3], v1, s2, v[0:1]
.LBB141_29:
	s_and_b64 vcc, exec, s[0:1]
	v_add_u32_e32 v1, 0x80, v12
	s_cbranch_vccnz .LBB141_35
; %bb.30:
	s_mov_b32 s24, 0
	s_cmp_eq_u32 s33, 0
	v_mov_b32_e32 v2, 0
	s_cbranch_scc1 .LBB141_39
; %bb.31:
	s_min_u32 s25, s46, 15
	s_add_i32 s25, s25, 1
	s_cmp_eq_u32 s46, 2
	v_mov_b32_e32 v2, 0
	s_cbranch_scc1 .LBB141_36
; %bb.32:
	s_add_u32 s2, s4, 0xc4
	s_addc_u32 s3, s5, 0
	s_and_b32 s24, s25, 28
	s_mov_b32 s26, 0
	v_mov_b32_e32 v2, 0
	s_mov_b64 s[6:7], s[4:5]
	v_mov_b32_e32 v4, v1
.LBB141_33:                             ; =>This Inner Loop Header: Depth=1
	s_load_dwordx8 s[8:15], s[6:7], 0x4
	s_load_dwordx4 s[16:19], s[6:7], 0x24
	s_load_dwordx4 s[20:23], s[2:3], 0x0
	s_add_u32 s6, s6, 48
	s_addc_u32 s7, s7, 0
	s_waitcnt lgkmcnt(0)
	v_mul_hi_u32 v3, s9, v4
	v_add_u32_e32 v3, v4, v3
	v_lshrrev_b32_e32 v3, s10, v3
	v_mul_lo_u32 v5, v3, s8
	v_mul_hi_u32 v6, s12, v3
	v_sub_u32_e32 v4, v4, v5
	v_add_u32_e32 v5, v3, v6
	v_lshrrev_b32_e32 v5, s13, v5
	v_mul_lo_u32 v6, v5, s11
	v_mul_hi_u32 v7, s15, v5
	v_sub_u32_e32 v3, v3, v6
	v_add_u32_e32 v6, v5, v7
	v_mul_lo_u32 v4, v4, s20
	v_mul_lo_u32 v3, v3, s21
	v_lshrrev_b32_e32 v6, s16, v6
	v_add3_u32 v2, v4, v2, v3
	v_mul_hi_u32 v4, s18, v6
	v_add_u32_e32 v4, v6, v4
	v_mul_lo_u32 v3, v6, s14
	v_lshrrev_b32_e32 v4, s19, v4
	s_add_i32 s26, s26, 4
	v_sub_u32_e32 v3, v5, v3
	v_mul_lo_u32 v5, v4, s17
	s_add_u32 s2, s2, 16
	v_sub_u32_e32 v5, v6, v5
	s_addc_u32 s3, s3, 0
	v_mul_lo_u32 v3, v3, s22
	v_mul_lo_u32 v5, v5, s23
	s_cmp_lg_u32 s24, s26
	v_add3_u32 v2, v3, v2, v5
	s_cbranch_scc1 .LBB141_33
; %bb.34:
	s_and_b32 s8, s25, 3
	s_cmp_eq_u32 s8, 0
	s_cbranch_scc0 .LBB141_37
	s_branch .LBB141_39
.LBB141_35:
                                        ; implicit-def: $vgpr2
	s_branch .LBB141_40
.LBB141_36:
	v_mov_b32_e32 v4, v1
	s_and_b32 s8, s25, 3
	s_cmp_eq_u32 s8, 0
	s_cbranch_scc1 .LBB141_39
.LBB141_37:
	s_lshl_b32 s2, s24, 2
	s_add_u32 s2, s2, s4
	s_addc_u32 s3, 0, s5
	s_add_u32 s2, s2, 0xc4
	s_addc_u32 s3, s3, 0
	s_mul_i32 s6, s24, 12
	s_add_u32 s6, s4, s6
	s_addc_u32 s7, 0, s5
.LBB141_38:                             ; =>This Inner Loop Header: Depth=1
	s_load_dwordx2 s[10:11], s[6:7], 0x4
	s_load_dword s9, s[6:7], 0xc
	s_load_dword s12, s[2:3], 0x0
	s_add_u32 s6, s6, 12
	s_addc_u32 s7, s7, 0
	s_waitcnt lgkmcnt(0)
	v_mul_hi_u32 v3, s11, v4
	v_add_u32_e32 v3, v4, v3
	v_lshrrev_b32_e32 v3, s9, v3
	s_add_u32 s2, s2, 4
	v_mul_lo_u32 v5, v3, s10
	s_addc_u32 s3, s3, 0
	s_add_i32 s8, s8, -1
	v_sub_u32_e32 v5, v4, v5
	s_cmp_lg_u32 s8, 0
	v_mov_b32_e32 v4, v3
	v_mad_u64_u32 v[2:3], s[10:11], v5, s12, v[2:3]
	s_cbranch_scc1 .LBB141_38
.LBB141_39:
	s_cbranch_execnz .LBB141_42
.LBB141_40:
	s_load_dwordx4 s[8:11], s[4:5], 0x4
	s_load_dword s2, s[4:5], 0xc4
	s_cmp_lt_u32 s33, 2
	s_waitcnt lgkmcnt(0)
	v_mul_hi_u32 v2, s9, v1
	v_add_u32_e32 v2, v1, v2
	v_lshrrev_b32_e32 v3, s10, v2
	v_mul_lo_u32 v2, v3, s8
	v_sub_u32_e32 v1, v1, v2
	v_mul_lo_u32 v2, v1, s2
	s_cbranch_scc1 .LBB141_42
; %bb.41:
	s_load_dwordx4 s[8:11], s[4:5], 0x10
	s_load_dword s2, s[4:5], 0xc8
	s_waitcnt lgkmcnt(0)
	v_mul_hi_u32 v1, s9, v3
	v_add_u32_e32 v1, v3, v1
	v_lshrrev_b32_e32 v1, s10, v1
	v_mul_lo_u32 v1, v1, s8
	v_sub_u32_e32 v1, v3, v1
	v_mad_u64_u32 v[2:3], s[2:3], v1, s2, v[2:3]
.LBB141_42:
	s_and_b64 vcc, exec, s[0:1]
	v_add_u32_e32 v1, 0x100, v12
	s_cbranch_vccnz .LBB141_48
; %bb.43:
	s_mov_b32 s24, 0
	s_cmp_eq_u32 s33, 0
	v_mov_b32_e32 v4, 0
	s_cbranch_scc1 .LBB141_52
; %bb.44:
	s_min_u32 s25, s46, 15
	s_add_i32 s25, s25, 1
	s_cmp_eq_u32 s46, 2
	v_mov_b32_e32 v4, 0
	s_cbranch_scc1 .LBB141_49
; %bb.45:
	s_add_u32 s2, s4, 0xc4
	s_addc_u32 s3, s5, 0
	s_and_b32 s24, s25, 28
	s_mov_b32 s26, 0
	v_mov_b32_e32 v4, 0
	s_mov_b64 s[6:7], s[4:5]
	v_mov_b32_e32 v3, v1
.LBB141_46:                             ; =>This Inner Loop Header: Depth=1
	s_load_dwordx8 s[8:15], s[6:7], 0x4
	s_load_dwordx4 s[16:19], s[6:7], 0x24
	s_load_dwordx4 s[20:23], s[2:3], 0x0
	s_add_u32 s6, s6, 48
	s_addc_u32 s7, s7, 0
	s_waitcnt lgkmcnt(0)
	v_mul_hi_u32 v5, s9, v3
	v_add_u32_e32 v5, v3, v5
	v_lshrrev_b32_e32 v5, s10, v5
	v_mul_lo_u32 v6, v5, s8
	v_mul_hi_u32 v7, s12, v5
	v_sub_u32_e32 v3, v3, v6
	v_add_u32_e32 v6, v5, v7
	v_lshrrev_b32_e32 v6, s13, v6
	v_mul_lo_u32 v7, v6, s11
	v_mul_hi_u32 v8, s15, v6
	v_sub_u32_e32 v5, v5, v7
	v_add_u32_e32 v7, v6, v8
	v_mul_lo_u32 v3, v3, s20
	v_mul_lo_u32 v5, v5, s21
	v_lshrrev_b32_e32 v7, s16, v7
	v_add3_u32 v4, v3, v4, v5
	v_mul_lo_u32 v3, v7, s14
	v_mul_hi_u32 v5, s18, v7
	v_sub_u32_e32 v3, v6, v3
	v_add_u32_e32 v5, v7, v5
	v_mul_lo_u32 v6, v3, s22
	v_lshrrev_b32_e32 v3, s19, v5
	s_add_i32 s26, s26, 4
	v_mul_lo_u32 v5, v3, s17
	s_add_u32 s2, s2, 16
	v_sub_u32_e32 v5, v7, v5
	s_addc_u32 s3, s3, 0
	v_mul_lo_u32 v5, v5, s23
	s_cmp_lg_u32 s24, s26
	v_add3_u32 v4, v6, v4, v5
	s_cbranch_scc1 .LBB141_46
; %bb.47:
	s_and_b32 s8, s25, 3
	s_cmp_eq_u32 s8, 0
	s_cbranch_scc0 .LBB141_50
	s_branch .LBB141_52
.LBB141_48:
                                        ; implicit-def: $vgpr4
	s_branch .LBB141_53
.LBB141_49:
	v_mov_b32_e32 v3, v1
	s_and_b32 s8, s25, 3
	s_cmp_eq_u32 s8, 0
	s_cbranch_scc1 .LBB141_52
.LBB141_50:
	s_lshl_b32 s2, s24, 2
	s_add_u32 s2, s2, s4
	s_addc_u32 s3, 0, s5
	s_add_u32 s2, s2, 0xc4
	s_addc_u32 s3, s3, 0
	s_mul_i32 s6, s24, 12
	s_add_u32 s6, s4, s6
	s_addc_u32 s7, 0, s5
.LBB141_51:                             ; =>This Inner Loop Header: Depth=1
	s_load_dwordx2 s[10:11], s[6:7], 0x4
	s_load_dword s9, s[6:7], 0xc
	s_load_dword s12, s[2:3], 0x0
	s_add_u32 s6, s6, 12
	s_addc_u32 s7, s7, 0
	s_waitcnt lgkmcnt(0)
	v_mul_hi_u32 v5, s11, v3
	v_add_u32_e32 v5, v3, v5
	v_lshrrev_b32_e32 v5, s9, v5
	s_add_u32 s2, s2, 4
	v_mul_lo_u32 v6, v5, s10
	s_addc_u32 s3, s3, 0
	s_add_i32 s8, s8, -1
	v_sub_u32_e32 v6, v3, v6
	s_cmp_lg_u32 s8, 0
	v_mov_b32_e32 v3, v5
	v_mad_u64_u32 v[4:5], s[10:11], v6, s12, v[4:5]
	s_cbranch_scc1 .LBB141_51
.LBB141_52:
	s_cbranch_execnz .LBB141_55
.LBB141_53:
	s_load_dwordx4 s[8:11], s[4:5], 0x4
	s_load_dword s2, s[4:5], 0xc4
	s_cmp_lt_u32 s33, 2
	s_waitcnt lgkmcnt(0)
	v_mul_hi_u32 v3, s9, v1
	v_add_u32_e32 v3, v1, v3
	v_lshrrev_b32_e32 v3, s10, v3
	v_mul_lo_u32 v4, v3, s8
	v_sub_u32_e32 v1, v1, v4
	v_mul_lo_u32 v4, v1, s2
	s_cbranch_scc1 .LBB141_55
; %bb.54:
	s_load_dwordx4 s[8:11], s[4:5], 0x10
	s_load_dword s2, s[4:5], 0xc8
	s_waitcnt lgkmcnt(0)
	v_mul_hi_u32 v1, s9, v3
	v_add_u32_e32 v1, v3, v1
	v_lshrrev_b32_e32 v1, s10, v1
	v_mul_lo_u32 v1, v1, s8
	v_sub_u32_e32 v1, v3, v1
	v_mad_u64_u32 v[4:5], s[2:3], v1, s2, v[4:5]
.LBB141_55:
	s_and_b64 vcc, exec, s[0:1]
	v_add_u32_e32 v1, 0x180, v12
	s_cbranch_vccnz .LBB141_61
; %bb.56:
	s_mov_b32 s24, 0
	s_cmp_eq_u32 s33, 0
	v_mov_b32_e32 v6, 0
	s_cbranch_scc1 .LBB141_65
; %bb.57:
	s_min_u32 s25, s46, 15
	s_add_i32 s25, s25, 1
	s_cmp_eq_u32 s46, 2
	v_mov_b32_e32 v6, 0
	s_cbranch_scc1 .LBB141_62
; %bb.58:
	s_add_u32 s2, s4, 0xc4
	s_addc_u32 s3, s5, 0
	s_and_b32 s24, s25, 28
	s_mov_b32 s26, 0
	v_mov_b32_e32 v6, 0
	s_mov_b64 s[6:7], s[4:5]
	v_mov_b32_e32 v3, v1
.LBB141_59:                             ; =>This Inner Loop Header: Depth=1
	s_load_dwordx8 s[8:15], s[6:7], 0x4
	s_load_dwordx4 s[16:19], s[6:7], 0x24
	s_load_dwordx4 s[20:23], s[2:3], 0x0
	s_add_u32 s6, s6, 48
	s_addc_u32 s7, s7, 0
	s_waitcnt lgkmcnt(0)
	v_mul_hi_u32 v5, s9, v3
	v_add_u32_e32 v5, v3, v5
	v_lshrrev_b32_e32 v5, s10, v5
	v_mul_lo_u32 v7, v5, s8
	v_mul_hi_u32 v8, s12, v5
	v_sub_u32_e32 v3, v3, v7
	v_add_u32_e32 v7, v5, v8
	v_lshrrev_b32_e32 v7, s13, v7
	v_mul_lo_u32 v8, v7, s11
	v_mul_hi_u32 v9, s15, v7
	v_sub_u32_e32 v5, v5, v8
	v_add_u32_e32 v8, v7, v9
	v_mul_lo_u32 v3, v3, s20
	v_mul_lo_u32 v5, v5, s21
	v_lshrrev_b32_e32 v8, s16, v8
	v_add3_u32 v5, v3, v6, v5
	v_mul_lo_u32 v3, v8, s14
	v_mul_hi_u32 v6, s18, v8
	v_sub_u32_e32 v3, v7, v3
	v_add_u32_e32 v6, v8, v6
	v_mul_lo_u32 v7, v3, s22
	v_lshrrev_b32_e32 v3, s19, v6
	s_add_i32 s26, s26, 4
	v_mul_lo_u32 v6, v3, s17
	s_add_u32 s2, s2, 16
	v_sub_u32_e32 v6, v8, v6
	s_addc_u32 s3, s3, 0
	v_mul_lo_u32 v6, v6, s23
	s_cmp_lg_u32 s24, s26
	v_add3_u32 v6, v7, v5, v6
	s_cbranch_scc1 .LBB141_59
; %bb.60:
	s_and_b32 s8, s25, 3
	s_cmp_eq_u32 s8, 0
	s_cbranch_scc0 .LBB141_63
	s_branch .LBB141_65
.LBB141_61:
                                        ; implicit-def: $vgpr6
	s_branch .LBB141_66
.LBB141_62:
	v_mov_b32_e32 v3, v1
	s_and_b32 s8, s25, 3
	s_cmp_eq_u32 s8, 0
	s_cbranch_scc1 .LBB141_65
.LBB141_63:
	s_lshl_b32 s2, s24, 2
	s_add_u32 s2, s2, s4
	s_addc_u32 s3, 0, s5
	s_add_u32 s2, s2, 0xc4
	s_addc_u32 s3, s3, 0
	s_mul_i32 s6, s24, 12
	s_add_u32 s6, s4, s6
	s_addc_u32 s7, 0, s5
.LBB141_64:                             ; =>This Inner Loop Header: Depth=1
	s_load_dwordx2 s[10:11], s[6:7], 0x4
	s_load_dword s9, s[6:7], 0xc
	s_load_dword s12, s[2:3], 0x0
	s_add_u32 s6, s6, 12
	s_addc_u32 s7, s7, 0
	s_waitcnt lgkmcnt(0)
	v_mul_hi_u32 v5, s11, v3
	v_add_u32_e32 v5, v3, v5
	v_lshrrev_b32_e32 v5, s9, v5
	s_add_u32 s2, s2, 4
	v_mul_lo_u32 v7, v5, s10
	s_addc_u32 s3, s3, 0
	s_add_i32 s8, s8, -1
	v_sub_u32_e32 v7, v3, v7
	s_cmp_lg_u32 s8, 0
	v_mov_b32_e32 v3, v5
	v_mad_u64_u32 v[6:7], s[10:11], v7, s12, v[6:7]
	s_cbranch_scc1 .LBB141_64
.LBB141_65:
	s_cbranch_execnz .LBB141_68
.LBB141_66:
	s_load_dwordx4 s[8:11], s[4:5], 0x4
	s_load_dword s2, s[4:5], 0xc4
	s_cmp_lt_u32 s33, 2
	s_waitcnt lgkmcnt(0)
	v_mul_hi_u32 v3, s9, v1
	v_add_u32_e32 v3, v1, v3
	v_lshrrev_b32_e32 v3, s10, v3
	v_mul_lo_u32 v5, v3, s8
	v_sub_u32_e32 v1, v1, v5
	v_mul_lo_u32 v6, v1, s2
	s_cbranch_scc1 .LBB141_68
; %bb.67:
	s_load_dwordx4 s[8:11], s[4:5], 0x10
	s_load_dword s2, s[4:5], 0xc8
	s_waitcnt lgkmcnt(0)
	v_mul_hi_u32 v1, s9, v3
	v_add_u32_e32 v1, v3, v1
	v_lshrrev_b32_e32 v1, s10, v1
	v_mul_lo_u32 v1, v1, s8
	v_sub_u32_e32 v1, v3, v1
	v_mad_u64_u32 v[6:7], s[2:3], v1, s2, v[6:7]
.LBB141_68:
	s_and_b64 vcc, exec, s[0:1]
	v_add_u32_e32 v1, 0x200, v12
	s_cbranch_vccnz .LBB141_74
; %bb.69:
	s_mov_b32 s24, 0
	s_cmp_eq_u32 s33, 0
	v_mov_b32_e32 v8, 0
	s_cbranch_scc1 .LBB141_78
; %bb.70:
	s_min_u32 s25, s46, 15
	s_add_i32 s25, s25, 1
	s_cmp_eq_u32 s46, 2
	v_mov_b32_e32 v8, 0
	s_cbranch_scc1 .LBB141_75
; %bb.71:
	s_add_u32 s2, s4, 0xc4
	s_addc_u32 s3, s5, 0
	s_and_b32 s24, s25, 28
	s_mov_b32 s26, 0
	v_mov_b32_e32 v8, 0
	s_mov_b64 s[6:7], s[4:5]
	v_mov_b32_e32 v3, v1
.LBB141_72:                             ; =>This Inner Loop Header: Depth=1
	s_load_dwordx8 s[8:15], s[6:7], 0x4
	s_load_dwordx4 s[16:19], s[6:7], 0x24
	s_load_dwordx4 s[20:23], s[2:3], 0x0
	s_add_u32 s6, s6, 48
	s_addc_u32 s7, s7, 0
	s_waitcnt lgkmcnt(0)
	v_mul_hi_u32 v5, s9, v3
	v_add_u32_e32 v5, v3, v5
	v_lshrrev_b32_e32 v5, s10, v5
	v_mul_lo_u32 v7, v5, s8
	v_mul_hi_u32 v9, s12, v5
	v_sub_u32_e32 v3, v3, v7
	v_add_u32_e32 v7, v5, v9
	v_lshrrev_b32_e32 v7, s13, v7
	v_mul_lo_u32 v9, v7, s11
	v_mul_hi_u32 v10, s15, v7
	v_sub_u32_e32 v5, v5, v9
	v_add_u32_e32 v9, v7, v10
	v_mul_lo_u32 v3, v3, s20
	v_mul_lo_u32 v5, v5, s21
	v_lshrrev_b32_e32 v9, s16, v9
	v_add3_u32 v5, v3, v8, v5
	v_mul_lo_u32 v3, v9, s14
	v_mul_hi_u32 v8, s18, v9
	v_sub_u32_e32 v3, v7, v3
	v_add_u32_e32 v7, v9, v8
	v_mul_lo_u32 v8, v3, s22
	v_lshrrev_b32_e32 v3, s19, v7
	s_add_i32 s26, s26, 4
	v_mul_lo_u32 v7, v3, s17
	s_add_u32 s2, s2, 16
	v_sub_u32_e32 v7, v9, v7
	s_addc_u32 s3, s3, 0
	v_mul_lo_u32 v7, v7, s23
	s_cmp_lg_u32 s24, s26
	v_add3_u32 v8, v8, v5, v7
	s_cbranch_scc1 .LBB141_72
; %bb.73:
	s_and_b32 s8, s25, 3
	s_cmp_eq_u32 s8, 0
	s_cbranch_scc0 .LBB141_76
	s_branch .LBB141_78
.LBB141_74:
                                        ; implicit-def: $vgpr8
	s_branch .LBB141_79
.LBB141_75:
	v_mov_b32_e32 v3, v1
	s_and_b32 s8, s25, 3
	s_cmp_eq_u32 s8, 0
	s_cbranch_scc1 .LBB141_78
.LBB141_76:
	s_lshl_b32 s2, s24, 2
	s_add_u32 s2, s2, s4
	s_addc_u32 s3, 0, s5
	s_add_u32 s2, s2, 0xc4
	s_addc_u32 s3, s3, 0
	s_mul_i32 s6, s24, 12
	s_add_u32 s6, s4, s6
	s_addc_u32 s7, 0, s5
.LBB141_77:                             ; =>This Inner Loop Header: Depth=1
	s_load_dwordx2 s[10:11], s[6:7], 0x4
	s_load_dword s9, s[6:7], 0xc
	s_load_dword s12, s[2:3], 0x0
	s_add_u32 s6, s6, 12
	s_addc_u32 s7, s7, 0
	s_waitcnt lgkmcnt(0)
	v_mul_hi_u32 v5, s11, v3
	v_add_u32_e32 v5, v3, v5
	v_lshrrev_b32_e32 v5, s9, v5
	s_add_u32 s2, s2, 4
	v_mul_lo_u32 v7, v5, s10
	s_addc_u32 s3, s3, 0
	s_add_i32 s8, s8, -1
	v_sub_u32_e32 v7, v3, v7
	s_cmp_lg_u32 s8, 0
	v_mov_b32_e32 v3, v5
	v_mad_u64_u32 v[8:9], s[10:11], v7, s12, v[8:9]
	s_cbranch_scc1 .LBB141_77
.LBB141_78:
	s_cbranch_execnz .LBB141_81
.LBB141_79:
	s_load_dwordx4 s[8:11], s[4:5], 0x4
	s_load_dword s2, s[4:5], 0xc4
	s_cmp_lt_u32 s33, 2
	s_waitcnt lgkmcnt(0)
	v_mul_hi_u32 v3, s9, v1
	v_add_u32_e32 v3, v1, v3
	v_lshrrev_b32_e32 v3, s10, v3
	v_mul_lo_u32 v5, v3, s8
	v_sub_u32_e32 v1, v1, v5
	v_mul_lo_u32 v8, v1, s2
	s_cbranch_scc1 .LBB141_81
; %bb.80:
	s_load_dwordx4 s[8:11], s[4:5], 0x10
	s_load_dword s2, s[4:5], 0xc8
	s_waitcnt lgkmcnt(0)
	v_mul_hi_u32 v1, s9, v3
	v_add_u32_e32 v1, v3, v1
	v_lshrrev_b32_e32 v1, s10, v1
	v_mul_lo_u32 v1, v1, s8
	v_sub_u32_e32 v1, v3, v1
	v_mad_u64_u32 v[8:9], s[2:3], v1, s2, v[8:9]
.LBB141_81:
	s_and_b64 vcc, exec, s[0:1]
	v_add_u32_e32 v1, 0x280, v12
	s_cbranch_vccnz .LBB141_87
; %bb.82:
	s_mov_b32 s24, 0
	s_cmp_eq_u32 s33, 0
	v_mov_b32_e32 v10, 0
	s_cbranch_scc1 .LBB141_91
; %bb.83:
	s_min_u32 s25, s46, 15
	s_add_i32 s25, s25, 1
	s_cmp_eq_u32 s46, 2
	v_mov_b32_e32 v10, 0
	s_cbranch_scc1 .LBB141_88
; %bb.84:
	s_add_u32 s2, s4, 0xc4
	s_addc_u32 s3, s5, 0
	s_and_b32 s24, s25, 28
	s_mov_b32 s26, 0
	v_mov_b32_e32 v10, 0
	s_mov_b64 s[6:7], s[4:5]
	v_mov_b32_e32 v3, v1
.LBB141_85:                             ; =>This Inner Loop Header: Depth=1
	s_load_dwordx8 s[8:15], s[6:7], 0x4
	s_load_dwordx4 s[16:19], s[6:7], 0x24
	s_load_dwordx4 s[20:23], s[2:3], 0x0
	s_add_u32 s6, s6, 48
	s_addc_u32 s7, s7, 0
	s_waitcnt lgkmcnt(0)
	v_mul_hi_u32 v5, s9, v3
	v_add_u32_e32 v5, v3, v5
	v_lshrrev_b32_e32 v5, s10, v5
	v_mul_lo_u32 v7, v5, s8
	v_mul_hi_u32 v9, s12, v5
	v_sub_u32_e32 v3, v3, v7
	v_add_u32_e32 v7, v5, v9
	v_lshrrev_b32_e32 v7, s13, v7
	v_mul_lo_u32 v9, v7, s11
	v_mul_hi_u32 v11, s15, v7
	v_sub_u32_e32 v5, v5, v9
	v_add_u32_e32 v9, v7, v11
	v_mul_lo_u32 v3, v3, s20
	v_mul_lo_u32 v5, v5, s21
	v_lshrrev_b32_e32 v9, s16, v9
	v_add3_u32 v5, v3, v10, v5
	v_mul_lo_u32 v3, v9, s14
	v_mul_hi_u32 v10, s18, v9
	v_sub_u32_e32 v3, v7, v3
	v_add_u32_e32 v7, v9, v10
	v_mul_lo_u32 v10, v3, s22
	v_lshrrev_b32_e32 v3, s19, v7
	s_add_i32 s26, s26, 4
	v_mul_lo_u32 v7, v3, s17
	s_add_u32 s2, s2, 16
	v_sub_u32_e32 v7, v9, v7
	s_addc_u32 s3, s3, 0
	v_mul_lo_u32 v7, v7, s23
	s_cmp_lg_u32 s24, s26
	v_add3_u32 v10, v10, v5, v7
	s_cbranch_scc1 .LBB141_85
; %bb.86:
	s_and_b32 s8, s25, 3
	s_cmp_eq_u32 s8, 0
	s_cbranch_scc0 .LBB141_89
	s_branch .LBB141_91
.LBB141_87:
                                        ; implicit-def: $vgpr10
	s_branch .LBB141_92
.LBB141_88:
	v_mov_b32_e32 v3, v1
	s_and_b32 s8, s25, 3
	s_cmp_eq_u32 s8, 0
	s_cbranch_scc1 .LBB141_91
.LBB141_89:
	s_lshl_b32 s2, s24, 2
	s_add_u32 s2, s2, s4
	s_addc_u32 s3, 0, s5
	s_add_u32 s2, s2, 0xc4
	s_addc_u32 s3, s3, 0
	s_mul_i32 s6, s24, 12
	s_add_u32 s6, s4, s6
	s_addc_u32 s7, 0, s5
.LBB141_90:                             ; =>This Inner Loop Header: Depth=1
	s_load_dwordx2 s[10:11], s[6:7], 0x4
	s_load_dword s9, s[6:7], 0xc
	s_load_dword s12, s[2:3], 0x0
	s_add_u32 s6, s6, 12
	s_addc_u32 s7, s7, 0
	s_waitcnt lgkmcnt(0)
	v_mul_hi_u32 v5, s11, v3
	v_add_u32_e32 v5, v3, v5
	v_lshrrev_b32_e32 v5, s9, v5
	s_add_u32 s2, s2, 4
	v_mul_lo_u32 v7, v5, s10
	s_addc_u32 s3, s3, 0
	s_add_i32 s8, s8, -1
	v_sub_u32_e32 v7, v3, v7
	s_cmp_lg_u32 s8, 0
	v_mov_b32_e32 v3, v5
	v_mad_u64_u32 v[10:11], s[10:11], v7, s12, v[10:11]
	s_cbranch_scc1 .LBB141_90
.LBB141_91:
	s_cbranch_execnz .LBB141_94
.LBB141_92:
	s_load_dwordx4 s[8:11], s[4:5], 0x4
	s_load_dword s2, s[4:5], 0xc4
	s_cmp_lt_u32 s33, 2
	s_waitcnt lgkmcnt(0)
	v_mul_hi_u32 v3, s9, v1
	v_add_u32_e32 v3, v1, v3
	v_lshrrev_b32_e32 v3, s10, v3
	v_mul_lo_u32 v5, v3, s8
	v_sub_u32_e32 v1, v1, v5
	v_mul_lo_u32 v10, v1, s2
	s_cbranch_scc1 .LBB141_94
; %bb.93:
	s_load_dwordx4 s[8:11], s[4:5], 0x10
	s_load_dword s2, s[4:5], 0xc8
	s_waitcnt lgkmcnt(0)
	v_mul_hi_u32 v1, s9, v3
	v_add_u32_e32 v1, v3, v1
	v_lshrrev_b32_e32 v1, s10, v1
	v_mul_lo_u32 v1, v1, s8
	v_sub_u32_e32 v1, v3, v1
	v_mad_u64_u32 v[10:11], s[2:3], v1, s2, v[10:11]
.LBB141_94:
	s_and_b64 vcc, exec, s[0:1]
	v_add_u32_e32 v1, 0x300, v12
	s_cbranch_vccnz .LBB141_100
; %bb.95:
	s_mov_b32 s24, 0
	s_cmp_eq_u32 s33, 0
	v_mov_b32_e32 v12, 0
	s_cbranch_scc1 .LBB141_104
; %bb.96:
	s_min_u32 s25, s46, 15
	s_add_i32 s25, s25, 1
	s_cmp_eq_u32 s46, 2
	v_mov_b32_e32 v12, 0
	s_cbranch_scc1 .LBB141_101
; %bb.97:
	s_add_u32 s2, s4, 0xc4
	s_addc_u32 s3, s5, 0
	s_and_b32 s24, s25, 28
	s_mov_b32 s26, 0
	v_mov_b32_e32 v12, 0
	s_mov_b64 s[6:7], s[4:5]
	v_mov_b32_e32 v3, v1
.LBB141_98:                             ; =>This Inner Loop Header: Depth=1
	s_load_dwordx8 s[8:15], s[6:7], 0x4
	s_load_dwordx4 s[16:19], s[6:7], 0x24
	s_load_dwordx4 s[20:23], s[2:3], 0x0
	s_add_u32 s6, s6, 48
	s_addc_u32 s7, s7, 0
	s_waitcnt lgkmcnt(0)
	v_mul_hi_u32 v5, s9, v3
	v_add_u32_e32 v5, v3, v5
	v_lshrrev_b32_e32 v5, s10, v5
	v_mul_lo_u32 v7, v5, s8
	v_mul_hi_u32 v9, s12, v5
	v_sub_u32_e32 v3, v3, v7
	v_add_u32_e32 v7, v5, v9
	v_lshrrev_b32_e32 v7, s13, v7
	v_mul_lo_u32 v9, v7, s11
	v_mul_hi_u32 v11, s15, v7
	v_sub_u32_e32 v5, v5, v9
	v_add_u32_e32 v9, v7, v11
	v_mul_lo_u32 v3, v3, s20
	v_mul_lo_u32 v5, v5, s21
	v_lshrrev_b32_e32 v9, s16, v9
	v_add3_u32 v5, v3, v12, v5
	v_mul_lo_u32 v3, v9, s14
	v_mul_hi_u32 v11, s18, v9
	v_sub_u32_e32 v3, v7, v3
	v_add_u32_e32 v7, v9, v11
	v_mul_lo_u32 v11, v3, s22
	v_lshrrev_b32_e32 v3, s19, v7
	s_add_i32 s26, s26, 4
	v_mul_lo_u32 v7, v3, s17
	s_add_u32 s2, s2, 16
	v_sub_u32_e32 v7, v9, v7
	s_addc_u32 s3, s3, 0
	v_mul_lo_u32 v7, v7, s23
	s_cmp_lg_u32 s24, s26
	v_add3_u32 v12, v11, v5, v7
	s_cbranch_scc1 .LBB141_98
; %bb.99:
	s_and_b32 s8, s25, 3
	s_cmp_eq_u32 s8, 0
	s_cbranch_scc0 .LBB141_102
	s_branch .LBB141_104
.LBB141_100:
                                        ; implicit-def: $vgpr12
	s_branch .LBB141_105
.LBB141_101:
	v_mov_b32_e32 v3, v1
	s_and_b32 s8, s25, 3
	s_cmp_eq_u32 s8, 0
	s_cbranch_scc1 .LBB141_104
.LBB141_102:
	s_lshl_b32 s2, s24, 2
	s_add_u32 s2, s2, s4
	s_addc_u32 s3, 0, s5
	s_add_u32 s2, s2, 0xc4
	s_addc_u32 s3, s3, 0
	s_mul_i32 s6, s24, 12
	s_add_u32 s6, s4, s6
	s_addc_u32 s7, 0, s5
.LBB141_103:                            ; =>This Inner Loop Header: Depth=1
	s_load_dwordx2 s[10:11], s[6:7], 0x4
	s_load_dword s9, s[6:7], 0xc
	s_load_dword s12, s[2:3], 0x0
	s_add_u32 s6, s6, 12
	s_addc_u32 s7, s7, 0
	s_waitcnt lgkmcnt(0)
	v_mul_hi_u32 v5, s11, v3
	v_add_u32_e32 v5, v3, v5
	v_lshrrev_b32_e32 v5, s9, v5
	s_add_u32 s2, s2, 4
	v_mul_lo_u32 v7, v5, s10
	s_addc_u32 s3, s3, 0
	s_add_i32 s8, s8, -1
	v_sub_u32_e32 v7, v3, v7
	s_cmp_lg_u32 s8, 0
	v_mov_b32_e32 v3, v5
	v_mad_u64_u32 v[12:13], s[10:11], v7, s12, v[12:13]
	s_cbranch_scc1 .LBB141_103
.LBB141_104:
	s_cbranch_execnz .LBB141_107
.LBB141_105:
	s_load_dwordx4 s[8:11], s[4:5], 0x4
	s_load_dword s2, s[4:5], 0xc4
	s_cmp_lt_u32 s33, 2
	s_waitcnt lgkmcnt(0)
	v_mul_hi_u32 v3, s9, v1
	v_add_u32_e32 v3, v1, v3
	v_lshrrev_b32_e32 v3, s10, v3
	v_mul_lo_u32 v5, v3, s8
	v_sub_u32_e32 v1, v1, v5
	v_mul_lo_u32 v12, v1, s2
	s_cbranch_scc1 .LBB141_107
; %bb.106:
	s_load_dwordx4 s[8:11], s[4:5], 0x10
	s_load_dword s2, s[4:5], 0xc8
	s_waitcnt lgkmcnt(0)
	v_mul_hi_u32 v1, s9, v3
	v_add_u32_e32 v1, v3, v1
	v_lshrrev_b32_e32 v1, s10, v1
	v_mul_lo_u32 v1, v1, s8
	v_sub_u32_e32 v1, v3, v1
	v_mad_u64_u32 v[12:13], s[2:3], v1, s2, v[12:13]
.LBB141_107:
	s_and_b64 vcc, exec, s[0:1]
	s_cbranch_vccnz .LBB141_113
; %bb.108:
	s_mov_b32 s22, 0
	s_cmp_eq_u32 s33, 0
	v_mov_b32_e32 v14, 0
	s_cbranch_scc1 .LBB141_117
; %bb.109:
	s_min_u32 s23, s46, 15
	s_add_i32 s23, s23, 1
	s_cmp_eq_u32 s46, 2
	v_mov_b32_e32 v14, 0
	s_cbranch_scc1 .LBB141_114
; %bb.110:
	s_add_u32 s6, s4, 0xc4
	s_addc_u32 s7, s5, 0
	s_and_b32 s22, s23, 28
	s_mov_b32 s24, 0
	v_mov_b32_e32 v14, 0
	s_mov_b64 s[20:21], s[4:5]
	v_mov_b32_e32 v1, v16
.LBB141_111:                            ; =>This Inner Loop Header: Depth=1
	s_load_dwordx8 s[8:15], s[20:21], 0x4
	s_load_dwordx4 s[0:3], s[20:21], 0x24
	s_load_dwordx4 s[16:19], s[6:7], 0x0
	s_add_u32 s20, s20, 48
	s_addc_u32 s21, s21, 0
	s_waitcnt lgkmcnt(0)
	v_mul_hi_u32 v3, s9, v1
	v_add_u32_e32 v3, v1, v3
	v_lshrrev_b32_e32 v3, s10, v3
	v_mul_lo_u32 v5, v3, s8
	v_mul_hi_u32 v7, s12, v3
	v_sub_u32_e32 v1, v1, v5
	v_add_u32_e32 v5, v3, v7
	v_lshrrev_b32_e32 v5, s13, v5
	v_mul_lo_u32 v7, v5, s11
	v_mul_hi_u32 v9, s15, v5
	v_sub_u32_e32 v3, v3, v7
	v_add_u32_e32 v7, v5, v9
	v_mul_lo_u32 v1, v1, s16
	v_mul_lo_u32 v3, v3, s17
	v_lshrrev_b32_e32 v7, s0, v7
	v_add3_u32 v3, v1, v14, v3
	v_mul_lo_u32 v1, v7, s14
	v_mul_hi_u32 v9, s2, v7
	v_sub_u32_e32 v1, v5, v1
	v_add_u32_e32 v5, v7, v9
	v_mul_lo_u32 v9, v1, s18
	v_lshrrev_b32_e32 v1, s3, v5
	s_add_i32 s24, s24, 4
	v_mul_lo_u32 v5, v1, s1
	s_add_u32 s6, s6, 16
	v_sub_u32_e32 v5, v7, v5
	s_addc_u32 s7, s7, 0
	v_mul_lo_u32 v5, v5, s19
	s_cmp_lg_u32 s22, s24
	v_add3_u32 v14, v9, v3, v5
	s_cbranch_scc1 .LBB141_111
; %bb.112:
	s_and_b32 s6, s23, 3
	s_cmp_eq_u32 s6, 0
	s_cbranch_scc0 .LBB141_115
	s_branch .LBB141_117
.LBB141_113:
                                        ; implicit-def: $vgpr14
	s_branch .LBB141_118
.LBB141_114:
	v_mov_b32_e32 v1, v16
	s_and_b32 s6, s23, 3
	s_cmp_eq_u32 s6, 0
	s_cbranch_scc1 .LBB141_117
.LBB141_115:
	s_lshl_b32 s0, s22, 2
	s_add_u32 s0, s0, s4
	s_addc_u32 s1, 0, s5
	s_add_u32 s0, s0, 0xc4
	s_addc_u32 s1, s1, 0
	s_mul_i32 s2, s22, 12
	s_add_u32 s2, s4, s2
	s_addc_u32 s3, 0, s5
.LBB141_116:                            ; =>This Inner Loop Header: Depth=1
	s_load_dwordx2 s[8:9], s[2:3], 0x4
	s_load_dword s7, s[2:3], 0xc
	s_load_dword s10, s[0:1], 0x0
	s_add_u32 s2, s2, 12
	s_addc_u32 s3, s3, 0
	s_waitcnt lgkmcnt(0)
	v_mul_hi_u32 v3, s9, v1
	v_add_u32_e32 v3, v1, v3
	v_lshrrev_b32_e32 v3, s7, v3
	s_add_u32 s0, s0, 4
	v_mul_lo_u32 v5, v3, s8
	s_addc_u32 s1, s1, 0
	s_add_i32 s6, s6, -1
	v_sub_u32_e32 v5, v1, v5
	s_cmp_lg_u32 s6, 0
	v_mov_b32_e32 v1, v3
	v_mad_u64_u32 v[14:15], s[8:9], v5, s10, v[14:15]
	s_cbranch_scc1 .LBB141_116
.LBB141_117:
	s_cbranch_execnz .LBB141_120
.LBB141_118:
	s_load_dwordx4 s[0:3], s[4:5], 0x4
	s_waitcnt lgkmcnt(0)
	s_load_dword s3, s[4:5], 0xc4
	s_cmp_lt_u32 s33, 2
	v_mul_hi_u32 v1, s1, v16
	v_add_u32_e32 v1, v16, v1
	v_lshrrev_b32_e32 v1, s2, v1
	v_mul_lo_u32 v3, v1, s0
	v_sub_u32_e32 v3, v16, v3
	s_waitcnt lgkmcnt(0)
	v_mul_lo_u32 v14, v3, s3
	s_cbranch_scc1 .LBB141_120
; %bb.119:
	s_load_dwordx4 s[0:3], s[4:5], 0x10
	s_waitcnt lgkmcnt(0)
	s_load_dword s3, s[4:5], 0xc8
	v_mul_hi_u32 v3, s1, v1
	v_add_u32_e32 v3, v1, v3
	v_lshrrev_b32_e32 v3, s2, v3
	v_mul_lo_u32 v3, v3, s0
	v_sub_u32_e32 v1, v1, v3
	s_waitcnt lgkmcnt(0)
	v_mad_u64_u32 v[14:15], s[0:1], v1, s3, v[14:15]
.LBB141_120:
	s_load_dword s2, s[4:5], 0x110
	s_load_dwordx2 s[0:1], s[4:5], 0x108
	s_waitcnt lgkmcnt(0)
	v_mov_b32_e32 v1, s2
	s_nop 0
	global_store_byte v0, v1, s[0:1]
	global_store_byte v2, v1, s[0:1]
	global_store_byte v4, v1, s[0:1]
	global_store_byte v6, v1, s[0:1]
	global_store_byte v8, v1, s[0:1]
	global_store_byte v10, v1, s[0:1]
	global_store_byte v12, v1, s[0:1]
	global_store_byte v14, v1, s[0:1]
	s_endpgm
.LBB141_121:
	v_mov_b32_e32 v0, 0
	s_branch .LBB141_127
.LBB141_122:
	v_mov_b32_e32 v0, 0
	s_branch .LBB141_143
.LBB141_123:
	v_mov_b32_e32 v2, v12
.LBB141_124:
	s_and_b32 s12, s51, 3
	s_cmp_eq_u32 s12, 0
	s_cbranch_scc1 .LBB141_127
; %bb.125:
	s_lshl_b32 s8, s50, 2
	s_add_u32 s8, s8, s4
	s_addc_u32 s9, s5, 0
	s_add_u32 s8, s8, 0xc4
	s_addc_u32 s9, s9, 0
	s_mul_i32 s10, s50, 12
	s_add_u32 s10, s4, s10
	s_addc_u32 s11, s5, 0
.LBB141_126:                            ; =>This Inner Loop Header: Depth=1
	s_load_dwordx2 s[14:15], s[10:11], 0x4
	s_load_dword s13, s[10:11], 0xc
	s_load_dword s16, s[8:9], 0x0
	s_add_u32 s10, s10, 12
	s_addc_u32 s11, s11, 0
	s_waitcnt lgkmcnt(0)
	v_mul_hi_u32 v1, s15, v2
	v_add_u32_e32 v1, v2, v1
	v_lshrrev_b32_e32 v1, s13, v1
	s_add_u32 s8, s8, 4
	v_mul_lo_u32 v3, v1, s14
	s_addc_u32 s9, s9, 0
	s_add_i32 s12, s12, -1
	v_sub_u32_e32 v3, v2, v3
	s_cmp_lg_u32 s12, 0
	v_mov_b32_e32 v2, v1
	v_mad_u64_u32 v[0:1], s[14:15], v3, s16, v[0:1]
	s_cbranch_scc1 .LBB141_126
.LBB141_127:
	s_cbranch_execnz .LBB141_130
.LBB141_128:
	s_waitcnt lgkmcnt(0)
	v_mul_hi_u32 v0, s1, v12
	v_add_u32_e32 v0, v12, v0
	v_lshrrev_b32_e32 v1, s2, v0
	v_mul_lo_u32 v0, v1, s0
	v_sub_u32_e32 v0, v12, v0
	s_andn2_b64 vcc, exec, s[34:35]
	v_mul_lo_u32 v0, v0, s28
	s_cbranch_vccnz .LBB141_130
; %bb.129:
	v_mul_hi_u32 v2, s30, v1
	v_add_u32_e32 v2, v1, v2
	v_lshrrev_b32_e32 v2, s31, v2
	v_mul_lo_u32 v2, v2, s3
	v_sub_u32_e32 v1, v1, v2
	v_mad_u64_u32 v[0:1], s[8:9], v1, s29, v[0:1]
.LBB141_130:
	s_waitcnt lgkmcnt(0)
	v_mov_b32_e32 v1, s47
	v_add_u32_e32 v12, 0x80, v12
	global_store_byte v0, v1, s[26:27]
	s_or_b64 exec, exec, s[40:41]
	v_cmp_gt_i32_e32 vcc, s48, v12
	s_and_saveexec_b64 s[40:41], vcc
	s_cbranch_execnz .LBB141_15
.LBB141_131:
	s_or_b64 exec, exec, s[40:41]
	v_cmp_gt_i32_e32 vcc, s48, v12
	s_and_saveexec_b64 s[40:41], vcc
	s_cbranch_execz .LBB141_147
.LBB141_132:
	s_andn2_b64 vcc, exec, s[6:7]
	s_cbranch_vccnz .LBB141_137
; %bb.133:
	s_andn2_b64 vcc, exec, s[38:39]
	s_cbranch_vccnz .LBB141_138
; %bb.134:
	s_add_i32 s51, s49, 1
	s_mov_b32 s50, 0
	s_cmp_eq_u32 s46, 2
	v_mov_b32_e32 v0, 0
	s_cbranch_scc1 .LBB141_155
; %bb.135:
	s_and_b32 s50, s51, 28
	s_mov_b32 s52, 0
	v_mov_b32_e32 v0, 0
	s_mov_b64 s[42:43], s[4:5]
	s_mov_b64 s[44:45], s[36:37]
	v_mov_b32_e32 v2, v12
.LBB141_136:                            ; =>This Inner Loop Header: Depth=1
	s_load_dwordx8 s[8:15], s[42:43], 0x4
	s_load_dwordx4 s[16:19], s[42:43], 0x24
	s_load_dwordx4 s[20:23], s[44:45], 0x0
	s_add_u32 s42, s42, 48
	s_addc_u32 s43, s43, 0
	s_waitcnt lgkmcnt(0)
	v_mul_hi_u32 v1, s9, v2
	v_add_u32_e32 v1, v2, v1
	v_lshrrev_b32_e32 v1, s10, v1
	v_mul_lo_u32 v3, v1, s8
	v_mul_hi_u32 v4, s12, v1
	v_sub_u32_e32 v2, v2, v3
	v_add_u32_e32 v3, v1, v4
	v_lshrrev_b32_e32 v3, s13, v3
	v_mul_lo_u32 v4, v3, s11
	v_mul_hi_u32 v5, s15, v3
	v_sub_u32_e32 v1, v1, v4
	v_add_u32_e32 v4, v3, v5
	v_mul_lo_u32 v2, v2, s20
	v_mul_lo_u32 v1, v1, s21
	v_lshrrev_b32_e32 v4, s16, v4
	v_add3_u32 v0, v2, v0, v1
	v_mul_hi_u32 v2, s18, v4
	v_add_u32_e32 v2, v4, v2
	v_mul_lo_u32 v1, v4, s14
	v_lshrrev_b32_e32 v2, s19, v2
	s_add_i32 s52, s52, 4
	v_sub_u32_e32 v1, v3, v1
	v_mul_lo_u32 v3, v2, s17
	s_add_u32 s44, s44, 16
	v_sub_u32_e32 v3, v4, v3
	s_addc_u32 s45, s45, 0
	v_mul_lo_u32 v1, v1, s22
	v_mul_lo_u32 v3, v3, s23
	s_cmp_eq_u32 s50, s52
	v_add3_u32 v0, v1, v0, v3
	s_cbranch_scc0 .LBB141_136
	s_branch .LBB141_156
.LBB141_137:
                                        ; implicit-def: $vgpr0
	s_branch .LBB141_160
.LBB141_138:
	v_mov_b32_e32 v0, 0
	s_branch .LBB141_159
.LBB141_139:
	v_mov_b32_e32 v2, v12
.LBB141_140:
	s_and_b32 s12, s51, 3
	s_cmp_eq_u32 s12, 0
	s_cbranch_scc1 .LBB141_143
; %bb.141:
	s_lshl_b32 s8, s50, 2
	s_add_u32 s8, s8, s4
	s_addc_u32 s9, s5, 0
	s_add_u32 s8, s8, 0xc4
	s_addc_u32 s9, s9, 0
	s_mul_i32 s10, s50, 12
	s_add_u32 s10, s4, s10
	s_addc_u32 s11, s5, 0
.LBB141_142:                            ; =>This Inner Loop Header: Depth=1
	s_load_dwordx2 s[14:15], s[10:11], 0x4
	s_load_dword s13, s[10:11], 0xc
	s_load_dword s16, s[8:9], 0x0
	s_add_u32 s10, s10, 12
	s_addc_u32 s11, s11, 0
	s_waitcnt lgkmcnt(0)
	v_mul_hi_u32 v1, s15, v2
	v_add_u32_e32 v1, v2, v1
	v_lshrrev_b32_e32 v1, s13, v1
	s_add_u32 s8, s8, 4
	v_mul_lo_u32 v3, v1, s14
	s_addc_u32 s9, s9, 0
	s_add_i32 s12, s12, -1
	v_sub_u32_e32 v3, v2, v3
	s_cmp_lg_u32 s12, 0
	v_mov_b32_e32 v2, v1
	v_mad_u64_u32 v[0:1], s[14:15], v3, s16, v[0:1]
	s_cbranch_scc1 .LBB141_142
.LBB141_143:
	s_cbranch_execnz .LBB141_146
.LBB141_144:
	s_waitcnt lgkmcnt(0)
	v_mul_hi_u32 v0, s1, v12
	v_add_u32_e32 v0, v12, v0
	v_lshrrev_b32_e32 v1, s2, v0
	v_mul_lo_u32 v0, v1, s0
	v_sub_u32_e32 v0, v12, v0
	s_andn2_b64 vcc, exec, s[34:35]
	v_mul_lo_u32 v0, v0, s28
	s_cbranch_vccnz .LBB141_146
; %bb.145:
	v_mul_hi_u32 v2, s30, v1
	v_add_u32_e32 v2, v1, v2
	v_lshrrev_b32_e32 v2, s31, v2
	v_mul_lo_u32 v2, v2, s3
	v_sub_u32_e32 v1, v1, v2
	v_mad_u64_u32 v[0:1], s[8:9], v1, s29, v[0:1]
.LBB141_146:
	s_waitcnt lgkmcnt(0)
	v_mov_b32_e32 v1, s47
	v_add_u32_e32 v12, 0x80, v12
	global_store_byte v0, v1, s[26:27]
	s_or_b64 exec, exec, s[40:41]
	v_cmp_gt_i32_e32 vcc, s48, v12
	s_and_saveexec_b64 s[40:41], vcc
	s_cbranch_execnz .LBB141_132
.LBB141_147:
	s_or_b64 exec, exec, s[40:41]
	v_cmp_gt_i32_e32 vcc, s48, v12
	s_and_saveexec_b64 s[40:41], vcc
	s_cbranch_execz .LBB141_163
.LBB141_148:
	s_andn2_b64 vcc, exec, s[6:7]
	s_cbranch_vccnz .LBB141_153
; %bb.149:
	s_andn2_b64 vcc, exec, s[38:39]
	s_cbranch_vccnz .LBB141_154
; %bb.150:
	s_add_i32 s51, s49, 1
	s_mov_b32 s50, 0
	s_cmp_eq_u32 s46, 2
	v_mov_b32_e32 v0, 0
	s_cbranch_scc1 .LBB141_171
; %bb.151:
	s_and_b32 s50, s51, 28
	s_mov_b32 s52, 0
	v_mov_b32_e32 v0, 0
	s_mov_b64 s[42:43], s[4:5]
	s_mov_b64 s[44:45], s[36:37]
	v_mov_b32_e32 v2, v12
.LBB141_152:                            ; =>This Inner Loop Header: Depth=1
	s_load_dwordx8 s[8:15], s[42:43], 0x4
	s_load_dwordx4 s[16:19], s[42:43], 0x24
	s_load_dwordx4 s[20:23], s[44:45], 0x0
	s_add_u32 s42, s42, 48
	s_addc_u32 s43, s43, 0
	s_waitcnt lgkmcnt(0)
	v_mul_hi_u32 v1, s9, v2
	v_add_u32_e32 v1, v2, v1
	v_lshrrev_b32_e32 v1, s10, v1
	v_mul_lo_u32 v3, v1, s8
	v_mul_hi_u32 v4, s12, v1
	v_sub_u32_e32 v2, v2, v3
	v_add_u32_e32 v3, v1, v4
	v_lshrrev_b32_e32 v3, s13, v3
	v_mul_lo_u32 v4, v3, s11
	v_mul_hi_u32 v5, s15, v3
	v_sub_u32_e32 v1, v1, v4
	v_add_u32_e32 v4, v3, v5
	v_mul_lo_u32 v2, v2, s20
	v_mul_lo_u32 v1, v1, s21
	v_lshrrev_b32_e32 v4, s16, v4
	v_add3_u32 v0, v2, v0, v1
	v_mul_hi_u32 v2, s18, v4
	v_add_u32_e32 v2, v4, v2
	v_mul_lo_u32 v1, v4, s14
	v_lshrrev_b32_e32 v2, s19, v2
	s_add_i32 s52, s52, 4
	v_sub_u32_e32 v1, v3, v1
	v_mul_lo_u32 v3, v2, s17
	s_add_u32 s44, s44, 16
	v_sub_u32_e32 v3, v4, v3
	s_addc_u32 s45, s45, 0
	v_mul_lo_u32 v1, v1, s22
	v_mul_lo_u32 v3, v3, s23
	s_cmp_eq_u32 s50, s52
	v_add3_u32 v0, v1, v0, v3
	s_cbranch_scc0 .LBB141_152
	s_branch .LBB141_172
.LBB141_153:
                                        ; implicit-def: $vgpr0
	s_branch .LBB141_176
.LBB141_154:
	v_mov_b32_e32 v0, 0
	s_branch .LBB141_175
.LBB141_155:
	v_mov_b32_e32 v2, v12
.LBB141_156:
	s_and_b32 s12, s51, 3
	s_cmp_eq_u32 s12, 0
	s_cbranch_scc1 .LBB141_159
; %bb.157:
	s_lshl_b32 s8, s50, 2
	s_add_u32 s8, s8, s4
	s_addc_u32 s9, s5, 0
	s_add_u32 s8, s8, 0xc4
	s_addc_u32 s9, s9, 0
	s_mul_i32 s10, s50, 12
	s_add_u32 s10, s4, s10
	s_addc_u32 s11, s5, 0
.LBB141_158:                            ; =>This Inner Loop Header: Depth=1
	s_load_dwordx2 s[14:15], s[10:11], 0x4
	s_load_dword s13, s[10:11], 0xc
	s_load_dword s16, s[8:9], 0x0
	s_add_u32 s10, s10, 12
	s_addc_u32 s11, s11, 0
	s_waitcnt lgkmcnt(0)
	v_mul_hi_u32 v1, s15, v2
	v_add_u32_e32 v1, v2, v1
	v_lshrrev_b32_e32 v1, s13, v1
	s_add_u32 s8, s8, 4
	v_mul_lo_u32 v3, v1, s14
	s_addc_u32 s9, s9, 0
	s_add_i32 s12, s12, -1
	v_sub_u32_e32 v3, v2, v3
	s_cmp_lg_u32 s12, 0
	v_mov_b32_e32 v2, v1
	v_mad_u64_u32 v[0:1], s[14:15], v3, s16, v[0:1]
	s_cbranch_scc1 .LBB141_158
.LBB141_159:
	s_cbranch_execnz .LBB141_162
.LBB141_160:
	s_waitcnt lgkmcnt(0)
	v_mul_hi_u32 v0, s1, v12
	v_add_u32_e32 v0, v12, v0
	v_lshrrev_b32_e32 v1, s2, v0
	v_mul_lo_u32 v0, v1, s0
	v_sub_u32_e32 v0, v12, v0
	s_andn2_b64 vcc, exec, s[34:35]
	v_mul_lo_u32 v0, v0, s28
	s_cbranch_vccnz .LBB141_162
; %bb.161:
	v_mul_hi_u32 v2, s30, v1
	v_add_u32_e32 v2, v1, v2
	v_lshrrev_b32_e32 v2, s31, v2
	v_mul_lo_u32 v2, v2, s3
	v_sub_u32_e32 v1, v1, v2
	v_mad_u64_u32 v[0:1], s[8:9], v1, s29, v[0:1]
.LBB141_162:
	s_waitcnt lgkmcnt(0)
	v_mov_b32_e32 v1, s47
	v_add_u32_e32 v12, 0x80, v12
	global_store_byte v0, v1, s[26:27]
	s_or_b64 exec, exec, s[40:41]
	v_cmp_gt_i32_e32 vcc, s48, v12
	s_and_saveexec_b64 s[40:41], vcc
	s_cbranch_execnz .LBB141_148
.LBB141_163:
	s_or_b64 exec, exec, s[40:41]
	v_cmp_gt_i32_e32 vcc, s48, v12
	s_and_saveexec_b64 s[40:41], vcc
	s_cbranch_execz .LBB141_179
.LBB141_164:
	s_andn2_b64 vcc, exec, s[6:7]
	s_cbranch_vccnz .LBB141_169
; %bb.165:
	s_andn2_b64 vcc, exec, s[38:39]
	s_cbranch_vccnz .LBB141_170
; %bb.166:
	s_add_i32 s51, s49, 1
	s_mov_b32 s50, 0
	s_cmp_eq_u32 s46, 2
	v_mov_b32_e32 v0, 0
	s_cbranch_scc1 .LBB141_187
; %bb.167:
	s_and_b32 s50, s51, 28
	s_mov_b32 s52, 0
	v_mov_b32_e32 v0, 0
	s_mov_b64 s[42:43], s[4:5]
	s_mov_b64 s[44:45], s[36:37]
	v_mov_b32_e32 v2, v12
.LBB141_168:                            ; =>This Inner Loop Header: Depth=1
	s_load_dwordx8 s[8:15], s[42:43], 0x4
	s_load_dwordx4 s[16:19], s[42:43], 0x24
	s_load_dwordx4 s[20:23], s[44:45], 0x0
	s_add_u32 s42, s42, 48
	s_addc_u32 s43, s43, 0
	s_waitcnt lgkmcnt(0)
	v_mul_hi_u32 v1, s9, v2
	v_add_u32_e32 v1, v2, v1
	v_lshrrev_b32_e32 v1, s10, v1
	v_mul_lo_u32 v3, v1, s8
	v_mul_hi_u32 v4, s12, v1
	v_sub_u32_e32 v2, v2, v3
	v_add_u32_e32 v3, v1, v4
	v_lshrrev_b32_e32 v3, s13, v3
	v_mul_lo_u32 v4, v3, s11
	v_mul_hi_u32 v5, s15, v3
	v_sub_u32_e32 v1, v1, v4
	v_add_u32_e32 v4, v3, v5
	v_mul_lo_u32 v2, v2, s20
	v_mul_lo_u32 v1, v1, s21
	v_lshrrev_b32_e32 v4, s16, v4
	v_add3_u32 v0, v2, v0, v1
	v_mul_hi_u32 v2, s18, v4
	v_add_u32_e32 v2, v4, v2
	v_mul_lo_u32 v1, v4, s14
	v_lshrrev_b32_e32 v2, s19, v2
	s_add_i32 s52, s52, 4
	v_sub_u32_e32 v1, v3, v1
	v_mul_lo_u32 v3, v2, s17
	s_add_u32 s44, s44, 16
	v_sub_u32_e32 v3, v4, v3
	s_addc_u32 s45, s45, 0
	v_mul_lo_u32 v1, v1, s22
	v_mul_lo_u32 v3, v3, s23
	s_cmp_eq_u32 s50, s52
	v_add3_u32 v0, v1, v0, v3
	s_cbranch_scc0 .LBB141_168
	s_branch .LBB141_188
.LBB141_169:
                                        ; implicit-def: $vgpr0
	s_branch .LBB141_192
.LBB141_170:
	v_mov_b32_e32 v0, 0
	s_branch .LBB141_191
.LBB141_171:
	v_mov_b32_e32 v2, v12
.LBB141_172:
	s_and_b32 s12, s51, 3
	s_cmp_eq_u32 s12, 0
	s_cbranch_scc1 .LBB141_175
; %bb.173:
	s_lshl_b32 s8, s50, 2
	s_add_u32 s8, s8, s4
	s_addc_u32 s9, s5, 0
	s_add_u32 s8, s8, 0xc4
	s_addc_u32 s9, s9, 0
	s_mul_i32 s10, s50, 12
	s_add_u32 s10, s4, s10
	s_addc_u32 s11, s5, 0
.LBB141_174:                            ; =>This Inner Loop Header: Depth=1
	s_load_dwordx2 s[14:15], s[10:11], 0x4
	s_load_dword s13, s[10:11], 0xc
	s_load_dword s16, s[8:9], 0x0
	s_add_u32 s10, s10, 12
	s_addc_u32 s11, s11, 0
	s_waitcnt lgkmcnt(0)
	v_mul_hi_u32 v1, s15, v2
	v_add_u32_e32 v1, v2, v1
	v_lshrrev_b32_e32 v1, s13, v1
	s_add_u32 s8, s8, 4
	v_mul_lo_u32 v3, v1, s14
	s_addc_u32 s9, s9, 0
	s_add_i32 s12, s12, -1
	v_sub_u32_e32 v3, v2, v3
	s_cmp_lg_u32 s12, 0
	v_mov_b32_e32 v2, v1
	v_mad_u64_u32 v[0:1], s[14:15], v3, s16, v[0:1]
	s_cbranch_scc1 .LBB141_174
.LBB141_175:
	s_cbranch_execnz .LBB141_178
.LBB141_176:
	s_waitcnt lgkmcnt(0)
	v_mul_hi_u32 v0, s1, v12
	v_add_u32_e32 v0, v12, v0
	v_lshrrev_b32_e32 v1, s2, v0
	v_mul_lo_u32 v0, v1, s0
	v_sub_u32_e32 v0, v12, v0
	s_andn2_b64 vcc, exec, s[34:35]
	v_mul_lo_u32 v0, v0, s28
	s_cbranch_vccnz .LBB141_178
; %bb.177:
	v_mul_hi_u32 v2, s30, v1
	v_add_u32_e32 v2, v1, v2
	v_lshrrev_b32_e32 v2, s31, v2
	v_mul_lo_u32 v2, v2, s3
	v_sub_u32_e32 v1, v1, v2
	v_mad_u64_u32 v[0:1], s[8:9], v1, s29, v[0:1]
.LBB141_178:
	s_waitcnt lgkmcnt(0)
	v_mov_b32_e32 v1, s47
	v_add_u32_e32 v12, 0x80, v12
	global_store_byte v0, v1, s[26:27]
	s_or_b64 exec, exec, s[40:41]
	v_cmp_gt_i32_e32 vcc, s48, v12
	s_and_saveexec_b64 s[40:41], vcc
	s_cbranch_execnz .LBB141_164
.LBB141_179:
	s_or_b64 exec, exec, s[40:41]
	v_cmp_gt_i32_e32 vcc, s48, v12
	s_and_saveexec_b64 s[40:41], vcc
	s_cbranch_execz .LBB141_195
.LBB141_180:
	s_andn2_b64 vcc, exec, s[6:7]
	s_cbranch_vccnz .LBB141_185
; %bb.181:
	s_andn2_b64 vcc, exec, s[38:39]
	s_cbranch_vccnz .LBB141_186
; %bb.182:
	s_add_i32 s51, s49, 1
	s_mov_b32 s50, 0
	s_cmp_eq_u32 s46, 2
	v_mov_b32_e32 v0, 0
	s_cbranch_scc1 .LBB141_203
; %bb.183:
	s_and_b32 s50, s51, 28
	s_mov_b32 s52, 0
	v_mov_b32_e32 v0, 0
	s_mov_b64 s[42:43], s[4:5]
	s_mov_b64 s[44:45], s[36:37]
	v_mov_b32_e32 v2, v12
.LBB141_184:                            ; =>This Inner Loop Header: Depth=1
	s_load_dwordx8 s[8:15], s[42:43], 0x4
	s_load_dwordx4 s[16:19], s[42:43], 0x24
	s_load_dwordx4 s[20:23], s[44:45], 0x0
	s_add_u32 s42, s42, 48
	s_addc_u32 s43, s43, 0
	s_waitcnt lgkmcnt(0)
	v_mul_hi_u32 v1, s9, v2
	v_add_u32_e32 v1, v2, v1
	v_lshrrev_b32_e32 v1, s10, v1
	v_mul_lo_u32 v3, v1, s8
	v_mul_hi_u32 v4, s12, v1
	v_sub_u32_e32 v2, v2, v3
	v_add_u32_e32 v3, v1, v4
	v_lshrrev_b32_e32 v3, s13, v3
	v_mul_lo_u32 v4, v3, s11
	v_mul_hi_u32 v5, s15, v3
	v_sub_u32_e32 v1, v1, v4
	v_add_u32_e32 v4, v3, v5
	v_mul_lo_u32 v2, v2, s20
	v_mul_lo_u32 v1, v1, s21
	v_lshrrev_b32_e32 v4, s16, v4
	v_add3_u32 v0, v2, v0, v1
	v_mul_hi_u32 v2, s18, v4
	v_add_u32_e32 v2, v4, v2
	v_mul_lo_u32 v1, v4, s14
	v_lshrrev_b32_e32 v2, s19, v2
	s_add_i32 s52, s52, 4
	v_sub_u32_e32 v1, v3, v1
	v_mul_lo_u32 v3, v2, s17
	s_add_u32 s44, s44, 16
	v_sub_u32_e32 v3, v4, v3
	s_addc_u32 s45, s45, 0
	v_mul_lo_u32 v1, v1, s22
	v_mul_lo_u32 v3, v3, s23
	s_cmp_eq_u32 s50, s52
	v_add3_u32 v0, v1, v0, v3
	s_cbranch_scc0 .LBB141_184
	s_branch .LBB141_204
.LBB141_185:
                                        ; implicit-def: $vgpr0
	s_branch .LBB141_208
.LBB141_186:
	v_mov_b32_e32 v0, 0
	s_branch .LBB141_207
.LBB141_187:
	v_mov_b32_e32 v2, v12
.LBB141_188:
	s_and_b32 s12, s51, 3
	s_cmp_eq_u32 s12, 0
	s_cbranch_scc1 .LBB141_191
; %bb.189:
	s_lshl_b32 s8, s50, 2
	s_add_u32 s8, s8, s4
	s_addc_u32 s9, s5, 0
	s_add_u32 s8, s8, 0xc4
	s_addc_u32 s9, s9, 0
	s_mul_i32 s10, s50, 12
	s_add_u32 s10, s4, s10
	s_addc_u32 s11, s5, 0
.LBB141_190:                            ; =>This Inner Loop Header: Depth=1
	s_load_dwordx2 s[14:15], s[10:11], 0x4
	s_load_dword s13, s[10:11], 0xc
	s_load_dword s16, s[8:9], 0x0
	s_add_u32 s10, s10, 12
	s_addc_u32 s11, s11, 0
	s_waitcnt lgkmcnt(0)
	v_mul_hi_u32 v1, s15, v2
	v_add_u32_e32 v1, v2, v1
	v_lshrrev_b32_e32 v1, s13, v1
	s_add_u32 s8, s8, 4
	v_mul_lo_u32 v3, v1, s14
	s_addc_u32 s9, s9, 0
	s_add_i32 s12, s12, -1
	v_sub_u32_e32 v3, v2, v3
	s_cmp_lg_u32 s12, 0
	v_mov_b32_e32 v2, v1
	v_mad_u64_u32 v[0:1], s[14:15], v3, s16, v[0:1]
	s_cbranch_scc1 .LBB141_190
.LBB141_191:
	s_cbranch_execnz .LBB141_194
.LBB141_192:
	s_waitcnt lgkmcnt(0)
	v_mul_hi_u32 v0, s1, v12
	v_add_u32_e32 v0, v12, v0
	v_lshrrev_b32_e32 v1, s2, v0
	v_mul_lo_u32 v0, v1, s0
	v_sub_u32_e32 v0, v12, v0
	s_andn2_b64 vcc, exec, s[34:35]
	v_mul_lo_u32 v0, v0, s28
	s_cbranch_vccnz .LBB141_194
; %bb.193:
	v_mul_hi_u32 v2, s30, v1
	v_add_u32_e32 v2, v1, v2
	v_lshrrev_b32_e32 v2, s31, v2
	v_mul_lo_u32 v2, v2, s3
	v_sub_u32_e32 v1, v1, v2
	v_mad_u64_u32 v[0:1], s[8:9], v1, s29, v[0:1]
.LBB141_194:
	s_waitcnt lgkmcnt(0)
	v_mov_b32_e32 v1, s47
	v_add_u32_e32 v12, 0x80, v12
	global_store_byte v0, v1, s[26:27]
	s_or_b64 exec, exec, s[40:41]
	v_cmp_gt_i32_e32 vcc, s48, v12
	s_and_saveexec_b64 s[40:41], vcc
	s_cbranch_execnz .LBB141_180
.LBB141_195:
	s_or_b64 exec, exec, s[40:41]
	v_cmp_gt_i32_e32 vcc, s48, v12
	s_and_saveexec_b64 s[40:41], vcc
	s_cbranch_execz .LBB141_211
.LBB141_196:
	s_andn2_b64 vcc, exec, s[6:7]
	s_cbranch_vccnz .LBB141_201
; %bb.197:
	s_andn2_b64 vcc, exec, s[38:39]
	s_cbranch_vccnz .LBB141_202
; %bb.198:
	s_add_i32 s51, s49, 1
	s_mov_b32 s50, 0
	s_cmp_eq_u32 s46, 2
	v_mov_b32_e32 v0, 0
	s_cbranch_scc1 .LBB141_214
; %bb.199:
	s_and_b32 s50, s51, 28
	s_mov_b32 s52, 0
	v_mov_b32_e32 v0, 0
	s_mov_b64 s[42:43], s[4:5]
	s_mov_b64 s[44:45], s[36:37]
	v_mov_b32_e32 v2, v12
.LBB141_200:                            ; =>This Inner Loop Header: Depth=1
	s_load_dwordx8 s[8:15], s[42:43], 0x4
	s_load_dwordx4 s[16:19], s[42:43], 0x24
	s_load_dwordx4 s[20:23], s[44:45], 0x0
	s_add_u32 s42, s42, 48
	s_addc_u32 s43, s43, 0
	s_waitcnt lgkmcnt(0)
	v_mul_hi_u32 v1, s9, v2
	v_add_u32_e32 v1, v2, v1
	v_lshrrev_b32_e32 v1, s10, v1
	v_mul_lo_u32 v3, v1, s8
	v_mul_hi_u32 v4, s12, v1
	v_sub_u32_e32 v2, v2, v3
	v_add_u32_e32 v3, v1, v4
	v_lshrrev_b32_e32 v3, s13, v3
	v_mul_lo_u32 v4, v3, s11
	v_mul_hi_u32 v5, s15, v3
	v_sub_u32_e32 v1, v1, v4
	v_add_u32_e32 v4, v3, v5
	v_mul_lo_u32 v2, v2, s20
	v_mul_lo_u32 v1, v1, s21
	v_lshrrev_b32_e32 v4, s16, v4
	v_add3_u32 v0, v2, v0, v1
	v_mul_hi_u32 v2, s18, v4
	v_add_u32_e32 v2, v4, v2
	v_mul_lo_u32 v1, v4, s14
	v_lshrrev_b32_e32 v2, s19, v2
	s_add_i32 s52, s52, 4
	v_sub_u32_e32 v1, v3, v1
	v_mul_lo_u32 v3, v2, s17
	s_add_u32 s44, s44, 16
	v_sub_u32_e32 v3, v4, v3
	s_addc_u32 s45, s45, 0
	v_mul_lo_u32 v1, v1, s22
	v_mul_lo_u32 v3, v3, s23
	s_cmp_eq_u32 s50, s52
	v_add3_u32 v0, v1, v0, v3
	s_cbranch_scc0 .LBB141_200
	s_branch .LBB141_215
.LBB141_201:
                                        ; implicit-def: $vgpr0
	s_branch .LBB141_219
.LBB141_202:
	v_mov_b32_e32 v0, 0
	s_branch .LBB141_218
.LBB141_203:
	v_mov_b32_e32 v2, v12
.LBB141_204:
	s_and_b32 s12, s51, 3
	s_cmp_eq_u32 s12, 0
	s_cbranch_scc1 .LBB141_207
; %bb.205:
	s_lshl_b32 s8, s50, 2
	s_add_u32 s8, s8, s4
	s_addc_u32 s9, s5, 0
	s_add_u32 s8, s8, 0xc4
	s_addc_u32 s9, s9, 0
	s_mul_i32 s10, s50, 12
	s_add_u32 s10, s4, s10
	s_addc_u32 s11, s5, 0
.LBB141_206:                            ; =>This Inner Loop Header: Depth=1
	s_load_dwordx2 s[14:15], s[10:11], 0x4
	s_load_dword s13, s[10:11], 0xc
	s_load_dword s16, s[8:9], 0x0
	s_add_u32 s10, s10, 12
	s_addc_u32 s11, s11, 0
	s_waitcnt lgkmcnt(0)
	v_mul_hi_u32 v1, s15, v2
	v_add_u32_e32 v1, v2, v1
	v_lshrrev_b32_e32 v1, s13, v1
	s_add_u32 s8, s8, 4
	v_mul_lo_u32 v3, v1, s14
	s_addc_u32 s9, s9, 0
	s_add_i32 s12, s12, -1
	v_sub_u32_e32 v3, v2, v3
	s_cmp_lg_u32 s12, 0
	v_mov_b32_e32 v2, v1
	v_mad_u64_u32 v[0:1], s[14:15], v3, s16, v[0:1]
	s_cbranch_scc1 .LBB141_206
.LBB141_207:
	s_cbranch_execnz .LBB141_210
.LBB141_208:
	s_waitcnt lgkmcnt(0)
	v_mul_hi_u32 v0, s1, v12
	v_add_u32_e32 v0, v12, v0
	v_lshrrev_b32_e32 v1, s2, v0
	v_mul_lo_u32 v0, v1, s0
	v_sub_u32_e32 v0, v12, v0
	s_andn2_b64 vcc, exec, s[34:35]
	v_mul_lo_u32 v0, v0, s28
	s_cbranch_vccnz .LBB141_210
; %bb.209:
	v_mul_hi_u32 v2, s30, v1
	v_add_u32_e32 v2, v1, v2
	v_lshrrev_b32_e32 v2, s31, v2
	v_mul_lo_u32 v2, v2, s3
	v_sub_u32_e32 v1, v1, v2
	v_mad_u64_u32 v[0:1], s[8:9], v1, s29, v[0:1]
.LBB141_210:
	s_waitcnt lgkmcnt(0)
	v_mov_b32_e32 v1, s47
	v_add_u32_e32 v12, 0x80, v12
	global_store_byte v0, v1, s[26:27]
	s_or_b64 exec, exec, s[40:41]
	v_cmp_gt_i32_e32 vcc, s48, v12
	s_and_saveexec_b64 s[40:41], vcc
	s_cbranch_execnz .LBB141_196
.LBB141_211:
	s_or_b64 exec, exec, s[40:41]
	v_cmp_gt_i32_e32 vcc, s48, v12
	s_and_saveexec_b64 s[40:41], vcc
	s_cbranch_execnz .LBB141_222
.LBB141_212:
	s_or_b64 exec, exec, s[40:41]
                                        ; implicit-def: $vgpr16
                                        ; implicit-def: $vgpr12
	s_waitcnt lgkmcnt(0)
	s_andn2_saveexec_b64 s[0:1], s[24:25]
	s_cbranch_execnz .LBB141_8
.LBB141_213:
	s_endpgm
.LBB141_214:
	v_mov_b32_e32 v2, v12
.LBB141_215:
	s_and_b32 s12, s51, 3
	s_cmp_eq_u32 s12, 0
	s_cbranch_scc1 .LBB141_218
; %bb.216:
	s_lshl_b32 s8, s50, 2
	s_add_u32 s8, s8, s4
	s_addc_u32 s9, s5, 0
	s_add_u32 s8, s8, 0xc4
	s_addc_u32 s9, s9, 0
	s_mul_i32 s10, s50, 12
	s_add_u32 s10, s4, s10
	s_addc_u32 s11, s5, 0
.LBB141_217:                            ; =>This Inner Loop Header: Depth=1
	s_load_dwordx2 s[14:15], s[10:11], 0x4
	s_load_dword s13, s[10:11], 0xc
	s_load_dword s16, s[8:9], 0x0
	s_add_u32 s10, s10, 12
	s_addc_u32 s11, s11, 0
	s_waitcnt lgkmcnt(0)
	v_mul_hi_u32 v1, s15, v2
	v_add_u32_e32 v1, v2, v1
	v_lshrrev_b32_e32 v1, s13, v1
	s_add_u32 s8, s8, 4
	v_mul_lo_u32 v3, v1, s14
	s_addc_u32 s9, s9, 0
	s_add_i32 s12, s12, -1
	v_sub_u32_e32 v3, v2, v3
	s_cmp_lg_u32 s12, 0
	v_mov_b32_e32 v2, v1
	v_mad_u64_u32 v[0:1], s[14:15], v3, s16, v[0:1]
	s_cbranch_scc1 .LBB141_217
.LBB141_218:
	s_cbranch_execnz .LBB141_221
.LBB141_219:
	s_waitcnt lgkmcnt(0)
	v_mul_hi_u32 v0, s1, v12
	v_add_u32_e32 v0, v12, v0
	v_lshrrev_b32_e32 v1, s2, v0
	v_mul_lo_u32 v0, v1, s0
	v_sub_u32_e32 v0, v12, v0
	s_andn2_b64 vcc, exec, s[34:35]
	v_mul_lo_u32 v0, v0, s28
	s_cbranch_vccnz .LBB141_221
; %bb.220:
	v_mul_hi_u32 v2, s30, v1
	v_add_u32_e32 v2, v1, v2
	v_lshrrev_b32_e32 v2, s31, v2
	v_mul_lo_u32 v2, v2, s3
	v_sub_u32_e32 v1, v1, v2
	v_mad_u64_u32 v[0:1], s[8:9], v1, s29, v[0:1]
.LBB141_221:
	s_waitcnt lgkmcnt(0)
	v_mov_b32_e32 v1, s47
	v_add_u32_e32 v12, 0x80, v12
	global_store_byte v0, v1, s[26:27]
	s_or_b64 exec, exec, s[40:41]
	v_cmp_gt_i32_e32 vcc, s48, v12
	s_and_saveexec_b64 s[40:41], vcc
	s_cbranch_execz .LBB141_212
.LBB141_222:
	s_andn2_b64 vcc, exec, s[6:7]
	s_cbranch_vccnz .LBB141_227
; %bb.223:
	s_andn2_b64 vcc, exec, s[38:39]
	s_cbranch_vccnz .LBB141_228
; %bb.224:
	s_add_i32 s49, s49, 1
	s_mov_b32 s42, 0
	s_cmp_eq_u32 s46, 2
	v_mov_b32_e32 v0, 0
	s_cbranch_scc1 .LBB141_229
; %bb.225:
	s_and_b32 s42, s49, 28
	s_mov_b32 s43, 0
	v_mov_b32_e32 v0, 0
	s_mov_b64 s[38:39], s[4:5]
	v_mov_b32_e32 v2, v12
.LBB141_226:                            ; =>This Inner Loop Header: Depth=1
	s_load_dwordx8 s[8:15], s[38:39], 0x4
	s_load_dwordx4 s[16:19], s[38:39], 0x24
	s_load_dwordx4 s[20:23], s[36:37], 0x0
	s_add_u32 s38, s38, 48
	s_addc_u32 s39, s39, 0
	s_waitcnt lgkmcnt(0)
	v_mul_hi_u32 v1, s9, v2
	v_add_u32_e32 v1, v2, v1
	v_lshrrev_b32_e32 v1, s10, v1
	v_mul_lo_u32 v3, v1, s8
	v_mul_hi_u32 v4, s12, v1
	v_sub_u32_e32 v2, v2, v3
	v_add_u32_e32 v3, v1, v4
	v_lshrrev_b32_e32 v3, s13, v3
	v_mul_lo_u32 v4, v3, s11
	v_mul_hi_u32 v5, s15, v3
	v_sub_u32_e32 v1, v1, v4
	v_add_u32_e32 v4, v3, v5
	v_mul_lo_u32 v2, v2, s20
	v_mul_lo_u32 v1, v1, s21
	v_lshrrev_b32_e32 v4, s16, v4
	v_add3_u32 v0, v2, v0, v1
	v_mul_hi_u32 v2, s18, v4
	v_add_u32_e32 v2, v4, v2
	v_mul_lo_u32 v1, v4, s14
	v_lshrrev_b32_e32 v2, s19, v2
	s_add_i32 s43, s43, 4
	v_sub_u32_e32 v1, v3, v1
	v_mul_lo_u32 v3, v2, s17
	s_add_u32 s36, s36, 16
	v_sub_u32_e32 v3, v4, v3
	s_addc_u32 s37, s37, 0
	v_mul_lo_u32 v1, v1, s22
	v_mul_lo_u32 v3, v3, s23
	s_cmp_eq_u32 s42, s43
	v_add3_u32 v0, v1, v0, v3
	s_cbranch_scc0 .LBB141_226
	s_branch .LBB141_230
.LBB141_227:
                                        ; implicit-def: $vgpr0
	s_branch .LBB141_234
.LBB141_228:
	v_mov_b32_e32 v0, 0
	s_branch .LBB141_233
.LBB141_229:
	v_mov_b32_e32 v2, v12
.LBB141_230:
	s_and_b32 s12, s49, 3
	s_cmp_eq_u32 s12, 0
	s_cbranch_scc1 .LBB141_233
; %bb.231:
	s_lshl_b32 s8, s42, 2
	s_add_u32 s8, s8, s4
	s_addc_u32 s9, s5, 0
	s_add_u32 s8, s8, 0xc4
	s_addc_u32 s9, s9, 0
	s_mul_i32 s10, s42, 12
	s_add_u32 s10, s4, s10
	s_addc_u32 s11, s5, 0
.LBB141_232:                            ; =>This Inner Loop Header: Depth=1
	s_load_dwordx2 s[14:15], s[10:11], 0x4
	s_load_dword s13, s[10:11], 0xc
	s_load_dword s16, s[8:9], 0x0
	s_add_u32 s10, s10, 12
	s_addc_u32 s11, s11, 0
	s_waitcnt lgkmcnt(0)
	v_mul_hi_u32 v1, s15, v2
	v_add_u32_e32 v1, v2, v1
	v_lshrrev_b32_e32 v1, s13, v1
	s_add_u32 s8, s8, 4
	v_mul_lo_u32 v3, v1, s14
	s_addc_u32 s9, s9, 0
	s_add_i32 s12, s12, -1
	v_sub_u32_e32 v3, v2, v3
	s_cmp_lg_u32 s12, 0
	v_mov_b32_e32 v2, v1
	v_mad_u64_u32 v[0:1], s[14:15], v3, s16, v[0:1]
	s_cbranch_scc1 .LBB141_232
.LBB141_233:
	s_cbranch_execnz .LBB141_236
.LBB141_234:
	s_waitcnt lgkmcnt(0)
	v_mul_hi_u32 v0, s1, v12
	v_add_u32_e32 v0, v12, v0
	v_lshrrev_b32_e32 v1, s2, v0
	v_mul_lo_u32 v0, v1, s0
	v_sub_u32_e32 v0, v12, v0
	s_andn2_b64 vcc, exec, s[34:35]
	v_mul_lo_u32 v0, v0, s28
	s_cbranch_vccnz .LBB141_236
; %bb.235:
	v_mul_hi_u32 v2, s30, v1
	v_add_u32_e32 v2, v1, v2
	v_lshrrev_b32_e32 v2, s31, v2
	v_mul_lo_u32 v2, v2, s3
	v_sub_u32_e32 v1, v1, v2
	v_mad_u64_u32 v[0:1], s[0:1], v1, s29, v[0:1]
.LBB141_236:
	s_waitcnt lgkmcnt(0)
	v_mov_b32_e32 v1, s47
	global_store_byte v0, v1, s[26:27]
	s_or_b64 exec, exec, s[40:41]
                                        ; implicit-def: $vgpr16
                                        ; implicit-def: $vgpr12
	s_andn2_saveexec_b64 s[0:1], s[24:25]
	s_cbranch_execz .LBB141_213
	s_branch .LBB141_8
	.section	.rodata,"a",@progbits
	.p2align	6, 0x0
	.amdhsa_kernel _ZN2at6native32elementwise_kernel_manual_unrollILi128ELi8EZNS0_22gpu_kernel_impl_nocastINS0_11FillFunctorIN3c1015Float8_e4m3fnuzEEEEEvRNS_18TensorIteratorBaseERKT_EUlibE_EEviT1_
		.amdhsa_group_segment_fixed_size 0
		.amdhsa_private_segment_fixed_size 0
		.amdhsa_kernarg_size 288
		.amdhsa_user_sgpr_count 6
		.amdhsa_user_sgpr_private_segment_buffer 1
		.amdhsa_user_sgpr_dispatch_ptr 0
		.amdhsa_user_sgpr_queue_ptr 0
		.amdhsa_user_sgpr_kernarg_segment_ptr 1
		.amdhsa_user_sgpr_dispatch_id 0
		.amdhsa_user_sgpr_flat_scratch_init 0
		.amdhsa_user_sgpr_kernarg_preload_length 0
		.amdhsa_user_sgpr_kernarg_preload_offset 0
		.amdhsa_user_sgpr_private_segment_size 0
		.amdhsa_uses_dynamic_stack 0
		.amdhsa_system_sgpr_private_segment_wavefront_offset 0
		.amdhsa_system_sgpr_workgroup_id_x 1
		.amdhsa_system_sgpr_workgroup_id_y 0
		.amdhsa_system_sgpr_workgroup_id_z 0
		.amdhsa_system_sgpr_workgroup_info 0
		.amdhsa_system_vgpr_workitem_id 0
		.amdhsa_next_free_vgpr 17
		.amdhsa_next_free_sgpr 53
		.amdhsa_accum_offset 20
		.amdhsa_reserve_vcc 1
		.amdhsa_reserve_flat_scratch 0
		.amdhsa_float_round_mode_32 0
		.amdhsa_float_round_mode_16_64 0
		.amdhsa_float_denorm_mode_32 3
		.amdhsa_float_denorm_mode_16_64 3
		.amdhsa_dx10_clamp 1
		.amdhsa_ieee_mode 1
		.amdhsa_fp16_overflow 0
		.amdhsa_tg_split 0
		.amdhsa_exception_fp_ieee_invalid_op 0
		.amdhsa_exception_fp_denorm_src 0
		.amdhsa_exception_fp_ieee_div_zero 0
		.amdhsa_exception_fp_ieee_overflow 0
		.amdhsa_exception_fp_ieee_underflow 0
		.amdhsa_exception_fp_ieee_inexact 0
		.amdhsa_exception_int_div_zero 0
	.end_amdhsa_kernel
	.section	.text._ZN2at6native32elementwise_kernel_manual_unrollILi128ELi8EZNS0_22gpu_kernel_impl_nocastINS0_11FillFunctorIN3c1015Float8_e4m3fnuzEEEEEvRNS_18TensorIteratorBaseERKT_EUlibE_EEviT1_,"axG",@progbits,_ZN2at6native32elementwise_kernel_manual_unrollILi128ELi8EZNS0_22gpu_kernel_impl_nocastINS0_11FillFunctorIN3c1015Float8_e4m3fnuzEEEEEvRNS_18TensorIteratorBaseERKT_EUlibE_EEviT1_,comdat
.Lfunc_end141:
	.size	_ZN2at6native32elementwise_kernel_manual_unrollILi128ELi8EZNS0_22gpu_kernel_impl_nocastINS0_11FillFunctorIN3c1015Float8_e4m3fnuzEEEEEvRNS_18TensorIteratorBaseERKT_EUlibE_EEviT1_, .Lfunc_end141-_ZN2at6native32elementwise_kernel_manual_unrollILi128ELi8EZNS0_22gpu_kernel_impl_nocastINS0_11FillFunctorIN3c1015Float8_e4m3fnuzEEEEEvRNS_18TensorIteratorBaseERKT_EUlibE_EEviT1_
                                        ; -- End function
	.section	.AMDGPU.csdata,"",@progbits
; Kernel info:
; codeLenInByte = 9664
; NumSgprs: 57
; NumVgprs: 17
; NumAgprs: 0
; TotalNumVgprs: 17
; ScratchSize: 0
; MemoryBound: 0
; FloatMode: 240
; IeeeMode: 1
; LDSByteSize: 0 bytes/workgroup (compile time only)
; SGPRBlocks: 7
; VGPRBlocks: 2
; NumSGPRsForWavesPerEU: 57
; NumVGPRsForWavesPerEU: 17
; AccumOffset: 20
; Occupancy: 8
; WaveLimiterHint : 1
; COMPUTE_PGM_RSRC2:SCRATCH_EN: 0
; COMPUTE_PGM_RSRC2:USER_SGPR: 6
; COMPUTE_PGM_RSRC2:TRAP_HANDLER: 0
; COMPUTE_PGM_RSRC2:TGID_X_EN: 1
; COMPUTE_PGM_RSRC2:TGID_Y_EN: 0
; COMPUTE_PGM_RSRC2:TGID_Z_EN: 0
; COMPUTE_PGM_RSRC2:TIDIG_COMP_CNT: 0
; COMPUTE_PGM_RSRC3_GFX90A:ACCUM_OFFSET: 4
; COMPUTE_PGM_RSRC3_GFX90A:TG_SPLIT: 0
	.section	.text._ZN2at6native32elementwise_kernel_manual_unrollILi128ELi4EZNS0_15gpu_kernel_implINS0_11FillFunctorIN3c1015Float8_e4m3fnuzEEEEEvRNS_18TensorIteratorBaseERKT_EUlibE_EEviT1_,"axG",@progbits,_ZN2at6native32elementwise_kernel_manual_unrollILi128ELi4EZNS0_15gpu_kernel_implINS0_11FillFunctorIN3c1015Float8_e4m3fnuzEEEEEvRNS_18TensorIteratorBaseERKT_EUlibE_EEviT1_,comdat
	.protected	_ZN2at6native32elementwise_kernel_manual_unrollILi128ELi4EZNS0_15gpu_kernel_implINS0_11FillFunctorIN3c1015Float8_e4m3fnuzEEEEEvRNS_18TensorIteratorBaseERKT_EUlibE_EEviT1_ ; -- Begin function _ZN2at6native32elementwise_kernel_manual_unrollILi128ELi4EZNS0_15gpu_kernel_implINS0_11FillFunctorIN3c1015Float8_e4m3fnuzEEEEEvRNS_18TensorIteratorBaseERKT_EUlibE_EEviT1_
	.globl	_ZN2at6native32elementwise_kernel_manual_unrollILi128ELi4EZNS0_15gpu_kernel_implINS0_11FillFunctorIN3c1015Float8_e4m3fnuzEEEEEvRNS_18TensorIteratorBaseERKT_EUlibE_EEviT1_
	.p2align	8
	.type	_ZN2at6native32elementwise_kernel_manual_unrollILi128ELi4EZNS0_15gpu_kernel_implINS0_11FillFunctorIN3c1015Float8_e4m3fnuzEEEEEvRNS_18TensorIteratorBaseERKT_EUlibE_EEviT1_,@function
_ZN2at6native32elementwise_kernel_manual_unrollILi128ELi4EZNS0_15gpu_kernel_implINS0_11FillFunctorIN3c1015Float8_e4m3fnuzEEEEEvRNS_18TensorIteratorBaseERKT_EUlibE_EEviT1_: ; @_ZN2at6native32elementwise_kernel_manual_unrollILi128ELi4EZNS0_15gpu_kernel_implINS0_11FillFunctorIN3c1015Float8_e4m3fnuzEEEEEvRNS_18TensorIteratorBaseERKT_EUlibE_EEviT1_
; %bb.0:
	s_load_dwordx4 s[8:11], s[4:5], 0x8
	s_load_dword s30, s[4:5], 0x0
	v_lshl_or_b32 v16, s6, 9, v0
	v_or_b32_e32 v0, 0x180, v16
	s_mov_b64 s[0:1], 0
	s_waitcnt lgkmcnt(0)
	v_lshrrev_b16_e64 v12, 8, s11
	v_cmp_le_i32_e32 vcc, s30, v0
	s_mov_b64 s[2:3], 0
	s_and_saveexec_b64 s[4:5], vcc
	s_xor_b64 s[4:5], exec, s[4:5]
	s_cbranch_execz .LBB142_1242
; %bb.1:
	s_and_b32 s3, s11, 7
	s_flbit_i32_b32 s7, s3
	s_min_u32 s7, s7, 32
	v_lshrrev_b16_e64 v0, 3, s11
	s_sub_i32 s12, s7, 28
	v_readfirstlane_b32 s6, v0
	s_lshl_b32 s12, s11, s12
	s_lshl_b32 s2, s11, 24
	s_and_b32 s6, s6, 15
	s_sub_i32 s7, 29, s7
	s_and_b32 s12, s12, 7
	s_cmp_eq_u32 s6, 0
	s_cselect_b32 s6, s7, s6
	s_cselect_b32 s3, s12, s3
	s_lshl_b32 s6, s6, 23
	s_and_b32 s2, s2, 0x80000000
	s_add_i32 s6, s6, 0x3b800000
	s_lshl_b32 s3, s3, 20
	s_or_b32 s2, s2, s6
	s_or_b32 s33, s2, s3
	v_trunc_f32_e32 v0, s33
	v_mul_f32_e32 v1, 0x2f800000, v0
	s_mov_b32 s7, 0x2f800000
	v_floor_f32_e32 v1, v1
	v_mov_b32_e32 v2, v0
	v_fmac_f32_e32 v2, 0xcf800000, v1
	v_cvt_u32_f32_e32 v9, v1
	v_mul_f32_e64 v1, |v0|, s7
	s_mov_b32 s12, 0xcf800000
	v_floor_f32_e32 v1, v1
	v_cvt_u32_f32_e32 v8, v2
	v_fma_f32 v2, v1, s12, |v0|
	v_cvt_u32_f32_e32 v2, v2
	v_cvt_u32_f32_e32 v1, v1
	v_ashrrev_i32_e32 v0, 31, v0
	v_cvt_u32_f32_e32 v15, s33
	s_and_b32 s2, s6, 0x7f800000
	v_cvt_f16_f32_e32 v14, s33
	v_xor_b32_e32 v2, v2, v0
	v_cvt_i32_f32_e32 v13, s33
	s_or_b32 s34, s3, s6
	s_or_b32 s2, s2, s3
	v_xor_b32_e32 v1, v1, v0
	v_sub_co_u32_e32 v4, vcc, v2, v0
	s_cmp_lg_u32 s2, 0
	v_subb_co_u32_e32 v5, vcc, v1, v0, vcc
	s_cselect_b64 s[2:3], -1, 0
	v_cvt_f64_f32_e32 v[6:7], s33
	v_cmp_gt_i32_e32 vcc, s30, v16
	s_mov_b64 s[14:15], -1
	s_mov_b64 s[16:17], 0
	s_mov_b64 s[6:7], 0
	s_and_saveexec_b64 s[12:13], vcc
	s_cbranch_execz .LBB142_310
; %bb.2:
	v_mul_lo_u32 v0, v16, s10
	v_ashrrev_i32_e32 v1, 31, v0
	v_mov_b32_e32 v2, s9
	v_add_co_u32_e32 v10, vcc, s8, v0
	v_addc_co_u32_e32 v11, vcc, v2, v1, vcc
	v_cmp_gt_i16_e32 vcc, 11, v12
	s_cbranch_vccnz .LBB142_11
; %bb.3:
	v_cmp_lt_i16_e32 vcc, 25, v12
	s_cbranch_vccz .LBB142_14
; %bb.4:
	v_cmp_lt_i16_e32 vcc, 28, v12
	s_cbranch_vccz .LBB142_15
	;; [unrolled: 3-line block ×4, first 2 shown]
; %bb.7:
	v_cmp_eq_u16_e32 vcc, 46, v12
	s_mov_b64 s[18:19], 0
	s_mov_b64 s[6:7], -1
	s_mov_b64 s[14:15], 0
	s_cbranch_vccz .LBB142_26
; %bb.8:
	v_mov_b32_e32 v0, 0x80
	v_cmp_lt_i16_sdwa s[6:7], s11, v0 src0_sel:BYTE_0 src1_sel:DWORD
	s_and_b64 vcc, exec, s[6:7]
	s_cbranch_vccnz .LBB142_18
; %bb.9:
	v_cmp_eq_u16_sdwa s[6:7], s11, v0 src0_sel:BYTE_0 src1_sel:DWORD
	s_and_b64 vcc, exec, s[6:7]
	s_cbranch_vccz .LBB142_19
; %bb.10:
	s_mov_b64 s[6:7], 0
	s_mov_b32 s20, 0x7f800001
	s_branch .LBB142_21
.LBB142_11:
	s_mov_b64 s[14:15], 0
	s_cbranch_execnz .LBB142_175
.LBB142_12:
	s_andn2_b64 vcc, exec, s[14:15]
	s_cbranch_vccnz .LBB142_308
.LBB142_13:
	v_add_u32_e32 v16, 0x80, v16
	s_mov_b64 s[14:15], -1
	s_branch .LBB142_309
.LBB142_14:
	s_mov_b64 s[14:15], 0
	s_cbranch_execnz .LBB142_78
	s_branch .LBB142_174
.LBB142_15:
	s_mov_b64 s[18:19], -1
	s_mov_b64 s[14:15], 0
	s_branch .LBB142_53
.LBB142_16:
	s_mov_b64 s[18:19], -1
	s_mov_b64 s[14:15], 0
	s_branch .LBB142_40
.LBB142_17:
	s_mov_b64 s[18:19], -1
	s_mov_b64 s[14:15], 0
	s_branch .LBB142_26
.LBB142_18:
	s_mov_b64 s[14:15], -1
	s_mov_b64 s[6:7], 0
	s_branch .LBB142_20
.LBB142_19:
	s_mov_b64 s[6:7], -1
.LBB142_20:
                                        ; implicit-def: $sgpr20
.LBB142_21:
	s_and_b64 vcc, exec, s[14:15]
	s_cbranch_vccz .LBB142_23
; %bb.22:
	v_mov_b32_e32 v0, 0
	s_mov_b32 s20, 0
	v_cmp_ne_u16_sdwa s[6:7], s11, v0 src0_sel:BYTE_0 src1_sel:DWORD
.LBB142_23:
	s_andn2_b64 vcc, exec, s[6:7]
	s_cbranch_vccnz .LBB142_25
; %bb.24:
	s_mov_b32 s20, s33
.LBB142_25:
	s_bfe_u32 s6, s20, 0x10010
	s_add_i32 s6, s20, s6
	s_addk_i32 s6, 0x7fff
	s_lshr_b32 s14, s6, 16
	v_cmp_o_f32_e64 s[6:7], s20, s20
	s_and_b64 s[6:7], s[6:7], exec
	s_cselect_b32 s6, s14, 0x7fc0
	v_mov_b32_e32 v0, s6
	global_store_dword v[10:11], v0, off
	s_mov_b64 s[14:15], -1
	s_mov_b64 s[6:7], 0
.LBB142_26:
	s_and_b64 vcc, exec, s[18:19]
	s_cbranch_vccz .LBB142_39
; %bb.27:
	v_cmp_eq_u16_e32 vcc, 44, v12
	s_mov_b64 s[6:7], -1
	s_cbranch_vccz .LBB142_39
; %bb.28:
	v_mov_b32_e32 v0, 0xff
	v_and_b32_e32 v0, s11, v0
	s_movk_i32 s6, 0x80
	v_cmp_gt_i16_e32 vcc, s6, v0
	v_readfirstlane_b32 s19, v0
	s_cbranch_vccnz .LBB142_31
; %bb.29:
	v_mov_b32_e32 v0, 0x80
	v_cmp_eq_u16_e32 vcc, s19, v0
	s_cbranch_vccz .LBB142_32
; %bb.30:
	s_mov_b64 s[6:7], 0
	s_mov_b32 s18, 0x7f800001
	s_branch .LBB142_33
.LBB142_31:
	s_mov_b64 s[14:15], -1
	s_mov_b64 s[6:7], 0
                                        ; implicit-def: $sgpr18
	s_branch .LBB142_34
.LBB142_32:
	s_mov_b64 s[6:7], -1
                                        ; implicit-def: $sgpr18
.LBB142_33:
	s_mov_b64 s[14:15], 0
.LBB142_34:
	s_and_b64 vcc, exec, s[14:15]
	s_cbranch_vccz .LBB142_44
; %bb.35:
	s_and_b32 s18, 0xffff, s19
	v_cmp_ne_u16_e64 s[6:7], s19, 0
	s_andn2_b64 vcc, exec, s[6:7]
	s_cbranch_vccz .LBB142_45
.LBB142_36:
	s_bfe_u32 s6, s18, 0x80017
	s_cmpk_eq_i32 s6, 0xff
	v_mov_b32_e32 v0, 0xff
	s_cbranch_scc1 .LBB142_38
.LBB142_37:
	s_lshr_b32 s19, s18, 23
	s_bitcmp1_b32 s18, 22
	s_cselect_b64 s[14:15], -1, 0
	s_and_b32 s7, s18, 0x3fffff
	s_or_b32 s6, s6, s7
	s_cmp_lg_u32 s6, 0
	s_cselect_b64 s[6:7], -1, 0
	s_and_b64 s[6:7], s[14:15], s[6:7]
	v_cndmask_b32_e64 v0, 0, 1, s[6:7]
	v_add_u32_e32 v0, s19, v0
.LBB142_38:
	s_mov_b64 s[14:15], -1
	s_mov_b64 s[6:7], 0
	global_store_byte v[10:11], v0, off
.LBB142_39:
	s_mov_b64 s[18:19], 0
.LBB142_40:
	s_and_b64 vcc, exec, s[18:19]
	s_cbranch_vccz .LBB142_52
; %bb.41:
	v_cmp_eq_u16_e32 vcc, 29, v12
	s_mov_b64 s[6:7], -1
	s_cbranch_vccz .LBB142_52
; %bb.42:
	v_mov_b32_e32 v0, 0x80
	v_cmp_lt_i16_sdwa s[6:7], s11, v0 src0_sel:BYTE_0 src1_sel:DWORD
	s_and_b64 vcc, exec, s[6:7]
	s_cbranch_vccnz .LBB142_46
; %bb.43:
	v_cmp_ne_u16_sdwa s[6:7], s11, v0 src0_sel:BYTE_0 src1_sel:DWORD
	s_mov_b64 s[18:19], 0
	s_mov_b64 s[14:15], 0
	s_branch .LBB142_47
.LBB142_44:
	s_andn2_b64 vcc, exec, s[6:7]
	s_cbranch_vccnz .LBB142_36
.LBB142_45:
	s_mov_b32 s18, s34
	s_bfe_u32 s6, s18, 0x80017
	s_cmpk_eq_i32 s6, 0xff
	v_mov_b32_e32 v0, 0xff
	s_cbranch_scc0 .LBB142_37
	s_branch .LBB142_38
.LBB142_46:
	s_mov_b64 s[18:19], -1
	s_mov_b64 s[6:7], 0
                                        ; implicit-def: $sgpr14_sgpr15
.LBB142_47:
	s_andn2_b64 vcc, exec, s[18:19]
	s_cbranch_vccnz .LBB142_49
; %bb.48:
	v_mov_b32_e32 v0, 0
	v_cmp_ne_u16_sdwa s[6:7], s11, v0 src0_sel:BYTE_0 src1_sel:DWORD
	s_mov_b64 s[14:15], 0
.LBB142_49:
	s_andn2_b64 vcc, exec, s[6:7]
	v_pk_mov_b32 v[0:1], s[14:15], s[14:15] op_sel:[0,1]
	s_cbranch_vccnz .LBB142_51
; %bb.50:
	v_pk_mov_b32 v[0:1], v[8:9], v[8:9] op_sel:[0,1]
.LBB142_51:
	global_store_dwordx2 v[10:11], v[0:1], off
	s_mov_b64 s[14:15], -1
	s_mov_b64 s[6:7], 0
.LBB142_52:
	s_mov_b64 s[18:19], 0
.LBB142_53:
	s_and_b64 vcc, exec, s[18:19]
	s_cbranch_vccz .LBB142_77
; %bb.54:
	v_cmp_gt_i16_e32 vcc, 27, v12
	s_mov_b64 s[14:15], -1
	s_cbranch_vccnz .LBB142_74
; %bb.55:
	v_cmp_lt_i16_e32 vcc, 27, v12
	s_cbranch_vccz .LBB142_64
; %bb.56:
	v_mov_b32_e32 v0, 0x80
	v_cmp_lt_i16_sdwa s[14:15], s11, v0 src0_sel:BYTE_0 src1_sel:DWORD
	s_and_b64 vcc, exec, s[14:15]
	s_cbranch_vccnz .LBB142_58
; %bb.57:
	v_cmp_ne_u16_sdwa s[14:15], s11, v0 src0_sel:BYTE_0 src1_sel:DWORD
	s_mov_b64 s[18:19], 0
	s_mov_b32 s20, 0
	s_branch .LBB142_59
.LBB142_58:
	s_mov_b64 s[18:19], -1
	s_mov_b64 s[14:15], 0
                                        ; implicit-def: $sgpr20
.LBB142_59:
	s_andn2_b64 vcc, exec, s[18:19]
	s_cbranch_vccnz .LBB142_61
; %bb.60:
	v_mov_b32_e32 v0, 0
	s_mov_b32 s20, 0
	v_cmp_ne_u16_sdwa s[14:15], s11, v0 src0_sel:BYTE_0 src1_sel:DWORD
.LBB142_61:
	s_andn2_b64 vcc, exec, s[14:15]
	v_mov_b32_e32 v0, s20
	s_cbranch_vccnz .LBB142_63
; %bb.62:
	v_mov_b32_e32 v0, v15
.LBB142_63:
	global_store_dword v[10:11], v0, off
	s_mov_b64 s[14:15], 0
.LBB142_64:
	s_and_b64 vcc, exec, s[14:15]
	s_cbranch_vccz .LBB142_73
; %bb.65:
	v_mov_b32_e32 v0, 0x80
	v_cmp_lt_i16_sdwa s[14:15], s11, v0 src0_sel:BYTE_0 src1_sel:DWORD
	s_and_b64 vcc, exec, s[14:15]
	s_cbranch_vccnz .LBB142_67
; %bb.66:
	v_cmp_ne_u16_sdwa s[14:15], s11, v0 src0_sel:BYTE_0 src1_sel:DWORD
	s_mov_b64 s[18:19], 0
	s_mov_b32 s20, 0
	s_branch .LBB142_68
.LBB142_67:
	s_mov_b64 s[18:19], -1
	s_mov_b64 s[14:15], 0
                                        ; implicit-def: $sgpr20
.LBB142_68:
	s_andn2_b64 vcc, exec, s[18:19]
	s_cbranch_vccnz .LBB142_70
; %bb.69:
	v_mov_b32_e32 v0, 0
	s_mov_b32 s20, 0
	v_cmp_ne_u16_sdwa s[14:15], s11, v0 src0_sel:BYTE_0 src1_sel:DWORD
.LBB142_70:
	s_andn2_b64 vcc, exec, s[14:15]
	v_mov_b32_e32 v0, s20
	s_cbranch_vccnz .LBB142_72
; %bb.71:
	v_mov_b32_e32 v0, v15
.LBB142_72:
	global_store_short v[10:11], v0, off
.LBB142_73:
	s_mov_b64 s[14:15], 0
.LBB142_74:
	s_andn2_b64 vcc, exec, s[14:15]
	s_cbranch_vccnz .LBB142_76
; %bb.75:
	v_mov_b32_e32 v0, s11
	global_store_byte v[10:11], v0, off
.LBB142_76:
	s_mov_b64 s[14:15], -1
.LBB142_77:
	s_branch .LBB142_174
.LBB142_78:
	v_cmp_lt_i16_e32 vcc, 22, v12
	s_mov_b64 s[18:19], -1
	s_cbranch_vccz .LBB142_146
; %bb.79:
	v_cmp_gt_i16_e32 vcc, 24, v12
	s_mov_b64 s[14:15], -1
	s_cbranch_vccnz .LBB142_123
; %bb.80:
	v_cmp_lt_i16_e32 vcc, 24, v12
	s_cbranch_vccz .LBB142_100
; %bb.81:
	v_mov_b32_e32 v0, 0x80
	v_cmp_lt_i16_sdwa s[14:15], s11, v0 src0_sel:BYTE_0 src1_sel:DWORD
	s_and_b64 vcc, exec, s[14:15]
	s_cbranch_vccnz .LBB142_84
; %bb.82:
	v_cmp_eq_u16_sdwa s[14:15], s11, v0 src0_sel:BYTE_0 src1_sel:DWORD
	s_and_b64 vcc, exec, s[14:15]
	s_cbranch_vccz .LBB142_85
; %bb.83:
	s_mov_b64 s[14:15], 0
	s_mov_b32 s20, 0x7f800001
	s_branch .LBB142_86
.LBB142_84:
	s_mov_b64 s[14:15], 0
                                        ; implicit-def: $sgpr20
	s_branch .LBB142_87
.LBB142_85:
	s_mov_b64 s[14:15], -1
                                        ; implicit-def: $sgpr20
.LBB142_86:
	s_mov_b64 s[18:19], 0
.LBB142_87:
	s_and_b64 vcc, exec, s[18:19]
	s_cbranch_vccz .LBB142_90
; %bb.88:
	v_mov_b32_e32 v0, 0
	s_mov_b32 s20, 0
	v_cmp_ne_u16_sdwa s[14:15], s11, v0 src0_sel:BYTE_0 src1_sel:DWORD
	s_andn2_b64 vcc, exec, s[14:15]
	s_cbranch_vccz .LBB142_91
.LBB142_89:
	s_and_b32 s14, s20, 0x7fffffff
	s_cmp_gt_u32 s14, 0x477fffff
	v_mov_b32_e32 v1, 0x80
	s_cbranch_scc0 .LBB142_92
	s_branch .LBB142_99
.LBB142_90:
	s_andn2_b64 vcc, exec, s[14:15]
	s_cbranch_vccnz .LBB142_89
.LBB142_91:
	s_mov_b32 s20, s33
	s_and_b32 s14, s20, 0x7fffffff
	s_cmp_gt_u32 s14, 0x477fffff
	v_mov_b32_e32 v1, 0x80
	s_cbranch_scc1 .LBB142_99
.LBB142_92:
	s_cmp_gt_u32 s14, 0x37ffffff
	s_cbranch_scc0 .LBB142_94
; %bb.93:
	s_bfe_u32 s14, s20, 0x10015
	s_add_i32 s14, s20, s14
	s_add_i32 s14, s14, 0x88fffff
	s_lshr_b32 s21, s14, 21
	s_mov_b64 s[18:19], 0
	s_mov_b64 s[14:15], -1
	s_branch .LBB142_95
.LBB142_94:
	s_mov_b64 s[18:19], -1
	s_mov_b64 s[14:15], 0
                                        ; implicit-def: $sgpr21
.LBB142_95:
	s_andn2_b64 vcc, exec, s[18:19]
	v_mov_b32_e32 v0, s21
                                        ; implicit-def: $sgpr18
	s_cbranch_vccnz .LBB142_97
; %bb.96:
	v_mov_b32_e32 v0, 0x42800000
	v_add_f32_e64 v0, |s20|, v0
	v_and_b32_e32 v0, 0xff, v0
	s_mov_b32 s18, 0
	v_cmp_ne_u32_e64 s[14:15], 0, v0
.LBB142_97:
	s_andn2_b64 vcc, exec, s[14:15]
	v_mov_b32_e32 v1, s18
	s_cbranch_vccnz .LBB142_99
; %bb.98:
	s_lshr_b32 s14, s20, 24
	s_and_b32 s14, s14, 0x80
	v_or_b32_e32 v1, s14, v0
.LBB142_99:
	global_store_byte v[10:11], v1, off
	s_mov_b64 s[14:15], 0
.LBB142_100:
	s_and_b64 vcc, exec, s[14:15]
	s_cbranch_vccz .LBB142_122
; %bb.101:
	v_mov_b32_e32 v0, 0x80
	v_cmp_lt_i16_sdwa s[14:15], s11, v0 src0_sel:BYTE_0 src1_sel:DWORD
	s_and_b64 vcc, exec, s[14:15]
	s_cbranch_vccnz .LBB142_104
; %bb.102:
	v_cmp_eq_u16_sdwa s[14:15], s11, v0 src0_sel:BYTE_0 src1_sel:DWORD
	s_and_b64 vcc, exec, s[14:15]
	s_cbranch_vccz .LBB142_105
; %bb.103:
	s_mov_b64 s[14:15], 0
	s_mov_b32 s20, 0x7f800001
	s_branch .LBB142_106
.LBB142_104:
	s_mov_b64 s[18:19], -1
	s_mov_b64 s[14:15], 0
                                        ; implicit-def: $sgpr20
	s_branch .LBB142_107
.LBB142_105:
	s_mov_b64 s[14:15], -1
                                        ; implicit-def: $sgpr20
.LBB142_106:
	s_mov_b64 s[18:19], 0
.LBB142_107:
	s_and_b64 vcc, exec, s[18:19]
	s_cbranch_vccz .LBB142_112
; %bb.108:
	v_mov_b32_e32 v0, 0
	s_mov_b32 s20, 0
	v_cmp_ne_u16_sdwa s[14:15], s11, v0 src0_sel:BYTE_0 src1_sel:DWORD
	s_andn2_b64 vcc, exec, s[14:15]
	s_cbranch_vccz .LBB142_113
.LBB142_109:
	s_and_b32 s18, s20, 0x7fffffff
	s_cmp_lt_u32 s18, 0x43f00000
	s_cbranch_scc0 .LBB142_114
.LBB142_110:
	s_cmp_gt_u32 s18, 0x3c7fffff
	s_cbranch_scc0 .LBB142_115
; %bb.111:
	s_bfe_u32 s14, s20, 0x10014
	s_add_i32 s14, s20, s14
	s_add_i32 s14, s14, 0x407ffff
	s_lshr_b32 s15, s14, 20
	s_and_b32 s14, s14, 0xff00000
	s_cmp_lg_u32 s14, 0x7f00000
	s_cselect_b32 s19, s15, 0x7e
	s_mov_b64 s[14:15], 0
	s_branch .LBB142_116
.LBB142_112:
	s_andn2_b64 vcc, exec, s[14:15]
	s_cbranch_vccnz .LBB142_109
.LBB142_113:
	s_mov_b32 s20, s33
	s_and_b32 s18, s20, 0x7fffffff
	s_cmp_lt_u32 s18, 0x43f00000
	s_cbranch_scc1 .LBB142_110
.LBB142_114:
	s_mov_b64 s[14:15], -1
                                        ; implicit-def: $vgpr0
	s_branch .LBB142_119
.LBB142_115:
	s_mov_b64 s[14:15], -1
                                        ; implicit-def: $sgpr19
.LBB142_116:
	s_andn2_b64 vcc, exec, s[14:15]
	v_mov_b32_e32 v0, s19
	s_cbranch_vccnz .LBB142_118
; %bb.117:
	v_mov_b32_e32 v0, 0x46800000
	v_add_f32_e64 v0, |s20|, v0
.LBB142_118:
	s_mov_b64 s[14:15], 0
.LBB142_119:
	s_andn2_b64 vcc, exec, s[14:15]
	s_cbranch_vccnz .LBB142_121
; %bb.120:
	s_cmp_gt_u32 s18, 0x7f800000
	s_movk_i32 s14, 0x7f
	s_cselect_b32 s14, s14, 0x7e
	v_mov_b32_e32 v0, s14
.LBB142_121:
	s_lshr_b32 s14, s20, 24
	s_and_b32 s14, s14, 0x80
	v_or_b32_e32 v0, s14, v0
	global_store_byte v[10:11], v0, off
.LBB142_122:
	s_mov_b64 s[14:15], 0
.LBB142_123:
	s_andn2_b64 vcc, exec, s[14:15]
	s_cbranch_vccnz .LBB142_145
; %bb.124:
	v_mov_b32_e32 v0, 0x80
	v_cmp_lt_i16_sdwa s[14:15], s11, v0 src0_sel:BYTE_0 src1_sel:DWORD
	s_and_b64 vcc, exec, s[14:15]
	s_cbranch_vccnz .LBB142_127
; %bb.125:
	v_cmp_eq_u16_sdwa s[14:15], s11, v0 src0_sel:BYTE_0 src1_sel:DWORD
	s_and_b64 vcc, exec, s[14:15]
	s_cbranch_vccz .LBB142_128
; %bb.126:
	s_mov_b64 s[14:15], 0
	s_mov_b32 s20, 0x7f800001
	s_branch .LBB142_129
.LBB142_127:
	s_mov_b64 s[18:19], -1
	s_mov_b64 s[14:15], 0
                                        ; implicit-def: $sgpr20
	s_branch .LBB142_130
.LBB142_128:
	s_mov_b64 s[14:15], -1
                                        ; implicit-def: $sgpr20
.LBB142_129:
	s_mov_b64 s[18:19], 0
.LBB142_130:
	s_and_b64 vcc, exec, s[18:19]
	s_cbranch_vccz .LBB142_135
; %bb.131:
	v_mov_b32_e32 v0, 0
	s_mov_b32 s20, 0
	v_cmp_ne_u16_sdwa s[14:15], s11, v0 src0_sel:BYTE_0 src1_sel:DWORD
	s_andn2_b64 vcc, exec, s[14:15]
	s_cbranch_vccz .LBB142_136
.LBB142_132:
	s_and_b32 s18, s20, 0x7fffffff
	s_cmp_lt_u32 s18, 0x47800000
	s_cbranch_scc0 .LBB142_137
.LBB142_133:
	s_cmp_gt_u32 s18, 0x387fffff
	s_cbranch_scc0 .LBB142_138
; %bb.134:
	s_bfe_u32 s14, s20, 0x10015
	s_add_i32 s14, s20, s14
	s_add_i32 s14, s14, 0x80fffff
	s_lshr_b32 s19, s14, 21
	s_mov_b64 s[14:15], 0
	s_branch .LBB142_139
.LBB142_135:
	s_andn2_b64 vcc, exec, s[14:15]
	s_cbranch_vccnz .LBB142_132
.LBB142_136:
	s_mov_b32 s20, s33
	s_and_b32 s18, s20, 0x7fffffff
	s_cmp_lt_u32 s18, 0x47800000
	s_cbranch_scc1 .LBB142_133
.LBB142_137:
	s_mov_b64 s[14:15], -1
                                        ; implicit-def: $vgpr0
	s_branch .LBB142_142
.LBB142_138:
	s_mov_b64 s[14:15], -1
                                        ; implicit-def: $sgpr19
.LBB142_139:
	s_andn2_b64 vcc, exec, s[14:15]
	v_mov_b32_e32 v0, s19
	s_cbranch_vccnz .LBB142_141
; %bb.140:
	v_mov_b32_e32 v0, 0x43000000
	v_add_f32_e64 v0, |s20|, v0
.LBB142_141:
	s_mov_b64 s[14:15], 0
.LBB142_142:
	s_andn2_b64 vcc, exec, s[14:15]
	s_cbranch_vccnz .LBB142_144
; %bb.143:
	s_cmp_gt_u32 s18, 0x7f800000
	s_movk_i32 s14, 0x7f
	s_cselect_b32 s14, s14, 0x7c
	v_mov_b32_e32 v0, s14
.LBB142_144:
	s_lshr_b32 s14, s20, 24
	s_and_b32 s14, s14, 0x80
	v_or_b32_e32 v0, s14, v0
	global_store_byte v[10:11], v0, off
.LBB142_145:
	s_mov_b64 s[18:19], 0
	s_mov_b64 s[14:15], -1
.LBB142_146:
	s_andn2_b64 vcc, exec, s[18:19]
	s_cbranch_vccnz .LBB142_174
; %bb.147:
	v_cmp_lt_i16_e32 vcc, 14, v12
	s_mov_b64 s[18:19], -1
	s_cbranch_vccz .LBB142_161
; %bb.148:
	v_cmp_eq_u16_e32 vcc, 15, v12
	s_mov_b64 s[6:7], -1
	s_cbranch_vccz .LBB142_160
; %bb.149:
	v_mov_b32_e32 v0, 0x80
	v_cmp_lt_i16_sdwa s[6:7], s11, v0 src0_sel:BYTE_0 src1_sel:DWORD
	s_and_b64 vcc, exec, s[6:7]
	s_cbranch_vccnz .LBB142_152
; %bb.150:
	v_cmp_eq_u16_sdwa s[6:7], s11, v0 src0_sel:BYTE_0 src1_sel:DWORD
	s_and_b64 vcc, exec, s[6:7]
	s_cbranch_vccz .LBB142_153
; %bb.151:
	s_mov_b64 s[6:7], 0
	s_mov_b32 s18, 0x7f800001
	s_branch .LBB142_154
.LBB142_152:
	s_mov_b64 s[14:15], -1
	s_mov_b64 s[6:7], 0
                                        ; implicit-def: $sgpr18
	s_branch .LBB142_155
.LBB142_153:
	s_mov_b64 s[6:7], -1
                                        ; implicit-def: $sgpr18
.LBB142_154:
	s_mov_b64 s[14:15], 0
.LBB142_155:
	s_and_b64 vcc, exec, s[14:15]
	s_cbranch_vccz .LBB142_157
; %bb.156:
	v_mov_b32_e32 v0, 0
	s_mov_b32 s18, 0
	v_cmp_ne_u16_sdwa s[6:7], s11, v0 src0_sel:BYTE_0 src1_sel:DWORD
.LBB142_157:
	s_andn2_b64 vcc, exec, s[6:7]
	s_cbranch_vccnz .LBB142_159
; %bb.158:
	s_mov_b32 s18, s33
.LBB142_159:
	s_bfe_u32 s6, s18, 0x10010
	s_add_i32 s6, s18, s6
	s_addk_i32 s6, 0x7fff
	s_lshr_b32 s14, s6, 16
	v_cmp_o_f32_e64 s[6:7], s18, s18
	s_and_b64 s[6:7], s[6:7], exec
	s_cselect_b32 s6, s14, 0x7fc0
	v_mov_b32_e32 v0, s6
	global_store_short v[10:11], v0, off
	s_mov_b64 s[14:15], -1
	s_mov_b64 s[6:7], 0
.LBB142_160:
	s_mov_b64 s[18:19], 0
.LBB142_161:
	s_and_b64 vcc, exec, s[18:19]
	s_cbranch_vccz .LBB142_174
; %bb.162:
	v_cmp_eq_u16_e32 vcc, 11, v12
	s_mov_b64 s[6:7], -1
	s_cbranch_vccz .LBB142_174
; %bb.163:
	v_mov_b32_e32 v0, 0x80
	v_cmp_lt_i16_sdwa s[6:7], s11, v0 src0_sel:BYTE_0 src1_sel:DWORD
	s_and_b64 vcc, exec, s[6:7]
	s_cbranch_vccnz .LBB142_166
; %bb.164:
	v_cmp_eq_u16_sdwa s[6:7], s11, v0 src0_sel:BYTE_0 src1_sel:DWORD
	s_and_b64 vcc, exec, s[6:7]
	s_cbranch_vccz .LBB142_167
; %bb.165:
	s_mov_b64 s[14:15], 0
	s_mov_b64 s[6:7], -1
	s_branch .LBB142_168
.LBB142_166:
	s_mov_b64 s[18:19], -1
	s_mov_b64 s[14:15], 0
                                        ; implicit-def: $sgpr6_sgpr7
	s_branch .LBB142_169
.LBB142_167:
	s_mov_b64 s[14:15], -1
                                        ; implicit-def: $sgpr6_sgpr7
.LBB142_168:
	s_mov_b64 s[18:19], 0
.LBB142_169:
	s_and_b64 vcc, exec, s[18:19]
	s_cbranch_vccz .LBB142_171
; %bb.170:
	v_mov_b32_e32 v0, 0
	v_cmp_ne_u16_sdwa s[14:15], s11, v0 src0_sel:BYTE_0 src1_sel:DWORD
	s_mov_b64 s[6:7], 0
.LBB142_171:
	s_andn2_b64 vcc, exec, s[14:15]
	s_cbranch_vccnz .LBB142_173
; %bb.172:
	s_mov_b64 s[6:7], s[2:3]
.LBB142_173:
	v_cndmask_b32_e64 v0, 0, 1, s[6:7]
	global_store_byte v[10:11], v0, off
	s_mov_b64 s[14:15], -1
	s_mov_b64 s[6:7], 0
.LBB142_174:
	s_branch .LBB142_12
.LBB142_175:
	v_cmp_gt_i16_e32 vcc, 5, v12
	s_mov_b64 s[14:15], -1
	s_cbranch_vccnz .LBB142_256
; %bb.176:
	v_cmp_gt_i16_e32 vcc, 8, v12
	s_cbranch_vccnz .LBB142_216
; %bb.177:
	v_cmp_gt_i16_e32 vcc, 9, v12
	s_cbranch_vccnz .LBB142_203
; %bb.178:
	v_cmp_lt_i16_e32 vcc, 9, v12
	s_cbranch_vccz .LBB142_190
; %bb.179:
	v_mov_b32_e32 v0, 0x80
	v_cmp_lt_i16_sdwa s[14:15], s11, v0 src0_sel:BYTE_0 src1_sel:DWORD
	s_and_b64 vcc, exec, s[14:15]
	s_cbranch_vccnz .LBB142_182
; %bb.180:
	v_cmp_eq_u16_sdwa s[14:15], s11, v0 src0_sel:BYTE_0 src1_sel:DWORD
	s_and_b64 vcc, exec, s[14:15]
	s_cbranch_vccz .LBB142_183
; %bb.181:
	s_mov_b64 s[14:15], 0
	s_mov_b32 s19, 0x7ff80000
	s_brev_b32 s18, 4
	s_branch .LBB142_184
.LBB142_182:
	s_mov_b64 s[20:21], -1
	s_mov_b64 s[14:15], 0
                                        ; implicit-def: $sgpr18_sgpr19
	s_branch .LBB142_185
.LBB142_183:
	s_mov_b64 s[14:15], -1
                                        ; implicit-def: $sgpr18_sgpr19
.LBB142_184:
	s_mov_b64 s[20:21], 0
.LBB142_185:
	s_and_b64 vcc, exec, s[20:21]
	s_cbranch_vccz .LBB142_187
; %bb.186:
	v_mov_b32_e32 v0, 0
	v_cmp_ne_u16_sdwa s[14:15], s11, v0 src0_sel:BYTE_0 src1_sel:DWORD
	s_mov_b64 s[18:19], 0
.LBB142_187:
	s_andn2_b64 vcc, exec, s[14:15]
	v_pk_mov_b32 v[0:1], s[18:19], s[18:19] op_sel:[0,1]
	s_cbranch_vccnz .LBB142_189
; %bb.188:
	v_pk_mov_b32 v[0:1], v[6:7], v[6:7] op_sel:[0,1]
.LBB142_189:
	v_mov_b32_e32 v2, 0
	v_mov_b32_e32 v3, v2
	global_store_dwordx4 v[10:11], v[0:3], off
	s_mov_b64 s[14:15], 0
.LBB142_190:
	s_and_b64 vcc, exec, s[14:15]
	s_cbranch_vccz .LBB142_202
; %bb.191:
	v_mov_b32_e32 v0, 0x80
	v_cmp_lt_i16_sdwa s[14:15], s11, v0 src0_sel:BYTE_0 src1_sel:DWORD
	s_and_b64 vcc, exec, s[14:15]
	s_cbranch_vccnz .LBB142_194
; %bb.192:
	v_cmp_eq_u16_sdwa s[14:15], s11, v0 src0_sel:BYTE_0 src1_sel:DWORD
	s_and_b64 vcc, exec, s[14:15]
	s_cbranch_vccz .LBB142_195
; %bb.193:
	s_mov_b64 s[14:15], 0
	s_mov_b32 s20, 0x7f800001
	s_branch .LBB142_196
.LBB142_194:
	s_mov_b64 s[18:19], -1
	s_mov_b64 s[14:15], 0
                                        ; implicit-def: $sgpr20
	s_branch .LBB142_197
.LBB142_195:
	s_mov_b64 s[14:15], -1
                                        ; implicit-def: $sgpr20
.LBB142_196:
	s_mov_b64 s[18:19], 0
.LBB142_197:
	s_and_b64 vcc, exec, s[18:19]
	v_mov_b32_e32 v0, s20
	s_cbranch_vccz .LBB142_199
; %bb.198:
	s_mov_b32 s14, 0xffff
	v_mov_b32_e32 v0, s11
	v_mov_b32_e32 v1, 0
	v_and_b32_sdwa v0, s14, v0 dst_sel:DWORD dst_unused:UNUSED_PAD src0_sel:DWORD src1_sel:BYTE_0
	v_cmp_ne_u16_sdwa s[14:15], s11, v1 src0_sel:BYTE_0 src1_sel:DWORD
.LBB142_199:
	s_andn2_b64 vcc, exec, s[14:15]
	s_cbranch_vccnz .LBB142_201
; %bb.200:
	v_mov_b32_e32 v0, s33
.LBB142_201:
	v_mov_b32_e32 v1, 0
	global_store_dwordx2 v[10:11], v[0:1], off
.LBB142_202:
	s_mov_b64 s[14:15], 0
.LBB142_203:
	s_andn2_b64 vcc, exec, s[14:15]
	s_cbranch_vccnz .LBB142_215
; %bb.204:
	v_mov_b32_e32 v0, 0x80
	v_cmp_lt_i16_sdwa s[14:15], s11, v0 src0_sel:BYTE_0 src1_sel:DWORD
	s_and_b64 vcc, exec, s[14:15]
	s_cbranch_vccnz .LBB142_207
; %bb.205:
	v_cmp_eq_u16_sdwa s[14:15], s11, v0 src0_sel:BYTE_0 src1_sel:DWORD
	s_and_b64 vcc, exec, s[14:15]
	s_cbranch_vccz .LBB142_208
; %bb.206:
	s_mov_b64 s[14:15], 0
	s_movk_i32 s20, 0x7e00
	s_branch .LBB142_209
.LBB142_207:
	s_mov_b64 s[18:19], -1
	s_mov_b64 s[14:15], 0
                                        ; implicit-def: $sgpr20
	s_branch .LBB142_210
.LBB142_208:
	s_mov_b64 s[14:15], -1
                                        ; implicit-def: $sgpr20
.LBB142_209:
	s_mov_b64 s[18:19], 0
.LBB142_210:
	s_and_b64 vcc, exec, s[18:19]
	v_mov_b32_e32 v0, s20
	s_cbranch_vccz .LBB142_212
; %bb.211:
	s_mov_b32 s14, 0xffff
	v_mov_b32_e32 v0, s11
	v_mov_b32_e32 v1, 0
	v_and_b32_sdwa v0, s14, v0 dst_sel:DWORD dst_unused:UNUSED_PAD src0_sel:DWORD src1_sel:BYTE_0
	v_cmp_ne_u16_sdwa s[14:15], s11, v1 src0_sel:BYTE_0 src1_sel:DWORD
.LBB142_212:
	s_andn2_b64 vcc, exec, s[14:15]
	s_cbranch_vccnz .LBB142_214
; %bb.213:
	v_mov_b32_e32 v0, v14
.LBB142_214:
	global_store_dword v[10:11], v0, off
.LBB142_215:
	s_mov_b64 s[14:15], 0
.LBB142_216:
	s_andn2_b64 vcc, exec, s[14:15]
	s_cbranch_vccnz .LBB142_255
; %bb.217:
	v_cmp_gt_i16_e32 vcc, 6, v12
	s_mov_b64 s[14:15], -1
	s_cbranch_vccnz .LBB142_243
; %bb.218:
	v_cmp_lt_i16_e32 vcc, 6, v12
	s_cbranch_vccz .LBB142_230
; %bb.219:
	v_mov_b32_e32 v0, 0x80
	v_cmp_lt_i16_sdwa s[14:15], s11, v0 src0_sel:BYTE_0 src1_sel:DWORD
	s_and_b64 vcc, exec, s[14:15]
	s_cbranch_vccnz .LBB142_222
; %bb.220:
	v_cmp_eq_u16_sdwa s[14:15], s11, v0 src0_sel:BYTE_0 src1_sel:DWORD
	s_and_b64 vcc, exec, s[14:15]
	s_cbranch_vccz .LBB142_223
; %bb.221:
	s_mov_b64 s[14:15], 0
	s_mov_b32 s19, 0x7ff80000
	s_brev_b32 s18, 4
	s_branch .LBB142_224
.LBB142_222:
	s_mov_b64 s[20:21], -1
	s_mov_b64 s[14:15], 0
                                        ; implicit-def: $sgpr18_sgpr19
	s_branch .LBB142_225
.LBB142_223:
	s_mov_b64 s[14:15], -1
                                        ; implicit-def: $sgpr18_sgpr19
.LBB142_224:
	s_mov_b64 s[20:21], 0
.LBB142_225:
	s_and_b64 vcc, exec, s[20:21]
	s_cbranch_vccz .LBB142_227
; %bb.226:
	v_mov_b32_e32 v0, 0
	v_cmp_ne_u16_sdwa s[14:15], s11, v0 src0_sel:BYTE_0 src1_sel:DWORD
	s_mov_b64 s[18:19], 0
.LBB142_227:
	s_andn2_b64 vcc, exec, s[14:15]
	v_pk_mov_b32 v[0:1], s[18:19], s[18:19] op_sel:[0,1]
	s_cbranch_vccnz .LBB142_229
; %bb.228:
	v_pk_mov_b32 v[0:1], v[6:7], v[6:7] op_sel:[0,1]
.LBB142_229:
	global_store_dwordx2 v[10:11], v[0:1], off
	s_mov_b64 s[14:15], 0
.LBB142_230:
	s_and_b64 vcc, exec, s[14:15]
	s_cbranch_vccz .LBB142_242
; %bb.231:
	v_mov_b32_e32 v0, 0x80
	v_cmp_lt_i16_sdwa s[14:15], s11, v0 src0_sel:BYTE_0 src1_sel:DWORD
	s_and_b64 vcc, exec, s[14:15]
	s_cbranch_vccnz .LBB142_234
; %bb.232:
	v_cmp_eq_u16_sdwa s[14:15], s11, v0 src0_sel:BYTE_0 src1_sel:DWORD
	s_and_b64 vcc, exec, s[14:15]
	s_cbranch_vccz .LBB142_235
; %bb.233:
	s_mov_b64 s[14:15], 0
	s_mov_b32 s20, 0x7f800001
	s_branch .LBB142_236
.LBB142_234:
	s_mov_b64 s[18:19], -1
	s_mov_b64 s[14:15], 0
                                        ; implicit-def: $sgpr20
	s_branch .LBB142_237
.LBB142_235:
	s_mov_b64 s[14:15], -1
                                        ; implicit-def: $sgpr20
.LBB142_236:
	s_mov_b64 s[18:19], 0
.LBB142_237:
	s_and_b64 vcc, exec, s[18:19]
	s_cbranch_vccz .LBB142_239
; %bb.238:
	v_mov_b32_e32 v0, 0
	s_mov_b32 s20, 0
	v_cmp_ne_u16_sdwa s[14:15], s11, v0 src0_sel:BYTE_0 src1_sel:DWORD
.LBB142_239:
	s_andn2_b64 vcc, exec, s[14:15]
	s_cbranch_vccnz .LBB142_241
; %bb.240:
	s_mov_b32 s20, s33
.LBB142_241:
	v_mov_b32_e32 v0, s20
	global_store_dword v[10:11], v0, off
.LBB142_242:
	s_mov_b64 s[14:15], 0
.LBB142_243:
	s_andn2_b64 vcc, exec, s[14:15]
	s_cbranch_vccnz .LBB142_255
; %bb.244:
	v_mov_b32_e32 v0, 0xff
	v_and_b32_e32 v0, s11, v0
	s_movk_i32 s14, 0x80
	v_cmp_gt_i16_e32 vcc, s14, v0
	s_cbranch_vccnz .LBB142_247
; %bb.245:
	v_cmp_eq_u16_e32 vcc, s14, v0
	s_cbranch_vccz .LBB142_248
; %bb.246:
	s_mov_b64 s[14:15], 0
	s_movk_i32 s20, 0x7e00
	s_branch .LBB142_249
.LBB142_247:
	s_mov_b64 s[18:19], -1
	s_mov_b64 s[14:15], 0
                                        ; implicit-def: $sgpr20
	s_branch .LBB142_250
.LBB142_248:
	s_mov_b64 s[14:15], -1
                                        ; implicit-def: $sgpr20
.LBB142_249:
	s_mov_b64 s[18:19], 0
.LBB142_250:
	s_and_b64 vcc, exec, s[18:19]
	v_mov_b32_e32 v1, s20
	s_cbranch_vccz .LBB142_252
; %bb.251:
	v_cmp_ne_u16_e64 s[14:15], 0, v0
	v_mov_b32_e32 v1, v0
.LBB142_252:
	s_andn2_b64 vcc, exec, s[14:15]
	s_cbranch_vccnz .LBB142_254
; %bb.253:
	v_mov_b32_e32 v1, v14
.LBB142_254:
	global_store_short v[10:11], v1, off
.LBB142_255:
	s_mov_b64 s[14:15], 0
.LBB142_256:
	s_andn2_b64 vcc, exec, s[14:15]
	s_cbranch_vccnz .LBB142_307
; %bb.257:
	v_cmp_gt_i16_e32 vcc, 2, v12
	s_mov_b64 s[14:15], -1
	s_cbranch_vccnz .LBB142_288
; %bb.258:
	v_cmp_gt_i16_e32 vcc, 3, v12
	s_cbranch_vccnz .LBB142_278
; %bb.259:
	v_cmp_lt_i16_e32 vcc, 3, v12
	s_cbranch_vccz .LBB142_268
; %bb.260:
	v_mov_b32_e32 v0, 0x80
	v_cmp_lt_i16_sdwa s[14:15], s11, v0 src0_sel:BYTE_0 src1_sel:DWORD
	s_and_b64 vcc, exec, s[14:15]
	s_cbranch_vccnz .LBB142_262
; %bb.261:
	v_cmp_ne_u16_sdwa s[14:15], s11, v0 src0_sel:BYTE_0 src1_sel:DWORD
	s_mov_b64 s[20:21], 0
	s_mov_b64 s[18:19], 0
	s_branch .LBB142_263
.LBB142_262:
	s_mov_b64 s[20:21], -1
	s_mov_b64 s[14:15], 0
                                        ; implicit-def: $sgpr18_sgpr19
.LBB142_263:
	s_andn2_b64 vcc, exec, s[20:21]
	s_cbranch_vccnz .LBB142_265
; %bb.264:
	v_mov_b32_e32 v0, 0
	v_cmp_ne_u16_sdwa s[14:15], s11, v0 src0_sel:BYTE_0 src1_sel:DWORD
	s_mov_b64 s[18:19], 0
.LBB142_265:
	s_andn2_b64 vcc, exec, s[14:15]
	v_pk_mov_b32 v[0:1], s[18:19], s[18:19] op_sel:[0,1]
	s_cbranch_vccnz .LBB142_267
; %bb.266:
	v_pk_mov_b32 v[0:1], v[4:5], v[4:5] op_sel:[0,1]
.LBB142_267:
	global_store_dwordx2 v[10:11], v[0:1], off
	s_mov_b64 s[14:15], 0
.LBB142_268:
	s_and_b64 vcc, exec, s[14:15]
	s_cbranch_vccz .LBB142_277
; %bb.269:
	v_mov_b32_e32 v0, 0x80
	v_cmp_lt_i16_sdwa s[14:15], s11, v0 src0_sel:BYTE_0 src1_sel:DWORD
	s_and_b64 vcc, exec, s[14:15]
	s_cbranch_vccnz .LBB142_271
; %bb.270:
	v_cmp_ne_u16_sdwa s[14:15], s11, v0 src0_sel:BYTE_0 src1_sel:DWORD
	s_mov_b64 s[18:19], 0
	s_mov_b32 s20, 0
	s_branch .LBB142_272
.LBB142_271:
	s_mov_b64 s[18:19], -1
	s_mov_b64 s[14:15], 0
                                        ; implicit-def: $sgpr20
.LBB142_272:
	s_andn2_b64 vcc, exec, s[18:19]
	s_cbranch_vccnz .LBB142_274
; %bb.273:
	v_mov_b32_e32 v0, 0
	s_mov_b32 s20, 0
	v_cmp_ne_u16_sdwa s[14:15], s11, v0 src0_sel:BYTE_0 src1_sel:DWORD
.LBB142_274:
	s_andn2_b64 vcc, exec, s[14:15]
	v_mov_b32_e32 v0, s20
	s_cbranch_vccnz .LBB142_276
; %bb.275:
	v_mov_b32_e32 v0, v13
.LBB142_276:
	global_store_dword v[10:11], v0, off
.LBB142_277:
	s_mov_b64 s[14:15], 0
.LBB142_278:
	s_andn2_b64 vcc, exec, s[14:15]
	s_cbranch_vccnz .LBB142_287
; %bb.279:
	v_mov_b32_e32 v0, 0x80
	v_cmp_lt_i16_sdwa s[14:15], s11, v0 src0_sel:BYTE_0 src1_sel:DWORD
	s_and_b64 vcc, exec, s[14:15]
	s_cbranch_vccnz .LBB142_281
; %bb.280:
	v_cmp_ne_u16_sdwa s[14:15], s11, v0 src0_sel:BYTE_0 src1_sel:DWORD
	s_mov_b64 s[18:19], 0
	s_mov_b32 s20, 0
	s_branch .LBB142_282
.LBB142_281:
	s_mov_b64 s[18:19], -1
	s_mov_b64 s[14:15], 0
                                        ; implicit-def: $sgpr20
.LBB142_282:
	s_andn2_b64 vcc, exec, s[18:19]
	s_cbranch_vccnz .LBB142_284
; %bb.283:
	v_mov_b32_e32 v0, 0
	s_mov_b32 s20, 0
	v_cmp_ne_u16_sdwa s[14:15], s11, v0 src0_sel:BYTE_0 src1_sel:DWORD
.LBB142_284:
	s_andn2_b64 vcc, exec, s[14:15]
	v_mov_b32_e32 v0, s20
	s_cbranch_vccnz .LBB142_286
; %bb.285:
	v_mov_b32_e32 v0, v13
.LBB142_286:
	global_store_short v[10:11], v0, off
.LBB142_287:
	s_mov_b64 s[14:15], 0
.LBB142_288:
	s_andn2_b64 vcc, exec, s[14:15]
	s_cbranch_vccnz .LBB142_307
; %bb.289:
	v_cmp_lt_i16_e32 vcc, 0, v12
	s_mov_b64 s[14:15], -1
	s_cbranch_vccz .LBB142_298
; %bb.290:
	v_mov_b32_e32 v0, 0x80
	v_cmp_lt_i16_sdwa s[14:15], s11, v0 src0_sel:BYTE_0 src1_sel:DWORD
	s_and_b64 vcc, exec, s[14:15]
	s_cbranch_vccnz .LBB142_292
; %bb.291:
	v_cmp_ne_u16_sdwa s[14:15], s11, v0 src0_sel:BYTE_0 src1_sel:DWORD
	s_mov_b64 s[18:19], 0
	s_mov_b32 s20, 0
	s_branch .LBB142_293
.LBB142_292:
	s_mov_b64 s[18:19], -1
	s_mov_b64 s[14:15], 0
                                        ; implicit-def: $sgpr20
.LBB142_293:
	s_andn2_b64 vcc, exec, s[18:19]
	s_cbranch_vccnz .LBB142_295
; %bb.294:
	v_mov_b32_e32 v0, 0
	s_mov_b32 s20, 0
	v_cmp_ne_u16_sdwa s[14:15], s11, v0 src0_sel:BYTE_0 src1_sel:DWORD
.LBB142_295:
	s_andn2_b64 vcc, exec, s[14:15]
	v_mov_b32_e32 v0, s20
	s_cbranch_vccnz .LBB142_297
; %bb.296:
	v_mov_b32_e32 v0, v13
.LBB142_297:
	global_store_byte v[10:11], v0, off
	s_mov_b64 s[14:15], 0
.LBB142_298:
	s_and_b64 vcc, exec, s[14:15]
	s_cbranch_vccz .LBB142_307
; %bb.299:
	v_mov_b32_e32 v0, 0x80
	v_cmp_lt_i16_sdwa s[14:15], s11, v0 src0_sel:BYTE_0 src1_sel:DWORD
	s_and_b64 vcc, exec, s[14:15]
	s_cbranch_vccnz .LBB142_301
; %bb.300:
	v_cmp_ne_u16_sdwa s[14:15], s11, v0 src0_sel:BYTE_0 src1_sel:DWORD
	s_mov_b64 s[18:19], 0
	s_mov_b32 s20, 0
	s_branch .LBB142_302
.LBB142_301:
	s_mov_b64 s[18:19], -1
	s_mov_b64 s[14:15], 0
                                        ; implicit-def: $sgpr20
.LBB142_302:
	s_andn2_b64 vcc, exec, s[18:19]
	s_cbranch_vccnz .LBB142_304
; %bb.303:
	v_mov_b32_e32 v0, 0
	s_mov_b32 s20, 0
	v_cmp_ne_u16_sdwa s[14:15], s11, v0 src0_sel:BYTE_0 src1_sel:DWORD
.LBB142_304:
	s_andn2_b64 vcc, exec, s[14:15]
	v_mov_b32_e32 v0, s20
	s_cbranch_vccnz .LBB142_306
; %bb.305:
	v_mov_b32_e32 v0, v4
.LBB142_306:
	global_store_byte v[10:11], v0, off
.LBB142_307:
	s_branch .LBB142_13
.LBB142_308:
	s_mov_b64 s[14:15], 0
                                        ; implicit-def: $vgpr16
.LBB142_309:
	s_and_b64 s[6:7], s[6:7], exec
	s_orn2_b64 s[14:15], s[14:15], exec
.LBB142_310:
	s_or_b64 exec, exec, s[12:13]
	s_mov_b64 s[18:19], 0
                                        ; implicit-def: $vgpr10_vgpr11
	s_and_saveexec_b64 s[12:13], s[14:15]
	s_cbranch_execz .LBB142_321
; %bb.311:
	v_cmp_gt_i32_e32 vcc, s30, v16
	s_mov_b64 s[20:21], -1
	s_mov_b64 s[14:15], s[6:7]
	s_and_saveexec_b64 s[16:17], vcc
	s_cbranch_execz .LBB142_632
; %bb.312:
	v_mul_lo_u32 v0, v16, s10
	v_ashrrev_i32_e32 v1, 31, v0
	v_mov_b32_e32 v2, s9
	v_add_co_u32_e32 v10, vcc, s8, v0
	v_addc_co_u32_e32 v11, vcc, v2, v1, vcc
	v_cmp_gt_i16_e32 vcc, 11, v12
	s_cbranch_vccnz .LBB142_331
; %bb.313:
	v_cmp_lt_i16_e32 vcc, 25, v12
	s_cbranch_vccz .LBB142_335
; %bb.314:
	v_cmp_lt_i16_e32 vcc, 28, v12
	s_cbranch_vccz .LBB142_336
	;; [unrolled: 3-line block ×4, first 2 shown]
; %bb.317:
	v_cmp_eq_u16_e32 vcc, 46, v12
	s_mov_b64 s[20:21], 0
	s_mov_b64 s[14:15], -1
	s_cbranch_vccz .LBB142_347
; %bb.318:
	v_mov_b32_e32 v0, 0x80
	v_cmp_lt_i16_sdwa s[14:15], s11, v0 src0_sel:BYTE_0 src1_sel:DWORD
	s_and_b64 vcc, exec, s[14:15]
	s_cbranch_vccnz .LBB142_339
; %bb.319:
	v_cmp_eq_u16_sdwa s[14:15], s11, v0 src0_sel:BYTE_0 src1_sel:DWORD
	s_and_b64 vcc, exec, s[14:15]
	s_cbranch_vccz .LBB142_340
; %bb.320:
	s_mov_b64 s[14:15], 0
	s_mov_b32 s22, 0x7f800001
	s_branch .LBB142_342
.LBB142_321:
	s_or_b64 exec, exec, s[12:13]
	s_mov_b64 s[12:13], 0
	s_and_saveexec_b64 s[14:15], s[6:7]
	s_cbranch_execnz .LBB142_1107
.LBB142_322:
	s_or_b64 exec, exec, s[14:15]
	s_and_saveexec_b64 s[6:7], s[16:17]
	s_cbranch_execz .LBB142_1108
.LBB142_323:
	v_mov_b32_e32 v0, 0x80
	v_cmp_lt_i16_sdwa s[14:15], s11, v0 src0_sel:BYTE_0 src1_sel:DWORD
	s_and_b64 vcc, exec, s[14:15]
	s_cbranch_vccnz .LBB142_326
; %bb.324:
	v_cmp_eq_u16_sdwa s[14:15], s11, v0 src0_sel:BYTE_0 src1_sel:DWORD
	s_and_b64 vcc, exec, s[14:15]
	s_cbranch_vccz .LBB142_334
; %bb.325:
	s_mov_b64 s[16:17], 0
	s_mov_b64 s[14:15], -1
	s_branch .LBB142_328
.LBB142_326:
	s_mov_b64 s[16:17], 0
                                        ; implicit-def: $sgpr14_sgpr15
	s_cbranch_execz .LBB142_328
; %bb.327:
	v_mov_b32_e32 v0, 0
	v_cmp_ne_u16_sdwa s[16:17], s11, v0 src0_sel:BYTE_0 src1_sel:DWORD
	s_mov_b64 s[14:15], 0
.LBB142_328:
	s_andn2_b64 vcc, exec, s[16:17]
	s_cbranch_vccnz .LBB142_330
; %bb.329:
	s_mov_b64 s[14:15], s[2:3]
.LBB142_330:
	v_cndmask_b32_e64 v0, 0, 1, s[14:15]
	global_store_byte v[10:11], v0, off
	s_or_b64 exec, exec, s[6:7]
	s_and_saveexec_b64 s[2:3], s[18:19]
	s_xor_b64 s[2:3], exec, s[2:3]
	s_cbranch_execz .LBB142_1241
	s_branch .LBB142_1109
.LBB142_331:
	s_mov_b64 s[14:15], s[6:7]
	s_and_b64 vcc, exec, s[20:21]
	s_cbranch_vccnz .LBB142_497
.LBB142_332:
	s_andn2_b64 vcc, exec, s[18:19]
	s_cbranch_vccnz .LBB142_630
.LBB142_333:
	v_add_u32_e32 v16, 0x80, v16
	s_mov_b64 s[18:19], -1
	s_branch .LBB142_631
.LBB142_334:
	s_mov_b64 s[16:17], -1
                                        ; implicit-def: $sgpr14_sgpr15
	s_branch .LBB142_328
.LBB142_335:
	s_mov_b64 s[14:15], s[6:7]
	s_branch .LBB142_399
.LBB142_336:
	s_mov_b64 s[14:15], s[6:7]
	s_branch .LBB142_374
.LBB142_337:
	s_mov_b64 s[14:15], s[6:7]
	s_branch .LBB142_361
.LBB142_338:
	s_mov_b64 s[14:15], s[6:7]
	s_branch .LBB142_347
.LBB142_339:
	s_mov_b64 s[18:19], -1
	s_mov_b64 s[14:15], 0
	s_branch .LBB142_341
.LBB142_340:
	s_mov_b64 s[14:15], -1
.LBB142_341:
                                        ; implicit-def: $sgpr22
.LBB142_342:
	s_and_b64 vcc, exec, s[18:19]
	s_cbranch_vccz .LBB142_344
; %bb.343:
	v_mov_b32_e32 v0, 0
	s_mov_b32 s22, 0
	v_cmp_ne_u16_sdwa s[14:15], s11, v0 src0_sel:BYTE_0 src1_sel:DWORD
.LBB142_344:
	s_andn2_b64 vcc, exec, s[14:15]
	s_cbranch_vccnz .LBB142_346
; %bb.345:
	s_mov_b32 s22, s33
.LBB142_346:
	s_bfe_u32 s14, s22, 0x10010
	s_add_i32 s14, s22, s14
	s_addk_i32 s14, 0x7fff
	s_lshr_b32 s18, s14, 16
	v_cmp_o_f32_e64 s[14:15], s22, s22
	s_and_b64 s[14:15], s[14:15], exec
	s_cselect_b32 s14, s18, 0x7fc0
	v_mov_b32_e32 v0, s14
	global_store_dword v[10:11], v0, off
	s_mov_b64 s[18:19], -1
	s_mov_b64 s[14:15], 0
.LBB142_347:
	s_and_b64 vcc, exec, s[20:21]
	s_cbranch_vccz .LBB142_360
; %bb.348:
	v_cmp_eq_u16_e32 vcc, 44, v12
	s_mov_b64 s[14:15], -1
	s_cbranch_vccz .LBB142_360
; %bb.349:
	v_mov_b32_e32 v0, 0xff
	v_and_b32_e32 v0, s11, v0
	s_movk_i32 s14, 0x80
	v_cmp_gt_i16_e32 vcc, s14, v0
	v_readfirstlane_b32 s21, v0
	s_cbranch_vccnz .LBB142_352
; %bb.350:
	v_mov_b32_e32 v0, 0x80
	v_cmp_eq_u16_e32 vcc, s21, v0
	s_cbranch_vccz .LBB142_353
; %bb.351:
	s_mov_b64 s[14:15], 0
	s_mov_b32 s20, 0x7f800001
	s_branch .LBB142_354
.LBB142_352:
	s_mov_b64 s[18:19], -1
	s_mov_b64 s[14:15], 0
                                        ; implicit-def: $sgpr20
	s_branch .LBB142_355
.LBB142_353:
	s_mov_b64 s[14:15], -1
                                        ; implicit-def: $sgpr20
.LBB142_354:
	s_mov_b64 s[18:19], 0
.LBB142_355:
	s_and_b64 vcc, exec, s[18:19]
	s_cbranch_vccz .LBB142_365
; %bb.356:
	s_and_b32 s20, 0xffff, s21
	v_cmp_ne_u16_e64 s[14:15], s21, 0
	s_andn2_b64 vcc, exec, s[14:15]
	s_cbranch_vccz .LBB142_366
.LBB142_357:
	s_bfe_u32 s14, s20, 0x80017
	s_cmpk_eq_i32 s14, 0xff
	v_mov_b32_e32 v0, 0xff
	s_cbranch_scc1 .LBB142_359
.LBB142_358:
	s_lshr_b32 s21, s20, 23
	s_bitcmp1_b32 s20, 22
	s_cselect_b64 s[18:19], -1, 0
	s_and_b32 s15, s20, 0x3fffff
	s_or_b32 s14, s14, s15
	s_cmp_lg_u32 s14, 0
	s_cselect_b64 s[14:15], -1, 0
	s_and_b64 s[14:15], s[18:19], s[14:15]
	v_cndmask_b32_e64 v0, 0, 1, s[14:15]
	v_add_u32_e32 v0, s21, v0
.LBB142_359:
	s_mov_b64 s[18:19], -1
	s_mov_b64 s[14:15], 0
	global_store_byte v[10:11], v0, off
.LBB142_360:
	s_mov_b64 s[20:21], 0
.LBB142_361:
	s_and_b64 vcc, exec, s[20:21]
	s_cbranch_vccz .LBB142_373
; %bb.362:
	v_cmp_eq_u16_e32 vcc, 29, v12
	s_mov_b64 s[14:15], -1
	s_cbranch_vccz .LBB142_373
; %bb.363:
	v_mov_b32_e32 v0, 0x80
	v_cmp_lt_i16_sdwa s[14:15], s11, v0 src0_sel:BYTE_0 src1_sel:DWORD
	s_and_b64 vcc, exec, s[14:15]
	s_cbranch_vccnz .LBB142_367
; %bb.364:
	v_cmp_ne_u16_sdwa s[14:15], s11, v0 src0_sel:BYTE_0 src1_sel:DWORD
	s_mov_b64 s[20:21], 0
	s_mov_b64 s[18:19], 0
	s_branch .LBB142_368
.LBB142_365:
	s_andn2_b64 vcc, exec, s[14:15]
	s_cbranch_vccnz .LBB142_357
.LBB142_366:
	s_mov_b32 s20, s34
	s_bfe_u32 s14, s20, 0x80017
	s_cmpk_eq_i32 s14, 0xff
	v_mov_b32_e32 v0, 0xff
	s_cbranch_scc0 .LBB142_358
	s_branch .LBB142_359
.LBB142_367:
	s_mov_b64 s[20:21], -1
	s_mov_b64 s[14:15], 0
                                        ; implicit-def: $sgpr18_sgpr19
.LBB142_368:
	s_andn2_b64 vcc, exec, s[20:21]
	s_cbranch_vccnz .LBB142_370
; %bb.369:
	v_mov_b32_e32 v0, 0
	v_cmp_ne_u16_sdwa s[14:15], s11, v0 src0_sel:BYTE_0 src1_sel:DWORD
	s_mov_b64 s[18:19], 0
.LBB142_370:
	s_andn2_b64 vcc, exec, s[14:15]
	v_pk_mov_b32 v[0:1], s[18:19], s[18:19] op_sel:[0,1]
	s_cbranch_vccnz .LBB142_372
; %bb.371:
	v_pk_mov_b32 v[0:1], v[8:9], v[8:9] op_sel:[0,1]
.LBB142_372:
	global_store_dwordx2 v[10:11], v[0:1], off
	s_mov_b64 s[18:19], -1
	s_mov_b64 s[14:15], 0
.LBB142_373:
	s_mov_b64 s[20:21], 0
.LBB142_374:
	s_and_b64 vcc, exec, s[20:21]
	s_cbranch_vccz .LBB142_398
; %bb.375:
	v_cmp_gt_i16_e32 vcc, 27, v12
	s_mov_b64 s[18:19], -1
	s_cbranch_vccnz .LBB142_395
; %bb.376:
	v_cmp_lt_i16_e32 vcc, 27, v12
	s_cbranch_vccz .LBB142_385
; %bb.377:
	v_mov_b32_e32 v0, 0x80
	v_cmp_lt_i16_sdwa s[18:19], s11, v0 src0_sel:BYTE_0 src1_sel:DWORD
	s_and_b64 vcc, exec, s[18:19]
	s_cbranch_vccnz .LBB142_379
; %bb.378:
	v_cmp_ne_u16_sdwa s[18:19], s11, v0 src0_sel:BYTE_0 src1_sel:DWORD
	s_mov_b64 s[20:21], 0
	s_mov_b32 s22, 0
	s_branch .LBB142_380
.LBB142_379:
	s_mov_b64 s[20:21], -1
	s_mov_b64 s[18:19], 0
                                        ; implicit-def: $sgpr22
.LBB142_380:
	s_andn2_b64 vcc, exec, s[20:21]
	s_cbranch_vccnz .LBB142_382
; %bb.381:
	v_mov_b32_e32 v0, 0
	s_mov_b32 s22, 0
	v_cmp_ne_u16_sdwa s[18:19], s11, v0 src0_sel:BYTE_0 src1_sel:DWORD
.LBB142_382:
	s_andn2_b64 vcc, exec, s[18:19]
	v_mov_b32_e32 v0, s22
	s_cbranch_vccnz .LBB142_384
; %bb.383:
	v_mov_b32_e32 v0, v15
.LBB142_384:
	global_store_dword v[10:11], v0, off
	s_mov_b64 s[18:19], 0
.LBB142_385:
	s_and_b64 vcc, exec, s[18:19]
	s_cbranch_vccz .LBB142_394
; %bb.386:
	v_mov_b32_e32 v0, 0x80
	v_cmp_lt_i16_sdwa s[18:19], s11, v0 src0_sel:BYTE_0 src1_sel:DWORD
	s_and_b64 vcc, exec, s[18:19]
	s_cbranch_vccnz .LBB142_388
; %bb.387:
	v_cmp_ne_u16_sdwa s[18:19], s11, v0 src0_sel:BYTE_0 src1_sel:DWORD
	s_mov_b64 s[20:21], 0
	s_mov_b32 s22, 0
	s_branch .LBB142_389
.LBB142_388:
	s_mov_b64 s[20:21], -1
	s_mov_b64 s[18:19], 0
                                        ; implicit-def: $sgpr22
.LBB142_389:
	s_andn2_b64 vcc, exec, s[20:21]
	s_cbranch_vccnz .LBB142_391
; %bb.390:
	v_mov_b32_e32 v0, 0
	s_mov_b32 s22, 0
	v_cmp_ne_u16_sdwa s[18:19], s11, v0 src0_sel:BYTE_0 src1_sel:DWORD
.LBB142_391:
	s_andn2_b64 vcc, exec, s[18:19]
	v_mov_b32_e32 v0, s22
	s_cbranch_vccnz .LBB142_393
; %bb.392:
	v_mov_b32_e32 v0, v15
.LBB142_393:
	global_store_short v[10:11], v0, off
.LBB142_394:
	s_mov_b64 s[18:19], 0
.LBB142_395:
	s_andn2_b64 vcc, exec, s[18:19]
	s_cbranch_vccnz .LBB142_397
; %bb.396:
	v_mov_b32_e32 v0, s11
	global_store_byte v[10:11], v0, off
.LBB142_397:
	s_mov_b64 s[18:19], -1
.LBB142_398:
	s_mov_b64 s[20:21], 0
.LBB142_399:
	s_and_b64 vcc, exec, s[20:21]
	s_cbranch_vccz .LBB142_496
; %bb.400:
	v_cmp_lt_i16_e32 vcc, 22, v12
	s_mov_b64 s[20:21], -1
	s_cbranch_vccz .LBB142_468
; %bb.401:
	v_cmp_gt_i16_e32 vcc, 24, v12
	s_mov_b64 s[18:19], -1
	s_cbranch_vccnz .LBB142_445
; %bb.402:
	v_cmp_lt_i16_e32 vcc, 24, v12
	s_cbranch_vccz .LBB142_422
; %bb.403:
	v_mov_b32_e32 v0, 0x80
	v_cmp_lt_i16_sdwa s[18:19], s11, v0 src0_sel:BYTE_0 src1_sel:DWORD
	s_and_b64 vcc, exec, s[18:19]
	s_cbranch_vccnz .LBB142_406
; %bb.404:
	v_cmp_eq_u16_sdwa s[18:19], s11, v0 src0_sel:BYTE_0 src1_sel:DWORD
	s_and_b64 vcc, exec, s[18:19]
	s_cbranch_vccz .LBB142_407
; %bb.405:
	s_mov_b64 s[18:19], 0
	s_mov_b32 s22, 0x7f800001
	s_branch .LBB142_408
.LBB142_406:
	s_mov_b64 s[18:19], 0
                                        ; implicit-def: $sgpr22
	s_branch .LBB142_409
.LBB142_407:
	s_mov_b64 s[18:19], -1
                                        ; implicit-def: $sgpr22
.LBB142_408:
	s_mov_b64 s[20:21], 0
.LBB142_409:
	s_and_b64 vcc, exec, s[20:21]
	s_cbranch_vccz .LBB142_412
; %bb.410:
	v_mov_b32_e32 v0, 0
	s_mov_b32 s22, 0
	v_cmp_ne_u16_sdwa s[18:19], s11, v0 src0_sel:BYTE_0 src1_sel:DWORD
	s_andn2_b64 vcc, exec, s[18:19]
	s_cbranch_vccz .LBB142_413
.LBB142_411:
	s_and_b32 s18, s22, 0x7fffffff
	s_cmp_gt_u32 s18, 0x477fffff
	v_mov_b32_e32 v1, 0x80
	s_cbranch_scc0 .LBB142_414
	s_branch .LBB142_421
.LBB142_412:
	s_andn2_b64 vcc, exec, s[18:19]
	s_cbranch_vccnz .LBB142_411
.LBB142_413:
	s_mov_b32 s22, s33
	s_and_b32 s18, s22, 0x7fffffff
	s_cmp_gt_u32 s18, 0x477fffff
	v_mov_b32_e32 v1, 0x80
	s_cbranch_scc1 .LBB142_421
.LBB142_414:
	s_cmp_lt_u32 s18, 0x38000000
	s_cbranch_scc1 .LBB142_416
; %bb.415:
	s_bfe_u32 s18, s22, 0x10015
	s_add_i32 s18, s22, s18
	s_add_i32 s18, s18, 0x88fffff
	s_lshr_b32 s23, s18, 21
	s_mov_b64 s[20:21], 0
	s_mov_b64 s[18:19], -1
	s_branch .LBB142_417
.LBB142_416:
	s_mov_b64 s[20:21], -1
	s_mov_b64 s[18:19], 0
                                        ; implicit-def: $sgpr23
.LBB142_417:
	s_andn2_b64 vcc, exec, s[20:21]
	v_mov_b32_e32 v0, s23
                                        ; implicit-def: $sgpr20
	s_cbranch_vccnz .LBB142_419
; %bb.418:
	v_mov_b32_e32 v0, 0x42800000
	v_add_f32_e64 v0, |s22|, v0
	v_and_b32_e32 v0, 0xff, v0
	s_mov_b32 s20, 0
	v_cmp_ne_u32_e64 s[18:19], 0, v0
.LBB142_419:
	s_andn2_b64 vcc, exec, s[18:19]
	v_mov_b32_e32 v1, s20
	s_cbranch_vccnz .LBB142_421
; %bb.420:
	s_lshr_b32 s18, s22, 24
	s_and_b32 s18, s18, 0x80
	v_or_b32_e32 v1, s18, v0
.LBB142_421:
	global_store_byte v[10:11], v1, off
	s_mov_b64 s[18:19], 0
.LBB142_422:
	s_and_b64 vcc, exec, s[18:19]
	s_cbranch_vccz .LBB142_444
; %bb.423:
	v_mov_b32_e32 v0, 0x80
	v_cmp_lt_i16_sdwa s[18:19], s11, v0 src0_sel:BYTE_0 src1_sel:DWORD
	s_and_b64 vcc, exec, s[18:19]
	s_cbranch_vccnz .LBB142_426
; %bb.424:
	v_cmp_eq_u16_sdwa s[18:19], s11, v0 src0_sel:BYTE_0 src1_sel:DWORD
	s_and_b64 vcc, exec, s[18:19]
	s_cbranch_vccz .LBB142_427
; %bb.425:
	s_mov_b64 s[18:19], 0
	s_mov_b32 s22, 0x7f800001
	s_branch .LBB142_428
.LBB142_426:
	s_mov_b64 s[20:21], -1
	s_mov_b64 s[18:19], 0
                                        ; implicit-def: $sgpr22
	s_branch .LBB142_429
.LBB142_427:
	s_mov_b64 s[18:19], -1
                                        ; implicit-def: $sgpr22
.LBB142_428:
	s_mov_b64 s[20:21], 0
.LBB142_429:
	s_and_b64 vcc, exec, s[20:21]
	s_cbranch_vccz .LBB142_434
; %bb.430:
	v_mov_b32_e32 v0, 0
	s_mov_b32 s22, 0
	v_cmp_ne_u16_sdwa s[18:19], s11, v0 src0_sel:BYTE_0 src1_sel:DWORD
	s_andn2_b64 vcc, exec, s[18:19]
	s_cbranch_vccz .LBB142_435
.LBB142_431:
	s_and_b32 s20, s22, 0x7fffffff
	s_cmp_gt_u32 s20, 0x43efffff
	s_cbranch_scc1 .LBB142_436
.LBB142_432:
	s_cmp_lt_u32 s20, 0x3c800000
	s_cbranch_scc1 .LBB142_437
; %bb.433:
	s_bfe_u32 s18, s22, 0x10014
	s_add_i32 s18, s22, s18
	s_add_i32 s18, s18, 0x407ffff
	s_lshr_b32 s19, s18, 20
	s_and_b32 s18, s18, 0xff00000
	s_cmp_lg_u32 s18, 0x7f00000
	s_cselect_b32 s21, s19, 0x7e
	s_mov_b64 s[18:19], 0
	s_branch .LBB142_438
.LBB142_434:
	s_andn2_b64 vcc, exec, s[18:19]
	s_cbranch_vccnz .LBB142_431
.LBB142_435:
	s_mov_b32 s22, s33
	s_and_b32 s20, s22, 0x7fffffff
	s_cmp_gt_u32 s20, 0x43efffff
	s_cbranch_scc0 .LBB142_432
.LBB142_436:
	s_mov_b64 s[18:19], -1
                                        ; implicit-def: $vgpr0
	s_branch .LBB142_441
.LBB142_437:
	s_mov_b64 s[18:19], -1
                                        ; implicit-def: $sgpr21
.LBB142_438:
	s_andn2_b64 vcc, exec, s[18:19]
	v_mov_b32_e32 v0, s21
	s_cbranch_vccnz .LBB142_440
; %bb.439:
	v_mov_b32_e32 v0, 0x46800000
	v_add_f32_e64 v0, |s22|, v0
.LBB142_440:
	s_mov_b64 s[18:19], 0
.LBB142_441:
	s_andn2_b64 vcc, exec, s[18:19]
	s_cbranch_vccnz .LBB142_443
; %bb.442:
	s_cmp_gt_u32 s20, 0x7f800000
	s_movk_i32 s18, 0x7f
	s_cselect_b32 s18, s18, 0x7e
	v_mov_b32_e32 v0, s18
.LBB142_443:
	s_lshr_b32 s18, s22, 24
	s_and_b32 s18, s18, 0x80
	v_or_b32_e32 v0, s18, v0
	global_store_byte v[10:11], v0, off
.LBB142_444:
	s_mov_b64 s[18:19], 0
.LBB142_445:
	s_andn2_b64 vcc, exec, s[18:19]
	s_cbranch_vccnz .LBB142_467
; %bb.446:
	v_mov_b32_e32 v0, 0x80
	v_cmp_lt_i16_sdwa s[18:19], s11, v0 src0_sel:BYTE_0 src1_sel:DWORD
	s_and_b64 vcc, exec, s[18:19]
	s_cbranch_vccnz .LBB142_449
; %bb.447:
	v_cmp_eq_u16_sdwa s[18:19], s11, v0 src0_sel:BYTE_0 src1_sel:DWORD
	s_and_b64 vcc, exec, s[18:19]
	s_cbranch_vccz .LBB142_450
; %bb.448:
	s_mov_b64 s[18:19], 0
	s_mov_b32 s22, 0x7f800001
	s_branch .LBB142_451
.LBB142_449:
	s_mov_b64 s[20:21], -1
	s_mov_b64 s[18:19], 0
                                        ; implicit-def: $sgpr22
	s_branch .LBB142_452
.LBB142_450:
	s_mov_b64 s[18:19], -1
                                        ; implicit-def: $sgpr22
.LBB142_451:
	s_mov_b64 s[20:21], 0
.LBB142_452:
	s_and_b64 vcc, exec, s[20:21]
	s_cbranch_vccz .LBB142_457
; %bb.453:
	v_mov_b32_e32 v0, 0
	s_mov_b32 s22, 0
	v_cmp_ne_u16_sdwa s[18:19], s11, v0 src0_sel:BYTE_0 src1_sel:DWORD
	s_andn2_b64 vcc, exec, s[18:19]
	s_cbranch_vccz .LBB142_458
.LBB142_454:
	s_and_b32 s20, s22, 0x7fffffff
	s_cmp_gt_u32 s20, 0x477fffff
	s_cbranch_scc1 .LBB142_459
.LBB142_455:
	s_cmp_lt_u32 s20, 0x38800000
	s_cbranch_scc1 .LBB142_460
; %bb.456:
	s_bfe_u32 s18, s22, 0x10015
	s_add_i32 s18, s22, s18
	s_add_i32 s18, s18, 0x80fffff
	s_lshr_b32 s21, s18, 21
	s_mov_b64 s[18:19], 0
	s_branch .LBB142_461
.LBB142_457:
	s_andn2_b64 vcc, exec, s[18:19]
	s_cbranch_vccnz .LBB142_454
.LBB142_458:
	s_mov_b32 s22, s33
	s_and_b32 s20, s22, 0x7fffffff
	s_cmp_gt_u32 s20, 0x477fffff
	s_cbranch_scc0 .LBB142_455
.LBB142_459:
	s_mov_b64 s[18:19], -1
                                        ; implicit-def: $vgpr0
	s_branch .LBB142_464
.LBB142_460:
	s_mov_b64 s[18:19], -1
                                        ; implicit-def: $sgpr21
.LBB142_461:
	s_andn2_b64 vcc, exec, s[18:19]
	v_mov_b32_e32 v0, s21
	s_cbranch_vccnz .LBB142_463
; %bb.462:
	v_mov_b32_e32 v0, 0x43000000
	v_add_f32_e64 v0, |s22|, v0
.LBB142_463:
	s_mov_b64 s[18:19], 0
.LBB142_464:
	s_andn2_b64 vcc, exec, s[18:19]
	s_cbranch_vccnz .LBB142_466
; %bb.465:
	s_cmp_gt_u32 s20, 0x7f800000
	s_movk_i32 s18, 0x7f
	s_cselect_b32 s18, s18, 0x7c
	v_mov_b32_e32 v0, s18
.LBB142_466:
	s_lshr_b32 s18, s22, 24
	s_and_b32 s18, s18, 0x80
	v_or_b32_e32 v0, s18, v0
	global_store_byte v[10:11], v0, off
.LBB142_467:
	s_mov_b64 s[20:21], 0
	s_mov_b64 s[18:19], -1
.LBB142_468:
	s_andn2_b64 vcc, exec, s[20:21]
	s_cbranch_vccnz .LBB142_496
; %bb.469:
	v_cmp_lt_i16_e32 vcc, 14, v12
	s_mov_b64 s[20:21], -1
	s_cbranch_vccz .LBB142_483
; %bb.470:
	v_cmp_eq_u16_e32 vcc, 15, v12
	s_mov_b64 s[14:15], -1
	s_cbranch_vccz .LBB142_482
; %bb.471:
	v_mov_b32_e32 v0, 0x80
	v_cmp_lt_i16_sdwa s[14:15], s11, v0 src0_sel:BYTE_0 src1_sel:DWORD
	s_and_b64 vcc, exec, s[14:15]
	s_cbranch_vccnz .LBB142_474
; %bb.472:
	v_cmp_eq_u16_sdwa s[14:15], s11, v0 src0_sel:BYTE_0 src1_sel:DWORD
	s_and_b64 vcc, exec, s[14:15]
	s_cbranch_vccz .LBB142_475
; %bb.473:
	s_mov_b64 s[14:15], 0
	s_mov_b32 s20, 0x7f800001
	s_branch .LBB142_476
.LBB142_474:
	s_mov_b64 s[18:19], -1
	s_mov_b64 s[14:15], 0
                                        ; implicit-def: $sgpr20
	s_branch .LBB142_477
.LBB142_475:
	s_mov_b64 s[14:15], -1
                                        ; implicit-def: $sgpr20
.LBB142_476:
	s_mov_b64 s[18:19], 0
.LBB142_477:
	s_and_b64 vcc, exec, s[18:19]
	s_cbranch_vccz .LBB142_479
; %bb.478:
	v_mov_b32_e32 v0, 0
	s_mov_b32 s20, 0
	v_cmp_ne_u16_sdwa s[14:15], s11, v0 src0_sel:BYTE_0 src1_sel:DWORD
.LBB142_479:
	s_andn2_b64 vcc, exec, s[14:15]
	s_cbranch_vccnz .LBB142_481
; %bb.480:
	s_mov_b32 s20, s33
.LBB142_481:
	s_bfe_u32 s14, s20, 0x10010
	s_add_i32 s14, s20, s14
	s_addk_i32 s14, 0x7fff
	s_lshr_b32 s18, s14, 16
	v_cmp_o_f32_e64 s[14:15], s20, s20
	s_and_b64 s[14:15], s[14:15], exec
	s_cselect_b32 s14, s18, 0x7fc0
	v_mov_b32_e32 v0, s14
	global_store_short v[10:11], v0, off
	s_mov_b64 s[18:19], -1
	s_mov_b64 s[14:15], 0
.LBB142_482:
	s_mov_b64 s[20:21], 0
.LBB142_483:
	s_and_b64 vcc, exec, s[20:21]
	s_cbranch_vccz .LBB142_496
; %bb.484:
	v_cmp_eq_u16_e32 vcc, 11, v12
	s_mov_b64 s[14:15], -1
	s_cbranch_vccz .LBB142_496
; %bb.485:
	v_mov_b32_e32 v0, 0x80
	v_cmp_lt_i16_sdwa s[14:15], s11, v0 src0_sel:BYTE_0 src1_sel:DWORD
	s_and_b64 vcc, exec, s[14:15]
	s_cbranch_vccnz .LBB142_488
; %bb.486:
	v_cmp_eq_u16_sdwa s[14:15], s11, v0 src0_sel:BYTE_0 src1_sel:DWORD
	s_and_b64 vcc, exec, s[14:15]
	s_cbranch_vccz .LBB142_489
; %bb.487:
	s_mov_b64 s[18:19], 0
	s_mov_b64 s[14:15], -1
	s_branch .LBB142_490
.LBB142_488:
	s_mov_b64 s[20:21], -1
	s_mov_b64 s[18:19], 0
                                        ; implicit-def: $sgpr14_sgpr15
	s_branch .LBB142_491
.LBB142_489:
	s_mov_b64 s[18:19], -1
                                        ; implicit-def: $sgpr14_sgpr15
.LBB142_490:
	s_mov_b64 s[20:21], 0
.LBB142_491:
	s_and_b64 vcc, exec, s[20:21]
	s_cbranch_vccz .LBB142_493
; %bb.492:
	v_mov_b32_e32 v0, 0
	v_cmp_ne_u16_sdwa s[18:19], s11, v0 src0_sel:BYTE_0 src1_sel:DWORD
	s_mov_b64 s[14:15], 0
.LBB142_493:
	s_andn2_b64 vcc, exec, s[18:19]
	s_cbranch_vccnz .LBB142_495
; %bb.494:
	s_mov_b64 s[14:15], s[2:3]
.LBB142_495:
	v_cndmask_b32_e64 v0, 0, 1, s[14:15]
	global_store_byte v[10:11], v0, off
	s_mov_b64 s[18:19], -1
	s_mov_b64 s[14:15], 0
.LBB142_496:
	s_branch .LBB142_332
.LBB142_497:
	v_cmp_gt_i16_e32 vcc, 5, v12
	s_mov_b64 s[18:19], -1
	s_cbranch_vccnz .LBB142_578
; %bb.498:
	v_cmp_gt_i16_e32 vcc, 8, v12
	s_cbranch_vccnz .LBB142_538
; %bb.499:
	v_cmp_gt_i16_e32 vcc, 9, v12
	s_cbranch_vccnz .LBB142_525
; %bb.500:
	v_cmp_lt_i16_e32 vcc, 9, v12
	s_cbranch_vccz .LBB142_512
; %bb.501:
	v_mov_b32_e32 v0, 0x80
	v_cmp_lt_i16_sdwa s[18:19], s11, v0 src0_sel:BYTE_0 src1_sel:DWORD
	s_and_b64 vcc, exec, s[18:19]
	s_cbranch_vccnz .LBB142_504
; %bb.502:
	v_cmp_eq_u16_sdwa s[18:19], s11, v0 src0_sel:BYTE_0 src1_sel:DWORD
	s_and_b64 vcc, exec, s[18:19]
	s_cbranch_vccz .LBB142_505
; %bb.503:
	s_mov_b64 s[18:19], 0
	s_mov_b32 s21, 0x7ff80000
	s_brev_b32 s20, 4
	s_branch .LBB142_506
.LBB142_504:
	s_mov_b64 s[22:23], -1
	s_mov_b64 s[18:19], 0
                                        ; implicit-def: $sgpr20_sgpr21
	s_branch .LBB142_507
.LBB142_505:
	s_mov_b64 s[18:19], -1
                                        ; implicit-def: $sgpr20_sgpr21
.LBB142_506:
	s_mov_b64 s[22:23], 0
.LBB142_507:
	s_and_b64 vcc, exec, s[22:23]
	s_cbranch_vccz .LBB142_509
; %bb.508:
	v_mov_b32_e32 v0, 0
	v_cmp_ne_u16_sdwa s[18:19], s11, v0 src0_sel:BYTE_0 src1_sel:DWORD
	s_mov_b64 s[20:21], 0
.LBB142_509:
	s_andn2_b64 vcc, exec, s[18:19]
	v_pk_mov_b32 v[0:1], s[20:21], s[20:21] op_sel:[0,1]
	s_cbranch_vccnz .LBB142_511
; %bb.510:
	v_pk_mov_b32 v[0:1], v[6:7], v[6:7] op_sel:[0,1]
.LBB142_511:
	v_mov_b32_e32 v2, 0
	v_mov_b32_e32 v3, v2
	global_store_dwordx4 v[10:11], v[0:3], off
	s_mov_b64 s[18:19], 0
.LBB142_512:
	s_and_b64 vcc, exec, s[18:19]
	s_cbranch_vccz .LBB142_524
; %bb.513:
	v_mov_b32_e32 v0, 0x80
	v_cmp_lt_i16_sdwa s[18:19], s11, v0 src0_sel:BYTE_0 src1_sel:DWORD
	s_and_b64 vcc, exec, s[18:19]
	s_cbranch_vccnz .LBB142_516
; %bb.514:
	v_cmp_eq_u16_sdwa s[18:19], s11, v0 src0_sel:BYTE_0 src1_sel:DWORD
	s_and_b64 vcc, exec, s[18:19]
	s_cbranch_vccz .LBB142_517
; %bb.515:
	s_mov_b64 s[18:19], 0
	s_mov_b32 s22, 0x7f800001
	s_branch .LBB142_518
.LBB142_516:
	s_mov_b64 s[20:21], -1
	s_mov_b64 s[18:19], 0
                                        ; implicit-def: $sgpr22
	s_branch .LBB142_519
.LBB142_517:
	s_mov_b64 s[18:19], -1
                                        ; implicit-def: $sgpr22
.LBB142_518:
	s_mov_b64 s[20:21], 0
.LBB142_519:
	s_and_b64 vcc, exec, s[20:21]
	v_mov_b32_e32 v0, s22
	s_cbranch_vccz .LBB142_521
; %bb.520:
	s_mov_b32 s18, 0xffff
	v_mov_b32_e32 v0, s11
	v_mov_b32_e32 v1, 0
	v_and_b32_sdwa v0, s18, v0 dst_sel:DWORD dst_unused:UNUSED_PAD src0_sel:DWORD src1_sel:BYTE_0
	v_cmp_ne_u16_sdwa s[18:19], s11, v1 src0_sel:BYTE_0 src1_sel:DWORD
.LBB142_521:
	s_andn2_b64 vcc, exec, s[18:19]
	s_cbranch_vccnz .LBB142_523
; %bb.522:
	v_mov_b32_e32 v0, s33
.LBB142_523:
	v_mov_b32_e32 v1, 0
	global_store_dwordx2 v[10:11], v[0:1], off
.LBB142_524:
	s_mov_b64 s[18:19], 0
.LBB142_525:
	s_andn2_b64 vcc, exec, s[18:19]
	s_cbranch_vccnz .LBB142_537
; %bb.526:
	v_mov_b32_e32 v0, 0x80
	v_cmp_lt_i16_sdwa s[18:19], s11, v0 src0_sel:BYTE_0 src1_sel:DWORD
	s_and_b64 vcc, exec, s[18:19]
	s_cbranch_vccnz .LBB142_529
; %bb.527:
	v_cmp_eq_u16_sdwa s[18:19], s11, v0 src0_sel:BYTE_0 src1_sel:DWORD
	s_and_b64 vcc, exec, s[18:19]
	s_cbranch_vccz .LBB142_530
; %bb.528:
	s_mov_b64 s[18:19], 0
	s_movk_i32 s22, 0x7e00
	s_branch .LBB142_531
.LBB142_529:
	s_mov_b64 s[20:21], -1
	s_mov_b64 s[18:19], 0
                                        ; implicit-def: $sgpr22
	s_branch .LBB142_532
.LBB142_530:
	s_mov_b64 s[18:19], -1
                                        ; implicit-def: $sgpr22
.LBB142_531:
	s_mov_b64 s[20:21], 0
.LBB142_532:
	s_and_b64 vcc, exec, s[20:21]
	v_mov_b32_e32 v0, s22
	s_cbranch_vccz .LBB142_534
; %bb.533:
	s_mov_b32 s18, 0xffff
	v_mov_b32_e32 v0, s11
	v_mov_b32_e32 v1, 0
	v_and_b32_sdwa v0, s18, v0 dst_sel:DWORD dst_unused:UNUSED_PAD src0_sel:DWORD src1_sel:BYTE_0
	v_cmp_ne_u16_sdwa s[18:19], s11, v1 src0_sel:BYTE_0 src1_sel:DWORD
.LBB142_534:
	s_andn2_b64 vcc, exec, s[18:19]
	s_cbranch_vccnz .LBB142_536
; %bb.535:
	v_mov_b32_e32 v0, v14
.LBB142_536:
	global_store_dword v[10:11], v0, off
.LBB142_537:
	s_mov_b64 s[18:19], 0
.LBB142_538:
	s_andn2_b64 vcc, exec, s[18:19]
	s_cbranch_vccnz .LBB142_577
; %bb.539:
	v_cmp_gt_i16_e32 vcc, 6, v12
	s_mov_b64 s[18:19], -1
	s_cbranch_vccnz .LBB142_565
; %bb.540:
	v_cmp_lt_i16_e32 vcc, 6, v12
	s_cbranch_vccz .LBB142_552
; %bb.541:
	v_mov_b32_e32 v0, 0x80
	v_cmp_lt_i16_sdwa s[18:19], s11, v0 src0_sel:BYTE_0 src1_sel:DWORD
	s_and_b64 vcc, exec, s[18:19]
	s_cbranch_vccnz .LBB142_544
; %bb.542:
	v_cmp_eq_u16_sdwa s[18:19], s11, v0 src0_sel:BYTE_0 src1_sel:DWORD
	s_and_b64 vcc, exec, s[18:19]
	s_cbranch_vccz .LBB142_545
; %bb.543:
	s_mov_b64 s[18:19], 0
	s_mov_b32 s21, 0x7ff80000
	s_brev_b32 s20, 4
	s_branch .LBB142_546
.LBB142_544:
	s_mov_b64 s[22:23], -1
	s_mov_b64 s[18:19], 0
                                        ; implicit-def: $sgpr20_sgpr21
	s_branch .LBB142_547
.LBB142_545:
	s_mov_b64 s[18:19], -1
                                        ; implicit-def: $sgpr20_sgpr21
.LBB142_546:
	s_mov_b64 s[22:23], 0
.LBB142_547:
	s_and_b64 vcc, exec, s[22:23]
	s_cbranch_vccz .LBB142_549
; %bb.548:
	v_mov_b32_e32 v0, 0
	v_cmp_ne_u16_sdwa s[18:19], s11, v0 src0_sel:BYTE_0 src1_sel:DWORD
	s_mov_b64 s[20:21], 0
.LBB142_549:
	s_andn2_b64 vcc, exec, s[18:19]
	v_pk_mov_b32 v[0:1], s[20:21], s[20:21] op_sel:[0,1]
	s_cbranch_vccnz .LBB142_551
; %bb.550:
	v_pk_mov_b32 v[0:1], v[6:7], v[6:7] op_sel:[0,1]
.LBB142_551:
	global_store_dwordx2 v[10:11], v[0:1], off
	s_mov_b64 s[18:19], 0
.LBB142_552:
	s_and_b64 vcc, exec, s[18:19]
	s_cbranch_vccz .LBB142_564
; %bb.553:
	v_mov_b32_e32 v0, 0x80
	v_cmp_lt_i16_sdwa s[18:19], s11, v0 src0_sel:BYTE_0 src1_sel:DWORD
	s_and_b64 vcc, exec, s[18:19]
	s_cbranch_vccnz .LBB142_556
; %bb.554:
	v_cmp_eq_u16_sdwa s[18:19], s11, v0 src0_sel:BYTE_0 src1_sel:DWORD
	s_and_b64 vcc, exec, s[18:19]
	s_cbranch_vccz .LBB142_557
; %bb.555:
	s_mov_b64 s[18:19], 0
	s_mov_b32 s22, 0x7f800001
	s_branch .LBB142_558
.LBB142_556:
	s_mov_b64 s[20:21], -1
	s_mov_b64 s[18:19], 0
                                        ; implicit-def: $sgpr22
	s_branch .LBB142_559
.LBB142_557:
	s_mov_b64 s[18:19], -1
                                        ; implicit-def: $sgpr22
.LBB142_558:
	s_mov_b64 s[20:21], 0
.LBB142_559:
	s_and_b64 vcc, exec, s[20:21]
	s_cbranch_vccz .LBB142_561
; %bb.560:
	v_mov_b32_e32 v0, 0
	s_mov_b32 s22, 0
	v_cmp_ne_u16_sdwa s[18:19], s11, v0 src0_sel:BYTE_0 src1_sel:DWORD
.LBB142_561:
	s_andn2_b64 vcc, exec, s[18:19]
	s_cbranch_vccnz .LBB142_563
; %bb.562:
	s_mov_b32 s22, s33
.LBB142_563:
	v_mov_b32_e32 v0, s22
	global_store_dword v[10:11], v0, off
.LBB142_564:
	s_mov_b64 s[18:19], 0
.LBB142_565:
	s_andn2_b64 vcc, exec, s[18:19]
	s_cbranch_vccnz .LBB142_577
; %bb.566:
	v_mov_b32_e32 v0, 0xff
	v_and_b32_e32 v0, s11, v0
	s_movk_i32 s18, 0x80
	v_cmp_gt_i16_e32 vcc, s18, v0
	s_cbranch_vccnz .LBB142_569
; %bb.567:
	v_cmp_eq_u16_e32 vcc, s18, v0
	s_cbranch_vccz .LBB142_570
; %bb.568:
	s_mov_b64 s[18:19], 0
	s_movk_i32 s22, 0x7e00
	s_branch .LBB142_571
.LBB142_569:
	s_mov_b64 s[20:21], -1
	s_mov_b64 s[18:19], 0
                                        ; implicit-def: $sgpr22
	s_branch .LBB142_572
.LBB142_570:
	s_mov_b64 s[18:19], -1
                                        ; implicit-def: $sgpr22
.LBB142_571:
	s_mov_b64 s[20:21], 0
.LBB142_572:
	s_and_b64 vcc, exec, s[20:21]
	v_mov_b32_e32 v1, s22
	s_cbranch_vccz .LBB142_574
; %bb.573:
	v_cmp_ne_u16_e64 s[18:19], 0, v0
	v_mov_b32_e32 v1, v0
.LBB142_574:
	s_andn2_b64 vcc, exec, s[18:19]
	s_cbranch_vccnz .LBB142_576
; %bb.575:
	v_mov_b32_e32 v1, v14
.LBB142_576:
	global_store_short v[10:11], v1, off
.LBB142_577:
	s_mov_b64 s[18:19], 0
.LBB142_578:
	s_andn2_b64 vcc, exec, s[18:19]
	s_cbranch_vccnz .LBB142_629
; %bb.579:
	v_cmp_gt_i16_e32 vcc, 2, v12
	s_mov_b64 s[18:19], -1
	s_cbranch_vccnz .LBB142_610
; %bb.580:
	v_cmp_gt_i16_e32 vcc, 3, v12
	s_cbranch_vccnz .LBB142_600
; %bb.581:
	v_cmp_lt_i16_e32 vcc, 3, v12
	s_cbranch_vccz .LBB142_590
; %bb.582:
	v_mov_b32_e32 v0, 0x80
	v_cmp_lt_i16_sdwa s[18:19], s11, v0 src0_sel:BYTE_0 src1_sel:DWORD
	s_and_b64 vcc, exec, s[18:19]
	s_cbranch_vccnz .LBB142_584
; %bb.583:
	v_cmp_ne_u16_sdwa s[18:19], s11, v0 src0_sel:BYTE_0 src1_sel:DWORD
	s_mov_b64 s[22:23], 0
	s_mov_b64 s[20:21], 0
	s_branch .LBB142_585
.LBB142_584:
	s_mov_b64 s[22:23], -1
	s_mov_b64 s[18:19], 0
                                        ; implicit-def: $sgpr20_sgpr21
.LBB142_585:
	s_andn2_b64 vcc, exec, s[22:23]
	s_cbranch_vccnz .LBB142_587
; %bb.586:
	v_mov_b32_e32 v0, 0
	v_cmp_ne_u16_sdwa s[18:19], s11, v0 src0_sel:BYTE_0 src1_sel:DWORD
	s_mov_b64 s[20:21], 0
.LBB142_587:
	s_andn2_b64 vcc, exec, s[18:19]
	v_pk_mov_b32 v[0:1], s[20:21], s[20:21] op_sel:[0,1]
	s_cbranch_vccnz .LBB142_589
; %bb.588:
	v_pk_mov_b32 v[0:1], v[4:5], v[4:5] op_sel:[0,1]
.LBB142_589:
	global_store_dwordx2 v[10:11], v[0:1], off
	s_mov_b64 s[18:19], 0
.LBB142_590:
	s_and_b64 vcc, exec, s[18:19]
	s_cbranch_vccz .LBB142_599
; %bb.591:
	v_mov_b32_e32 v0, 0x80
	v_cmp_lt_i16_sdwa s[18:19], s11, v0 src0_sel:BYTE_0 src1_sel:DWORD
	s_and_b64 vcc, exec, s[18:19]
	s_cbranch_vccnz .LBB142_593
; %bb.592:
	v_cmp_ne_u16_sdwa s[18:19], s11, v0 src0_sel:BYTE_0 src1_sel:DWORD
	s_mov_b64 s[20:21], 0
	s_mov_b32 s22, 0
	s_branch .LBB142_594
.LBB142_593:
	s_mov_b64 s[20:21], -1
	s_mov_b64 s[18:19], 0
                                        ; implicit-def: $sgpr22
.LBB142_594:
	s_andn2_b64 vcc, exec, s[20:21]
	s_cbranch_vccnz .LBB142_596
; %bb.595:
	v_mov_b32_e32 v0, 0
	s_mov_b32 s22, 0
	v_cmp_ne_u16_sdwa s[18:19], s11, v0 src0_sel:BYTE_0 src1_sel:DWORD
.LBB142_596:
	s_andn2_b64 vcc, exec, s[18:19]
	v_mov_b32_e32 v0, s22
	s_cbranch_vccnz .LBB142_598
; %bb.597:
	v_mov_b32_e32 v0, v13
.LBB142_598:
	global_store_dword v[10:11], v0, off
.LBB142_599:
	s_mov_b64 s[18:19], 0
.LBB142_600:
	s_andn2_b64 vcc, exec, s[18:19]
	s_cbranch_vccnz .LBB142_609
; %bb.601:
	v_mov_b32_e32 v0, 0x80
	v_cmp_lt_i16_sdwa s[18:19], s11, v0 src0_sel:BYTE_0 src1_sel:DWORD
	s_and_b64 vcc, exec, s[18:19]
	s_cbranch_vccnz .LBB142_603
; %bb.602:
	v_cmp_ne_u16_sdwa s[18:19], s11, v0 src0_sel:BYTE_0 src1_sel:DWORD
	s_mov_b64 s[20:21], 0
	s_mov_b32 s22, 0
	s_branch .LBB142_604
.LBB142_603:
	s_mov_b64 s[20:21], -1
	s_mov_b64 s[18:19], 0
                                        ; implicit-def: $sgpr22
.LBB142_604:
	s_andn2_b64 vcc, exec, s[20:21]
	s_cbranch_vccnz .LBB142_606
; %bb.605:
	v_mov_b32_e32 v0, 0
	s_mov_b32 s22, 0
	v_cmp_ne_u16_sdwa s[18:19], s11, v0 src0_sel:BYTE_0 src1_sel:DWORD
.LBB142_606:
	s_andn2_b64 vcc, exec, s[18:19]
	v_mov_b32_e32 v0, s22
	s_cbranch_vccnz .LBB142_608
; %bb.607:
	v_mov_b32_e32 v0, v13
.LBB142_608:
	global_store_short v[10:11], v0, off
.LBB142_609:
	s_mov_b64 s[18:19], 0
.LBB142_610:
	s_andn2_b64 vcc, exec, s[18:19]
	s_cbranch_vccnz .LBB142_629
; %bb.611:
	v_cmp_lt_i16_e32 vcc, 0, v12
	s_mov_b64 s[18:19], -1
	s_cbranch_vccz .LBB142_620
; %bb.612:
	v_mov_b32_e32 v0, 0x80
	v_cmp_lt_i16_sdwa s[18:19], s11, v0 src0_sel:BYTE_0 src1_sel:DWORD
	s_and_b64 vcc, exec, s[18:19]
	s_cbranch_vccnz .LBB142_614
; %bb.613:
	v_cmp_ne_u16_sdwa s[18:19], s11, v0 src0_sel:BYTE_0 src1_sel:DWORD
	s_mov_b64 s[20:21], 0
	s_mov_b32 s22, 0
	s_branch .LBB142_615
.LBB142_614:
	s_mov_b64 s[20:21], -1
	s_mov_b64 s[18:19], 0
                                        ; implicit-def: $sgpr22
.LBB142_615:
	s_andn2_b64 vcc, exec, s[20:21]
	s_cbranch_vccnz .LBB142_617
; %bb.616:
	v_mov_b32_e32 v0, 0
	s_mov_b32 s22, 0
	v_cmp_ne_u16_sdwa s[18:19], s11, v0 src0_sel:BYTE_0 src1_sel:DWORD
.LBB142_617:
	s_andn2_b64 vcc, exec, s[18:19]
	v_mov_b32_e32 v0, s22
	s_cbranch_vccnz .LBB142_619
; %bb.618:
	v_mov_b32_e32 v0, v13
.LBB142_619:
	global_store_byte v[10:11], v0, off
	s_mov_b64 s[18:19], 0
.LBB142_620:
	s_and_b64 vcc, exec, s[18:19]
	s_cbranch_vccz .LBB142_629
; %bb.621:
	v_mov_b32_e32 v0, 0x80
	v_cmp_lt_i16_sdwa s[18:19], s11, v0 src0_sel:BYTE_0 src1_sel:DWORD
	s_and_b64 vcc, exec, s[18:19]
	s_cbranch_vccnz .LBB142_623
; %bb.622:
	v_cmp_ne_u16_sdwa s[18:19], s11, v0 src0_sel:BYTE_0 src1_sel:DWORD
	s_mov_b64 s[20:21], 0
	s_mov_b32 s22, 0
	s_branch .LBB142_624
.LBB142_623:
	s_mov_b64 s[20:21], -1
	s_mov_b64 s[18:19], 0
                                        ; implicit-def: $sgpr22
.LBB142_624:
	s_andn2_b64 vcc, exec, s[20:21]
	s_cbranch_vccnz .LBB142_626
; %bb.625:
	v_mov_b32_e32 v0, 0
	s_mov_b32 s22, 0
	v_cmp_ne_u16_sdwa s[18:19], s11, v0 src0_sel:BYTE_0 src1_sel:DWORD
.LBB142_626:
	s_andn2_b64 vcc, exec, s[18:19]
	v_mov_b32_e32 v0, s22
	s_cbranch_vccnz .LBB142_628
; %bb.627:
	v_mov_b32_e32 v0, v4
.LBB142_628:
	global_store_byte v[10:11], v0, off
.LBB142_629:
	s_branch .LBB142_333
.LBB142_630:
	s_mov_b64 s[18:19], 0
                                        ; implicit-def: $vgpr16
.LBB142_631:
	s_andn2_b64 s[20:21], s[6:7], exec
	s_and_b64 s[14:15], s[14:15], exec
	s_or_b64 s[14:15], s[20:21], s[14:15]
	s_orn2_b64 s[20:21], s[18:19], exec
.LBB142_632:
	s_or_b64 exec, exec, s[16:17]
	s_mov_b64 s[22:23], 0
	s_mov_b64 s[18:19], 0
                                        ; implicit-def: $vgpr10_vgpr11
	s_and_saveexec_b64 s[16:17], s[20:21]
	s_cbranch_execz .LBB142_1106
; %bb.633:
	v_cmp_gt_i32_e32 vcc, s30, v16
	s_mov_b64 s[24:25], -1
	s_mov_b64 s[20:21], s[14:15]
	s_and_saveexec_b64 s[18:19], vcc
	s_cbranch_execz .LBB142_944
; %bb.634:
	v_mul_lo_u32 v0, v16, s10
	v_ashrrev_i32_e32 v1, 31, v0
	v_mov_b32_e32 v2, s9
	v_add_co_u32_e32 v10, vcc, s8, v0
	v_addc_co_u32_e32 v11, vcc, v2, v1, vcc
	v_cmp_gt_i16_e32 vcc, 11, v12
	s_cbranch_vccnz .LBB142_643
; %bb.635:
	v_cmp_lt_i16_e32 vcc, 25, v12
	s_cbranch_vccz .LBB142_644
; %bb.636:
	v_cmp_lt_i16_e32 vcc, 28, v12
	s_cbranch_vccz .LBB142_645
	;; [unrolled: 3-line block ×4, first 2 shown]
; %bb.639:
	v_cmp_eq_u16_e32 vcc, 46, v12
	s_mov_b64 s[24:25], 0
	s_mov_b64 s[20:21], -1
	s_cbranch_vccz .LBB142_656
; %bb.640:
	v_mov_b32_e32 v0, 0x80
	v_cmp_lt_i16_sdwa s[20:21], s11, v0 src0_sel:BYTE_0 src1_sel:DWORD
	s_and_b64 vcc, exec, s[20:21]
	s_cbranch_vccnz .LBB142_648
; %bb.641:
	v_cmp_eq_u16_sdwa s[20:21], s11, v0 src0_sel:BYTE_0 src1_sel:DWORD
	s_and_b64 vcc, exec, s[20:21]
	s_cbranch_vccz .LBB142_649
; %bb.642:
	s_mov_b64 s[20:21], 0
	s_mov_b32 s26, 0x7f800001
	s_branch .LBB142_651
.LBB142_643:
	s_mov_b64 s[20:21], s[14:15]
	s_branch .LBB142_806
.LBB142_644:
	s_mov_b64 s[20:21], s[14:15]
	s_branch .LBB142_708
.LBB142_645:
	s_mov_b64 s[20:21], s[14:15]
	s_branch .LBB142_683
.LBB142_646:
	s_mov_b64 s[20:21], s[14:15]
	s_branch .LBB142_670
.LBB142_647:
	s_mov_b64 s[20:21], s[14:15]
	s_branch .LBB142_656
.LBB142_648:
	s_mov_b64 s[22:23], -1
	s_mov_b64 s[20:21], 0
	s_branch .LBB142_650
.LBB142_649:
	s_mov_b64 s[20:21], -1
.LBB142_650:
                                        ; implicit-def: $sgpr26
.LBB142_651:
	s_and_b64 vcc, exec, s[22:23]
	s_cbranch_vccz .LBB142_653
; %bb.652:
	v_mov_b32_e32 v0, 0
	s_mov_b32 s26, 0
	v_cmp_ne_u16_sdwa s[20:21], s11, v0 src0_sel:BYTE_0 src1_sel:DWORD
.LBB142_653:
	s_andn2_b64 vcc, exec, s[20:21]
	s_cbranch_vccnz .LBB142_655
; %bb.654:
	s_mov_b32 s26, s33
.LBB142_655:
	s_bfe_u32 s20, s26, 0x10010
	s_add_i32 s20, s26, s20
	s_addk_i32 s20, 0x7fff
	s_lshr_b32 s22, s20, 16
	v_cmp_o_f32_e64 s[20:21], s26, s26
	s_and_b64 s[20:21], s[20:21], exec
	s_cselect_b32 s20, s22, 0x7fc0
	v_mov_b32_e32 v0, s20
	global_store_dword v[10:11], v0, off
	s_mov_b64 s[22:23], -1
	s_mov_b64 s[20:21], 0
.LBB142_656:
	s_and_b64 vcc, exec, s[24:25]
	s_cbranch_vccz .LBB142_669
; %bb.657:
	v_cmp_eq_u16_e32 vcc, 44, v12
	s_mov_b64 s[20:21], -1
	s_cbranch_vccz .LBB142_669
; %bb.658:
	v_mov_b32_e32 v0, 0xff
	v_and_b32_e32 v0, s11, v0
	s_movk_i32 s20, 0x80
	v_cmp_gt_i16_e32 vcc, s20, v0
	v_readfirstlane_b32 s25, v0
	s_cbranch_vccnz .LBB142_661
; %bb.659:
	v_mov_b32_e32 v0, 0x80
	v_cmp_eq_u16_e32 vcc, s25, v0
	s_cbranch_vccz .LBB142_662
; %bb.660:
	s_mov_b64 s[20:21], 0
	s_mov_b32 s24, 0x7f800001
	s_branch .LBB142_663
.LBB142_661:
	s_mov_b64 s[22:23], -1
	s_mov_b64 s[20:21], 0
                                        ; implicit-def: $sgpr24
	s_branch .LBB142_664
.LBB142_662:
	s_mov_b64 s[20:21], -1
                                        ; implicit-def: $sgpr24
.LBB142_663:
	s_mov_b64 s[22:23], 0
.LBB142_664:
	s_and_b64 vcc, exec, s[22:23]
	s_cbranch_vccz .LBB142_674
; %bb.665:
	s_and_b32 s24, 0xffff, s25
	v_cmp_ne_u16_e64 s[20:21], s25, 0
	s_andn2_b64 vcc, exec, s[20:21]
	s_cbranch_vccz .LBB142_675
.LBB142_666:
	s_bfe_u32 s20, s24, 0x80017
	s_cmpk_eq_i32 s20, 0xff
	v_mov_b32_e32 v0, 0xff
	s_cbranch_scc1 .LBB142_668
.LBB142_667:
	s_lshr_b32 s25, s24, 23
	s_bitcmp1_b32 s24, 22
	s_cselect_b64 s[22:23], -1, 0
	s_and_b32 s21, s24, 0x3fffff
	s_or_b32 s20, s20, s21
	s_cmp_lg_u32 s20, 0
	s_cselect_b64 s[20:21], -1, 0
	s_and_b64 s[20:21], s[22:23], s[20:21]
	v_cndmask_b32_e64 v0, 0, 1, s[20:21]
	v_add_u32_e32 v0, s25, v0
.LBB142_668:
	s_mov_b64 s[22:23], -1
	s_mov_b64 s[20:21], 0
	global_store_byte v[10:11], v0, off
.LBB142_669:
	s_mov_b64 s[24:25], 0
.LBB142_670:
	s_and_b64 vcc, exec, s[24:25]
	s_cbranch_vccz .LBB142_682
; %bb.671:
	v_cmp_eq_u16_e32 vcc, 29, v12
	s_mov_b64 s[20:21], -1
	s_cbranch_vccz .LBB142_682
; %bb.672:
	v_mov_b32_e32 v0, 0x80
	v_cmp_lt_i16_sdwa s[20:21], s11, v0 src0_sel:BYTE_0 src1_sel:DWORD
	s_and_b64 vcc, exec, s[20:21]
	s_cbranch_vccnz .LBB142_676
; %bb.673:
	v_cmp_ne_u16_sdwa s[20:21], s11, v0 src0_sel:BYTE_0 src1_sel:DWORD
	s_mov_b64 s[24:25], 0
	s_mov_b64 s[22:23], 0
	s_branch .LBB142_677
.LBB142_674:
	s_andn2_b64 vcc, exec, s[20:21]
	s_cbranch_vccnz .LBB142_666
.LBB142_675:
	s_mov_b32 s24, s34
	s_bfe_u32 s20, s24, 0x80017
	s_cmpk_eq_i32 s20, 0xff
	v_mov_b32_e32 v0, 0xff
	s_cbranch_scc0 .LBB142_667
	s_branch .LBB142_668
.LBB142_676:
	s_mov_b64 s[24:25], -1
	s_mov_b64 s[20:21], 0
                                        ; implicit-def: $sgpr22_sgpr23
.LBB142_677:
	s_andn2_b64 vcc, exec, s[24:25]
	s_cbranch_vccnz .LBB142_679
; %bb.678:
	v_mov_b32_e32 v0, 0
	v_cmp_ne_u16_sdwa s[20:21], s11, v0 src0_sel:BYTE_0 src1_sel:DWORD
	s_mov_b64 s[22:23], 0
.LBB142_679:
	s_andn2_b64 vcc, exec, s[20:21]
	v_pk_mov_b32 v[0:1], s[22:23], s[22:23] op_sel:[0,1]
	s_cbranch_vccnz .LBB142_681
; %bb.680:
	v_pk_mov_b32 v[0:1], v[8:9], v[8:9] op_sel:[0,1]
.LBB142_681:
	global_store_dwordx2 v[10:11], v[0:1], off
	s_mov_b64 s[22:23], -1
	s_mov_b64 s[20:21], 0
.LBB142_682:
	s_mov_b64 s[24:25], 0
.LBB142_683:
	s_and_b64 vcc, exec, s[24:25]
	s_cbranch_vccz .LBB142_707
; %bb.684:
	v_cmp_gt_i16_e32 vcc, 27, v12
	s_mov_b64 s[22:23], -1
	s_cbranch_vccnz .LBB142_704
; %bb.685:
	v_cmp_lt_i16_e32 vcc, 27, v12
	s_cbranch_vccz .LBB142_694
; %bb.686:
	v_mov_b32_e32 v0, 0x80
	v_cmp_lt_i16_sdwa s[22:23], s11, v0 src0_sel:BYTE_0 src1_sel:DWORD
	s_and_b64 vcc, exec, s[22:23]
	s_cbranch_vccnz .LBB142_688
; %bb.687:
	v_cmp_ne_u16_sdwa s[22:23], s11, v0 src0_sel:BYTE_0 src1_sel:DWORD
	s_mov_b64 s[24:25], 0
	s_mov_b32 s26, 0
	s_branch .LBB142_689
.LBB142_688:
	s_mov_b64 s[24:25], -1
	s_mov_b64 s[22:23], 0
                                        ; implicit-def: $sgpr26
.LBB142_689:
	s_andn2_b64 vcc, exec, s[24:25]
	s_cbranch_vccnz .LBB142_691
; %bb.690:
	v_mov_b32_e32 v0, 0
	s_mov_b32 s26, 0
	v_cmp_ne_u16_sdwa s[22:23], s11, v0 src0_sel:BYTE_0 src1_sel:DWORD
.LBB142_691:
	s_andn2_b64 vcc, exec, s[22:23]
	v_mov_b32_e32 v0, s26
	s_cbranch_vccnz .LBB142_693
; %bb.692:
	v_mov_b32_e32 v0, v15
.LBB142_693:
	global_store_dword v[10:11], v0, off
	s_mov_b64 s[22:23], 0
.LBB142_694:
	s_and_b64 vcc, exec, s[22:23]
	s_cbranch_vccz .LBB142_703
; %bb.695:
	v_mov_b32_e32 v0, 0x80
	v_cmp_lt_i16_sdwa s[22:23], s11, v0 src0_sel:BYTE_0 src1_sel:DWORD
	s_and_b64 vcc, exec, s[22:23]
	s_cbranch_vccnz .LBB142_697
; %bb.696:
	v_cmp_ne_u16_sdwa s[22:23], s11, v0 src0_sel:BYTE_0 src1_sel:DWORD
	s_mov_b64 s[24:25], 0
	s_mov_b32 s26, 0
	s_branch .LBB142_698
.LBB142_697:
	s_mov_b64 s[24:25], -1
	s_mov_b64 s[22:23], 0
                                        ; implicit-def: $sgpr26
.LBB142_698:
	s_andn2_b64 vcc, exec, s[24:25]
	s_cbranch_vccnz .LBB142_700
; %bb.699:
	v_mov_b32_e32 v0, 0
	s_mov_b32 s26, 0
	v_cmp_ne_u16_sdwa s[22:23], s11, v0 src0_sel:BYTE_0 src1_sel:DWORD
.LBB142_700:
	s_andn2_b64 vcc, exec, s[22:23]
	v_mov_b32_e32 v0, s26
	s_cbranch_vccnz .LBB142_702
; %bb.701:
	v_mov_b32_e32 v0, v15
.LBB142_702:
	global_store_short v[10:11], v0, off
.LBB142_703:
	s_mov_b64 s[22:23], 0
.LBB142_704:
	s_andn2_b64 vcc, exec, s[22:23]
	s_cbranch_vccnz .LBB142_706
; %bb.705:
	v_mov_b32_e32 v0, s11
	global_store_byte v[10:11], v0, off
.LBB142_706:
	s_mov_b64 s[22:23], -1
.LBB142_707:
	s_mov_b64 s[24:25], 0
.LBB142_708:
	s_and_b64 vcc, exec, s[24:25]
	s_cbranch_vccz .LBB142_805
; %bb.709:
	v_cmp_lt_i16_e32 vcc, 22, v12
	s_mov_b64 s[24:25], -1
	s_cbranch_vccz .LBB142_777
; %bb.710:
	v_cmp_gt_i16_e32 vcc, 24, v12
	s_mov_b64 s[22:23], -1
	s_cbranch_vccnz .LBB142_754
; %bb.711:
	v_cmp_lt_i16_e32 vcc, 24, v12
	s_cbranch_vccz .LBB142_731
; %bb.712:
	v_mov_b32_e32 v0, 0x80
	v_cmp_lt_i16_sdwa s[22:23], s11, v0 src0_sel:BYTE_0 src1_sel:DWORD
	s_and_b64 vcc, exec, s[22:23]
	s_cbranch_vccnz .LBB142_715
; %bb.713:
	v_cmp_eq_u16_sdwa s[22:23], s11, v0 src0_sel:BYTE_0 src1_sel:DWORD
	s_and_b64 vcc, exec, s[22:23]
	s_cbranch_vccz .LBB142_716
; %bb.714:
	s_mov_b64 s[22:23], 0
	s_mov_b32 s26, 0x7f800001
	s_branch .LBB142_717
.LBB142_715:
	s_mov_b64 s[22:23], 0
                                        ; implicit-def: $sgpr26
	s_branch .LBB142_718
.LBB142_716:
	s_mov_b64 s[22:23], -1
                                        ; implicit-def: $sgpr26
.LBB142_717:
	s_mov_b64 s[24:25], 0
.LBB142_718:
	s_and_b64 vcc, exec, s[24:25]
	s_cbranch_vccz .LBB142_721
; %bb.719:
	v_mov_b32_e32 v0, 0
	s_mov_b32 s26, 0
	v_cmp_ne_u16_sdwa s[22:23], s11, v0 src0_sel:BYTE_0 src1_sel:DWORD
	s_andn2_b64 vcc, exec, s[22:23]
	s_cbranch_vccz .LBB142_722
.LBB142_720:
	s_and_b32 s22, s26, 0x7fffffff
	s_cmp_gt_u32 s22, 0x477fffff
	v_mov_b32_e32 v1, 0x80
	s_cbranch_scc0 .LBB142_723
	s_branch .LBB142_730
.LBB142_721:
	s_andn2_b64 vcc, exec, s[22:23]
	s_cbranch_vccnz .LBB142_720
.LBB142_722:
	s_mov_b32 s26, s33
	s_and_b32 s22, s26, 0x7fffffff
	s_cmp_gt_u32 s22, 0x477fffff
	v_mov_b32_e32 v1, 0x80
	s_cbranch_scc1 .LBB142_730
.LBB142_723:
	s_cmp_lt_u32 s22, 0x38000000
	s_cbranch_scc1 .LBB142_725
; %bb.724:
	s_bfe_u32 s22, s26, 0x10015
	s_add_i32 s22, s26, s22
	s_add_i32 s22, s22, 0x88fffff
	s_lshr_b32 s27, s22, 21
	s_mov_b64 s[24:25], 0
	s_mov_b64 s[22:23], -1
	s_branch .LBB142_726
.LBB142_725:
	s_mov_b64 s[24:25], -1
	s_mov_b64 s[22:23], 0
                                        ; implicit-def: $sgpr27
.LBB142_726:
	s_andn2_b64 vcc, exec, s[24:25]
	v_mov_b32_e32 v0, s27
                                        ; implicit-def: $sgpr24
	s_cbranch_vccnz .LBB142_728
; %bb.727:
	v_mov_b32_e32 v0, 0x42800000
	v_add_f32_e64 v0, |s26|, v0
	v_and_b32_e32 v0, 0xff, v0
	s_mov_b32 s24, 0
	v_cmp_ne_u32_e64 s[22:23], 0, v0
.LBB142_728:
	s_andn2_b64 vcc, exec, s[22:23]
	v_mov_b32_e32 v1, s24
	s_cbranch_vccnz .LBB142_730
; %bb.729:
	s_lshr_b32 s22, s26, 24
	s_and_b32 s22, s22, 0x80
	v_or_b32_e32 v1, s22, v0
.LBB142_730:
	global_store_byte v[10:11], v1, off
	s_mov_b64 s[22:23], 0
.LBB142_731:
	s_and_b64 vcc, exec, s[22:23]
	s_cbranch_vccz .LBB142_753
; %bb.732:
	v_mov_b32_e32 v0, 0x80
	v_cmp_lt_i16_sdwa s[22:23], s11, v0 src0_sel:BYTE_0 src1_sel:DWORD
	s_and_b64 vcc, exec, s[22:23]
	s_cbranch_vccnz .LBB142_735
; %bb.733:
	v_cmp_eq_u16_sdwa s[22:23], s11, v0 src0_sel:BYTE_0 src1_sel:DWORD
	s_and_b64 vcc, exec, s[22:23]
	s_cbranch_vccz .LBB142_736
; %bb.734:
	s_mov_b64 s[22:23], 0
	s_mov_b32 s26, 0x7f800001
	s_branch .LBB142_737
.LBB142_735:
	s_mov_b64 s[24:25], -1
	s_mov_b64 s[22:23], 0
                                        ; implicit-def: $sgpr26
	s_branch .LBB142_738
.LBB142_736:
	s_mov_b64 s[22:23], -1
                                        ; implicit-def: $sgpr26
.LBB142_737:
	s_mov_b64 s[24:25], 0
.LBB142_738:
	s_and_b64 vcc, exec, s[24:25]
	s_cbranch_vccz .LBB142_743
; %bb.739:
	v_mov_b32_e32 v0, 0
	s_mov_b32 s26, 0
	v_cmp_ne_u16_sdwa s[22:23], s11, v0 src0_sel:BYTE_0 src1_sel:DWORD
	s_andn2_b64 vcc, exec, s[22:23]
	s_cbranch_vccz .LBB142_744
.LBB142_740:
	s_and_b32 s24, s26, 0x7fffffff
	s_cmp_gt_u32 s24, 0x43efffff
	s_cbranch_scc1 .LBB142_745
.LBB142_741:
	s_cmp_lt_u32 s24, 0x3c800000
	s_cbranch_scc1 .LBB142_746
; %bb.742:
	s_bfe_u32 s22, s26, 0x10014
	s_add_i32 s22, s26, s22
	s_add_i32 s22, s22, 0x407ffff
	s_lshr_b32 s23, s22, 20
	s_and_b32 s22, s22, 0xff00000
	s_cmp_lg_u32 s22, 0x7f00000
	s_cselect_b32 s25, s23, 0x7e
	s_mov_b64 s[22:23], 0
	s_branch .LBB142_747
.LBB142_743:
	s_andn2_b64 vcc, exec, s[22:23]
	s_cbranch_vccnz .LBB142_740
.LBB142_744:
	s_mov_b32 s26, s33
	s_and_b32 s24, s26, 0x7fffffff
	s_cmp_gt_u32 s24, 0x43efffff
	s_cbranch_scc0 .LBB142_741
.LBB142_745:
	s_mov_b64 s[22:23], -1
                                        ; implicit-def: $vgpr0
	s_branch .LBB142_750
.LBB142_746:
	s_mov_b64 s[22:23], -1
                                        ; implicit-def: $sgpr25
.LBB142_747:
	s_andn2_b64 vcc, exec, s[22:23]
	v_mov_b32_e32 v0, s25
	s_cbranch_vccnz .LBB142_749
; %bb.748:
	v_mov_b32_e32 v0, 0x46800000
	v_add_f32_e64 v0, |s26|, v0
.LBB142_749:
	s_mov_b64 s[22:23], 0
.LBB142_750:
	s_andn2_b64 vcc, exec, s[22:23]
	s_cbranch_vccnz .LBB142_752
; %bb.751:
	s_cmp_gt_u32 s24, 0x7f800000
	s_movk_i32 s22, 0x7f
	s_cselect_b32 s22, s22, 0x7e
	v_mov_b32_e32 v0, s22
.LBB142_752:
	s_lshr_b32 s22, s26, 24
	s_and_b32 s22, s22, 0x80
	v_or_b32_e32 v0, s22, v0
	global_store_byte v[10:11], v0, off
.LBB142_753:
	s_mov_b64 s[22:23], 0
.LBB142_754:
	s_andn2_b64 vcc, exec, s[22:23]
	s_cbranch_vccnz .LBB142_776
; %bb.755:
	v_mov_b32_e32 v0, 0x80
	v_cmp_lt_i16_sdwa s[22:23], s11, v0 src0_sel:BYTE_0 src1_sel:DWORD
	s_and_b64 vcc, exec, s[22:23]
	s_cbranch_vccnz .LBB142_758
; %bb.756:
	v_cmp_eq_u16_sdwa s[22:23], s11, v0 src0_sel:BYTE_0 src1_sel:DWORD
	s_and_b64 vcc, exec, s[22:23]
	s_cbranch_vccz .LBB142_759
; %bb.757:
	s_mov_b64 s[22:23], 0
	s_mov_b32 s26, 0x7f800001
	s_branch .LBB142_760
.LBB142_758:
	s_mov_b64 s[24:25], -1
	s_mov_b64 s[22:23], 0
                                        ; implicit-def: $sgpr26
	s_branch .LBB142_761
.LBB142_759:
	s_mov_b64 s[22:23], -1
                                        ; implicit-def: $sgpr26
.LBB142_760:
	s_mov_b64 s[24:25], 0
.LBB142_761:
	s_and_b64 vcc, exec, s[24:25]
	s_cbranch_vccz .LBB142_766
; %bb.762:
	v_mov_b32_e32 v0, 0
	s_mov_b32 s26, 0
	v_cmp_ne_u16_sdwa s[22:23], s11, v0 src0_sel:BYTE_0 src1_sel:DWORD
	s_andn2_b64 vcc, exec, s[22:23]
	s_cbranch_vccz .LBB142_767
.LBB142_763:
	s_and_b32 s24, s26, 0x7fffffff
	s_cmp_gt_u32 s24, 0x477fffff
	s_cbranch_scc1 .LBB142_768
.LBB142_764:
	s_cmp_lt_u32 s24, 0x38800000
	s_cbranch_scc1 .LBB142_769
; %bb.765:
	s_bfe_u32 s22, s26, 0x10015
	s_add_i32 s22, s26, s22
	s_add_i32 s22, s22, 0x80fffff
	s_lshr_b32 s25, s22, 21
	s_mov_b64 s[22:23], 0
	s_branch .LBB142_770
.LBB142_766:
	s_andn2_b64 vcc, exec, s[22:23]
	s_cbranch_vccnz .LBB142_763
.LBB142_767:
	s_mov_b32 s26, s33
	s_and_b32 s24, s26, 0x7fffffff
	s_cmp_gt_u32 s24, 0x477fffff
	s_cbranch_scc0 .LBB142_764
.LBB142_768:
	s_mov_b64 s[22:23], -1
                                        ; implicit-def: $vgpr0
	s_branch .LBB142_773
.LBB142_769:
	s_mov_b64 s[22:23], -1
                                        ; implicit-def: $sgpr25
.LBB142_770:
	s_andn2_b64 vcc, exec, s[22:23]
	v_mov_b32_e32 v0, s25
	s_cbranch_vccnz .LBB142_772
; %bb.771:
	v_mov_b32_e32 v0, 0x43000000
	v_add_f32_e64 v0, |s26|, v0
.LBB142_772:
	s_mov_b64 s[22:23], 0
.LBB142_773:
	s_andn2_b64 vcc, exec, s[22:23]
	s_cbranch_vccnz .LBB142_775
; %bb.774:
	s_cmp_gt_u32 s24, 0x7f800000
	s_movk_i32 s22, 0x7f
	s_cselect_b32 s22, s22, 0x7c
	v_mov_b32_e32 v0, s22
.LBB142_775:
	s_lshr_b32 s22, s26, 24
	s_and_b32 s22, s22, 0x80
	v_or_b32_e32 v0, s22, v0
	global_store_byte v[10:11], v0, off
.LBB142_776:
	s_mov_b64 s[24:25], 0
	s_mov_b64 s[22:23], -1
.LBB142_777:
	s_andn2_b64 vcc, exec, s[24:25]
	s_cbranch_vccnz .LBB142_805
; %bb.778:
	v_cmp_lt_i16_e32 vcc, 14, v12
	s_mov_b64 s[24:25], -1
	s_cbranch_vccz .LBB142_792
; %bb.779:
	v_cmp_eq_u16_e32 vcc, 15, v12
	s_mov_b64 s[20:21], -1
	s_cbranch_vccz .LBB142_791
; %bb.780:
	v_mov_b32_e32 v0, 0x80
	v_cmp_lt_i16_sdwa s[20:21], s11, v0 src0_sel:BYTE_0 src1_sel:DWORD
	s_and_b64 vcc, exec, s[20:21]
	s_cbranch_vccnz .LBB142_783
; %bb.781:
	v_cmp_eq_u16_sdwa s[20:21], s11, v0 src0_sel:BYTE_0 src1_sel:DWORD
	s_and_b64 vcc, exec, s[20:21]
	s_cbranch_vccz .LBB142_784
; %bb.782:
	s_mov_b64 s[20:21], 0
	s_mov_b32 s24, 0x7f800001
	s_branch .LBB142_785
.LBB142_783:
	s_mov_b64 s[22:23], -1
	s_mov_b64 s[20:21], 0
                                        ; implicit-def: $sgpr24
	s_branch .LBB142_786
.LBB142_784:
	s_mov_b64 s[20:21], -1
                                        ; implicit-def: $sgpr24
.LBB142_785:
	s_mov_b64 s[22:23], 0
.LBB142_786:
	s_and_b64 vcc, exec, s[22:23]
	s_cbranch_vccz .LBB142_788
; %bb.787:
	v_mov_b32_e32 v0, 0
	s_mov_b32 s24, 0
	v_cmp_ne_u16_sdwa s[20:21], s11, v0 src0_sel:BYTE_0 src1_sel:DWORD
.LBB142_788:
	s_andn2_b64 vcc, exec, s[20:21]
	s_cbranch_vccnz .LBB142_790
; %bb.789:
	s_mov_b32 s24, s33
.LBB142_790:
	s_bfe_u32 s20, s24, 0x10010
	s_add_i32 s20, s24, s20
	s_addk_i32 s20, 0x7fff
	s_lshr_b32 s22, s20, 16
	v_cmp_o_f32_e64 s[20:21], s24, s24
	s_and_b64 s[20:21], s[20:21], exec
	s_cselect_b32 s20, s22, 0x7fc0
	v_mov_b32_e32 v0, s20
	global_store_short v[10:11], v0, off
	s_mov_b64 s[22:23], -1
	s_mov_b64 s[20:21], 0
.LBB142_791:
	s_mov_b64 s[24:25], 0
.LBB142_792:
	s_and_b64 vcc, exec, s[24:25]
	s_cbranch_vccz .LBB142_805
; %bb.793:
	v_cmp_eq_u16_e32 vcc, 11, v12
	s_mov_b64 s[20:21], -1
	s_cbranch_vccz .LBB142_805
; %bb.794:
	v_mov_b32_e32 v0, 0x80
	v_cmp_lt_i16_sdwa s[20:21], s11, v0 src0_sel:BYTE_0 src1_sel:DWORD
	s_and_b64 vcc, exec, s[20:21]
	s_cbranch_vccnz .LBB142_797
; %bb.795:
	v_cmp_eq_u16_sdwa s[20:21], s11, v0 src0_sel:BYTE_0 src1_sel:DWORD
	s_and_b64 vcc, exec, s[20:21]
	s_cbranch_vccz .LBB142_798
; %bb.796:
	s_mov_b64 s[22:23], 0
	s_mov_b64 s[20:21], -1
	s_branch .LBB142_799
.LBB142_797:
	s_mov_b64 s[24:25], -1
	s_mov_b64 s[22:23], 0
                                        ; implicit-def: $sgpr20_sgpr21
	s_branch .LBB142_800
.LBB142_798:
	s_mov_b64 s[22:23], -1
                                        ; implicit-def: $sgpr20_sgpr21
.LBB142_799:
	s_mov_b64 s[24:25], 0
.LBB142_800:
	s_and_b64 vcc, exec, s[24:25]
	s_cbranch_vccz .LBB142_802
; %bb.801:
	v_mov_b32_e32 v0, 0
	v_cmp_ne_u16_sdwa s[22:23], s11, v0 src0_sel:BYTE_0 src1_sel:DWORD
	s_mov_b64 s[20:21], 0
.LBB142_802:
	s_andn2_b64 vcc, exec, s[22:23]
	s_cbranch_vccnz .LBB142_804
; %bb.803:
	s_mov_b64 s[20:21], s[2:3]
.LBB142_804:
	v_cndmask_b32_e64 v0, 0, 1, s[20:21]
	global_store_byte v[10:11], v0, off
	s_mov_b64 s[22:23], -1
	s_mov_b64 s[20:21], 0
.LBB142_805:
	s_mov_b64 s[24:25], 0
.LBB142_806:
	s_and_b64 vcc, exec, s[24:25]
	s_cbranch_vccz .LBB142_940
; %bb.807:
	v_cmp_gt_i16_e32 vcc, 5, v12
	s_mov_b64 s[22:23], -1
	s_cbranch_vccnz .LBB142_888
; %bb.808:
	v_cmp_gt_i16_e32 vcc, 8, v12
	s_cbranch_vccnz .LBB142_848
; %bb.809:
	v_cmp_gt_i16_e32 vcc, 9, v12
	s_cbranch_vccnz .LBB142_835
; %bb.810:
	v_cmp_lt_i16_e32 vcc, 9, v12
	s_cbranch_vccz .LBB142_822
; %bb.811:
	v_mov_b32_e32 v0, 0x80
	v_cmp_lt_i16_sdwa s[22:23], s11, v0 src0_sel:BYTE_0 src1_sel:DWORD
	s_and_b64 vcc, exec, s[22:23]
	s_cbranch_vccnz .LBB142_814
; %bb.812:
	v_cmp_eq_u16_sdwa s[22:23], s11, v0 src0_sel:BYTE_0 src1_sel:DWORD
	s_and_b64 vcc, exec, s[22:23]
	s_cbranch_vccz .LBB142_815
; %bb.813:
	s_mov_b64 s[22:23], 0
	s_mov_b32 s25, 0x7ff80000
	s_brev_b32 s24, 4
	s_branch .LBB142_816
.LBB142_814:
	s_mov_b64 s[26:27], -1
	s_mov_b64 s[22:23], 0
                                        ; implicit-def: $sgpr24_sgpr25
	s_branch .LBB142_817
.LBB142_815:
	s_mov_b64 s[22:23], -1
                                        ; implicit-def: $sgpr24_sgpr25
.LBB142_816:
	s_mov_b64 s[26:27], 0
.LBB142_817:
	s_and_b64 vcc, exec, s[26:27]
	s_cbranch_vccz .LBB142_819
; %bb.818:
	v_mov_b32_e32 v0, 0
	v_cmp_ne_u16_sdwa s[22:23], s11, v0 src0_sel:BYTE_0 src1_sel:DWORD
	s_mov_b64 s[24:25], 0
.LBB142_819:
	s_andn2_b64 vcc, exec, s[22:23]
	v_pk_mov_b32 v[0:1], s[24:25], s[24:25] op_sel:[0,1]
	s_cbranch_vccnz .LBB142_821
; %bb.820:
	v_pk_mov_b32 v[0:1], v[6:7], v[6:7] op_sel:[0,1]
.LBB142_821:
	v_mov_b32_e32 v2, 0
	v_mov_b32_e32 v3, v2
	global_store_dwordx4 v[10:11], v[0:3], off
	s_mov_b64 s[22:23], 0
.LBB142_822:
	s_and_b64 vcc, exec, s[22:23]
	s_cbranch_vccz .LBB142_834
; %bb.823:
	v_mov_b32_e32 v0, 0x80
	v_cmp_lt_i16_sdwa s[22:23], s11, v0 src0_sel:BYTE_0 src1_sel:DWORD
	s_and_b64 vcc, exec, s[22:23]
	s_cbranch_vccnz .LBB142_826
; %bb.824:
	v_cmp_eq_u16_sdwa s[22:23], s11, v0 src0_sel:BYTE_0 src1_sel:DWORD
	s_and_b64 vcc, exec, s[22:23]
	s_cbranch_vccz .LBB142_827
; %bb.825:
	s_mov_b64 s[22:23], 0
	s_mov_b32 s26, 0x7f800001
	s_branch .LBB142_828
.LBB142_826:
	s_mov_b64 s[24:25], -1
	s_mov_b64 s[22:23], 0
                                        ; implicit-def: $sgpr26
	s_branch .LBB142_829
.LBB142_827:
	s_mov_b64 s[22:23], -1
                                        ; implicit-def: $sgpr26
.LBB142_828:
	s_mov_b64 s[24:25], 0
.LBB142_829:
	s_and_b64 vcc, exec, s[24:25]
	v_mov_b32_e32 v0, s26
	s_cbranch_vccz .LBB142_831
; %bb.830:
	s_mov_b32 s22, 0xffff
	v_mov_b32_e32 v0, s11
	v_mov_b32_e32 v1, 0
	v_and_b32_sdwa v0, s22, v0 dst_sel:DWORD dst_unused:UNUSED_PAD src0_sel:DWORD src1_sel:BYTE_0
	v_cmp_ne_u16_sdwa s[22:23], s11, v1 src0_sel:BYTE_0 src1_sel:DWORD
.LBB142_831:
	s_andn2_b64 vcc, exec, s[22:23]
	s_cbranch_vccnz .LBB142_833
; %bb.832:
	v_mov_b32_e32 v0, s33
.LBB142_833:
	v_mov_b32_e32 v1, 0
	global_store_dwordx2 v[10:11], v[0:1], off
.LBB142_834:
	s_mov_b64 s[22:23], 0
.LBB142_835:
	s_andn2_b64 vcc, exec, s[22:23]
	s_cbranch_vccnz .LBB142_847
; %bb.836:
	v_mov_b32_e32 v0, 0x80
	v_cmp_lt_i16_sdwa s[22:23], s11, v0 src0_sel:BYTE_0 src1_sel:DWORD
	s_and_b64 vcc, exec, s[22:23]
	s_cbranch_vccnz .LBB142_839
; %bb.837:
	v_cmp_eq_u16_sdwa s[22:23], s11, v0 src0_sel:BYTE_0 src1_sel:DWORD
	s_and_b64 vcc, exec, s[22:23]
	s_cbranch_vccz .LBB142_840
; %bb.838:
	s_mov_b64 s[22:23], 0
	s_movk_i32 s26, 0x7e00
	s_branch .LBB142_841
.LBB142_839:
	s_mov_b64 s[24:25], -1
	s_mov_b64 s[22:23], 0
                                        ; implicit-def: $sgpr26
	s_branch .LBB142_842
.LBB142_840:
	s_mov_b64 s[22:23], -1
                                        ; implicit-def: $sgpr26
.LBB142_841:
	s_mov_b64 s[24:25], 0
.LBB142_842:
	s_and_b64 vcc, exec, s[24:25]
	v_mov_b32_e32 v0, s26
	s_cbranch_vccz .LBB142_844
; %bb.843:
	s_mov_b32 s22, 0xffff
	v_mov_b32_e32 v0, s11
	v_mov_b32_e32 v1, 0
	v_and_b32_sdwa v0, s22, v0 dst_sel:DWORD dst_unused:UNUSED_PAD src0_sel:DWORD src1_sel:BYTE_0
	v_cmp_ne_u16_sdwa s[22:23], s11, v1 src0_sel:BYTE_0 src1_sel:DWORD
.LBB142_844:
	s_andn2_b64 vcc, exec, s[22:23]
	s_cbranch_vccnz .LBB142_846
; %bb.845:
	v_mov_b32_e32 v0, v14
.LBB142_846:
	global_store_dword v[10:11], v0, off
.LBB142_847:
	s_mov_b64 s[22:23], 0
.LBB142_848:
	s_andn2_b64 vcc, exec, s[22:23]
	s_cbranch_vccnz .LBB142_887
; %bb.849:
	v_cmp_gt_i16_e32 vcc, 6, v12
	s_mov_b64 s[22:23], -1
	s_cbranch_vccnz .LBB142_875
; %bb.850:
	v_cmp_lt_i16_e32 vcc, 6, v12
	s_cbranch_vccz .LBB142_862
; %bb.851:
	v_mov_b32_e32 v0, 0x80
	v_cmp_lt_i16_sdwa s[22:23], s11, v0 src0_sel:BYTE_0 src1_sel:DWORD
	s_and_b64 vcc, exec, s[22:23]
	s_cbranch_vccnz .LBB142_854
; %bb.852:
	v_cmp_eq_u16_sdwa s[22:23], s11, v0 src0_sel:BYTE_0 src1_sel:DWORD
	s_and_b64 vcc, exec, s[22:23]
	s_cbranch_vccz .LBB142_855
; %bb.853:
	s_mov_b64 s[22:23], 0
	s_mov_b32 s25, 0x7ff80000
	s_brev_b32 s24, 4
	s_branch .LBB142_856
.LBB142_854:
	s_mov_b64 s[26:27], -1
	s_mov_b64 s[22:23], 0
                                        ; implicit-def: $sgpr24_sgpr25
	s_branch .LBB142_857
.LBB142_855:
	s_mov_b64 s[22:23], -1
                                        ; implicit-def: $sgpr24_sgpr25
.LBB142_856:
	s_mov_b64 s[26:27], 0
.LBB142_857:
	s_and_b64 vcc, exec, s[26:27]
	s_cbranch_vccz .LBB142_859
; %bb.858:
	v_mov_b32_e32 v0, 0
	v_cmp_ne_u16_sdwa s[22:23], s11, v0 src0_sel:BYTE_0 src1_sel:DWORD
	s_mov_b64 s[24:25], 0
.LBB142_859:
	s_andn2_b64 vcc, exec, s[22:23]
	v_pk_mov_b32 v[0:1], s[24:25], s[24:25] op_sel:[0,1]
	s_cbranch_vccnz .LBB142_861
; %bb.860:
	v_pk_mov_b32 v[0:1], v[6:7], v[6:7] op_sel:[0,1]
.LBB142_861:
	global_store_dwordx2 v[10:11], v[0:1], off
	s_mov_b64 s[22:23], 0
.LBB142_862:
	s_and_b64 vcc, exec, s[22:23]
	s_cbranch_vccz .LBB142_874
; %bb.863:
	v_mov_b32_e32 v0, 0x80
	v_cmp_lt_i16_sdwa s[22:23], s11, v0 src0_sel:BYTE_0 src1_sel:DWORD
	s_and_b64 vcc, exec, s[22:23]
	s_cbranch_vccnz .LBB142_866
; %bb.864:
	v_cmp_eq_u16_sdwa s[22:23], s11, v0 src0_sel:BYTE_0 src1_sel:DWORD
	s_and_b64 vcc, exec, s[22:23]
	s_cbranch_vccz .LBB142_867
; %bb.865:
	s_mov_b64 s[22:23], 0
	s_mov_b32 s26, 0x7f800001
	s_branch .LBB142_868
.LBB142_866:
	s_mov_b64 s[24:25], -1
	s_mov_b64 s[22:23], 0
                                        ; implicit-def: $sgpr26
	s_branch .LBB142_869
.LBB142_867:
	s_mov_b64 s[22:23], -1
                                        ; implicit-def: $sgpr26
.LBB142_868:
	s_mov_b64 s[24:25], 0
.LBB142_869:
	s_and_b64 vcc, exec, s[24:25]
	s_cbranch_vccz .LBB142_871
; %bb.870:
	v_mov_b32_e32 v0, 0
	s_mov_b32 s26, 0
	v_cmp_ne_u16_sdwa s[22:23], s11, v0 src0_sel:BYTE_0 src1_sel:DWORD
.LBB142_871:
	s_andn2_b64 vcc, exec, s[22:23]
	s_cbranch_vccnz .LBB142_873
; %bb.872:
	s_mov_b32 s26, s33
.LBB142_873:
	v_mov_b32_e32 v0, s26
	global_store_dword v[10:11], v0, off
.LBB142_874:
	s_mov_b64 s[22:23], 0
.LBB142_875:
	s_andn2_b64 vcc, exec, s[22:23]
	s_cbranch_vccnz .LBB142_887
; %bb.876:
	v_mov_b32_e32 v0, 0xff
	v_and_b32_e32 v0, s11, v0
	s_movk_i32 s22, 0x80
	v_cmp_gt_i16_e32 vcc, s22, v0
	s_cbranch_vccnz .LBB142_879
; %bb.877:
	v_cmp_eq_u16_e32 vcc, s22, v0
	s_cbranch_vccz .LBB142_880
; %bb.878:
	s_mov_b64 s[22:23], 0
	s_movk_i32 s26, 0x7e00
	s_branch .LBB142_881
.LBB142_879:
	s_mov_b64 s[24:25], -1
	s_mov_b64 s[22:23], 0
                                        ; implicit-def: $sgpr26
	s_branch .LBB142_882
.LBB142_880:
	s_mov_b64 s[22:23], -1
                                        ; implicit-def: $sgpr26
.LBB142_881:
	s_mov_b64 s[24:25], 0
.LBB142_882:
	s_and_b64 vcc, exec, s[24:25]
	v_mov_b32_e32 v1, s26
	s_cbranch_vccz .LBB142_884
; %bb.883:
	v_cmp_ne_u16_e64 s[22:23], 0, v0
	v_mov_b32_e32 v1, v0
.LBB142_884:
	s_andn2_b64 vcc, exec, s[22:23]
	s_cbranch_vccnz .LBB142_886
; %bb.885:
	v_mov_b32_e32 v1, v14
.LBB142_886:
	global_store_short v[10:11], v1, off
.LBB142_887:
	s_mov_b64 s[22:23], 0
.LBB142_888:
	s_andn2_b64 vcc, exec, s[22:23]
	s_cbranch_vccnz .LBB142_939
; %bb.889:
	v_cmp_gt_i16_e32 vcc, 2, v12
	s_mov_b64 s[22:23], -1
	s_cbranch_vccnz .LBB142_920
; %bb.890:
	v_cmp_gt_i16_e32 vcc, 3, v12
	s_cbranch_vccnz .LBB142_910
; %bb.891:
	v_cmp_lt_i16_e32 vcc, 3, v12
	s_cbranch_vccz .LBB142_900
; %bb.892:
	v_mov_b32_e32 v0, 0x80
	v_cmp_lt_i16_sdwa s[22:23], s11, v0 src0_sel:BYTE_0 src1_sel:DWORD
	s_and_b64 vcc, exec, s[22:23]
	s_cbranch_vccnz .LBB142_894
; %bb.893:
	v_cmp_ne_u16_sdwa s[22:23], s11, v0 src0_sel:BYTE_0 src1_sel:DWORD
	s_mov_b64 s[26:27], 0
	s_mov_b64 s[24:25], 0
	s_branch .LBB142_895
.LBB142_894:
	s_mov_b64 s[26:27], -1
	s_mov_b64 s[22:23], 0
                                        ; implicit-def: $sgpr24_sgpr25
.LBB142_895:
	s_andn2_b64 vcc, exec, s[26:27]
	s_cbranch_vccnz .LBB142_897
; %bb.896:
	v_mov_b32_e32 v0, 0
	v_cmp_ne_u16_sdwa s[22:23], s11, v0 src0_sel:BYTE_0 src1_sel:DWORD
	s_mov_b64 s[24:25], 0
.LBB142_897:
	s_andn2_b64 vcc, exec, s[22:23]
	v_pk_mov_b32 v[0:1], s[24:25], s[24:25] op_sel:[0,1]
	s_cbranch_vccnz .LBB142_899
; %bb.898:
	v_pk_mov_b32 v[0:1], v[4:5], v[4:5] op_sel:[0,1]
.LBB142_899:
	global_store_dwordx2 v[10:11], v[0:1], off
	s_mov_b64 s[22:23], 0
.LBB142_900:
	s_and_b64 vcc, exec, s[22:23]
	s_cbranch_vccz .LBB142_909
; %bb.901:
	v_mov_b32_e32 v0, 0x80
	v_cmp_lt_i16_sdwa s[22:23], s11, v0 src0_sel:BYTE_0 src1_sel:DWORD
	s_and_b64 vcc, exec, s[22:23]
	s_cbranch_vccnz .LBB142_903
; %bb.902:
	v_cmp_ne_u16_sdwa s[22:23], s11, v0 src0_sel:BYTE_0 src1_sel:DWORD
	s_mov_b64 s[24:25], 0
	s_mov_b32 s26, 0
	s_branch .LBB142_904
.LBB142_903:
	s_mov_b64 s[24:25], -1
	s_mov_b64 s[22:23], 0
                                        ; implicit-def: $sgpr26
.LBB142_904:
	s_andn2_b64 vcc, exec, s[24:25]
	s_cbranch_vccnz .LBB142_906
; %bb.905:
	v_mov_b32_e32 v0, 0
	s_mov_b32 s26, 0
	v_cmp_ne_u16_sdwa s[22:23], s11, v0 src0_sel:BYTE_0 src1_sel:DWORD
.LBB142_906:
	s_andn2_b64 vcc, exec, s[22:23]
	v_mov_b32_e32 v0, s26
	s_cbranch_vccnz .LBB142_908
; %bb.907:
	v_mov_b32_e32 v0, v13
.LBB142_908:
	global_store_dword v[10:11], v0, off
.LBB142_909:
	s_mov_b64 s[22:23], 0
.LBB142_910:
	s_andn2_b64 vcc, exec, s[22:23]
	s_cbranch_vccnz .LBB142_919
; %bb.911:
	v_mov_b32_e32 v0, 0x80
	v_cmp_lt_i16_sdwa s[22:23], s11, v0 src0_sel:BYTE_0 src1_sel:DWORD
	s_and_b64 vcc, exec, s[22:23]
	s_cbranch_vccnz .LBB142_913
; %bb.912:
	v_cmp_ne_u16_sdwa s[22:23], s11, v0 src0_sel:BYTE_0 src1_sel:DWORD
	s_mov_b64 s[24:25], 0
	s_mov_b32 s26, 0
	s_branch .LBB142_914
.LBB142_913:
	s_mov_b64 s[24:25], -1
	s_mov_b64 s[22:23], 0
                                        ; implicit-def: $sgpr26
.LBB142_914:
	s_andn2_b64 vcc, exec, s[24:25]
	s_cbranch_vccnz .LBB142_916
; %bb.915:
	v_mov_b32_e32 v0, 0
	s_mov_b32 s26, 0
	v_cmp_ne_u16_sdwa s[22:23], s11, v0 src0_sel:BYTE_0 src1_sel:DWORD
.LBB142_916:
	s_andn2_b64 vcc, exec, s[22:23]
	v_mov_b32_e32 v0, s26
	s_cbranch_vccnz .LBB142_918
; %bb.917:
	v_mov_b32_e32 v0, v13
.LBB142_918:
	global_store_short v[10:11], v0, off
.LBB142_919:
	s_mov_b64 s[22:23], 0
.LBB142_920:
	s_andn2_b64 vcc, exec, s[22:23]
	s_cbranch_vccnz .LBB142_939
; %bb.921:
	v_cmp_lt_i16_e32 vcc, 0, v12
	s_mov_b64 s[22:23], -1
	s_cbranch_vccz .LBB142_930
; %bb.922:
	v_mov_b32_e32 v0, 0x80
	v_cmp_lt_i16_sdwa s[22:23], s11, v0 src0_sel:BYTE_0 src1_sel:DWORD
	s_and_b64 vcc, exec, s[22:23]
	s_cbranch_vccnz .LBB142_924
; %bb.923:
	v_cmp_ne_u16_sdwa s[22:23], s11, v0 src0_sel:BYTE_0 src1_sel:DWORD
	s_mov_b64 s[24:25], 0
	s_mov_b32 s26, 0
	s_branch .LBB142_925
.LBB142_924:
	s_mov_b64 s[24:25], -1
	s_mov_b64 s[22:23], 0
                                        ; implicit-def: $sgpr26
.LBB142_925:
	s_andn2_b64 vcc, exec, s[24:25]
	s_cbranch_vccnz .LBB142_927
; %bb.926:
	v_mov_b32_e32 v0, 0
	s_mov_b32 s26, 0
	v_cmp_ne_u16_sdwa s[22:23], s11, v0 src0_sel:BYTE_0 src1_sel:DWORD
.LBB142_927:
	s_andn2_b64 vcc, exec, s[22:23]
	v_mov_b32_e32 v0, s26
	s_cbranch_vccnz .LBB142_929
; %bb.928:
	v_mov_b32_e32 v0, v13
.LBB142_929:
	global_store_byte v[10:11], v0, off
	s_mov_b64 s[22:23], 0
.LBB142_930:
	s_and_b64 vcc, exec, s[22:23]
	s_cbranch_vccz .LBB142_939
; %bb.931:
	v_mov_b32_e32 v0, 0x80
	v_cmp_lt_i16_sdwa s[22:23], s11, v0 src0_sel:BYTE_0 src1_sel:DWORD
	s_and_b64 vcc, exec, s[22:23]
	s_cbranch_vccnz .LBB142_933
; %bb.932:
	v_cmp_ne_u16_sdwa s[22:23], s11, v0 src0_sel:BYTE_0 src1_sel:DWORD
	s_mov_b64 s[24:25], 0
	s_mov_b32 s26, 0
	s_branch .LBB142_934
.LBB142_933:
	s_mov_b64 s[24:25], -1
	s_mov_b64 s[22:23], 0
                                        ; implicit-def: $sgpr26
.LBB142_934:
	s_andn2_b64 vcc, exec, s[24:25]
	s_cbranch_vccnz .LBB142_936
; %bb.935:
	v_mov_b32_e32 v0, 0
	s_mov_b32 s26, 0
	v_cmp_ne_u16_sdwa s[22:23], s11, v0 src0_sel:BYTE_0 src1_sel:DWORD
.LBB142_936:
	s_andn2_b64 vcc, exec, s[22:23]
	v_mov_b32_e32 v0, s26
	s_cbranch_vccnz .LBB142_938
; %bb.937:
	v_mov_b32_e32 v0, v4
.LBB142_938:
	global_store_byte v[10:11], v0, off
.LBB142_939:
	s_mov_b64 s[22:23], -1
.LBB142_940:
	s_andn2_b64 vcc, exec, s[22:23]
	s_cbranch_vccnz .LBB142_942
; %bb.941:
	v_add_u32_e32 v16, 0x80, v16
	s_mov_b64 s[22:23], -1
	s_branch .LBB142_943
.LBB142_942:
	s_mov_b64 s[22:23], 0
                                        ; implicit-def: $vgpr16
.LBB142_943:
	s_andn2_b64 s[24:25], s[14:15], exec
	s_and_b64 s[20:21], s[20:21], exec
	s_or_b64 s[20:21], s[24:25], s[20:21]
	s_orn2_b64 s[24:25], s[22:23], exec
.LBB142_944:
	s_or_b64 exec, exec, s[18:19]
	s_mov_b64 s[22:23], 0
	s_mov_b64 s[28:29], 0
                                        ; implicit-def: $vgpr10_vgpr11
	s_and_saveexec_b64 s[18:19], s[24:25]
	s_cbranch_execz .LBB142_1105
; %bb.945:
	v_cmp_gt_i32_e32 vcc, s30, v16
	s_mov_b64 s[26:27], 0
	s_mov_b64 s[24:25], s[20:21]
	;; [unrolled: 1-line block ×3, first 2 shown]
                                        ; implicit-def: $vgpr10_vgpr11
	s_and_saveexec_b64 s[22:23], vcc
	s_cbranch_execz .LBB142_1104
; %bb.946:
	v_mul_lo_u32 v0, v16, s10
	v_ashrrev_i32_e32 v1, 31, v0
	v_mov_b32_e32 v2, s9
	v_add_co_u32_e32 v10, vcc, s8, v0
	v_addc_co_u32_e32 v11, vcc, v2, v1, vcc
	v_cmp_gt_i16_e32 vcc, 11, v12
	s_cbranch_vccnz .LBB142_955
; %bb.947:
	v_cmp_lt_i16_e32 vcc, 25, v12
	s_mov_b64 s[28:29], -1
	s_mov_b64 s[24:25], s[20:21]
	s_cbranch_vccz .LBB142_1016
; %bb.948:
	v_cmp_lt_i16_e32 vcc, 28, v12
	s_mov_b64 s[26:27], -1
	s_mov_b64 s[24:25], s[20:21]
	s_cbranch_vccz .LBB142_992
; %bb.949:
	v_cmp_lt_i16_e32 vcc, 43, v12
	s_mov_b64 s[24:25], s[20:21]
	s_cbranch_vccz .LBB142_979
; %bb.950:
	v_cmp_lt_i16_e32 vcc, 45, v12
	s_mov_b64 s[24:25], s[20:21]
	s_cbranch_vccz .LBB142_965
; %bb.951:
	v_cmp_eq_u16_e32 vcc, 46, v12
	s_mov_b64 s[24:25], -1
	s_cbranch_vccz .LBB142_964
; %bb.952:
	v_mov_b32_e32 v0, 0x80
	v_cmp_lt_i16_sdwa s[24:25], s11, v0 src0_sel:BYTE_0 src1_sel:DWORD
	s_and_b64 vcc, exec, s[24:25]
	s_cbranch_vccnz .LBB142_956
; %bb.953:
	v_cmp_eq_u16_sdwa s[24:25], s11, v0 src0_sel:BYTE_0 src1_sel:DWORD
	s_and_b64 vcc, exec, s[24:25]
	s_cbranch_vccz .LBB142_957
; %bb.954:
	s_mov_b64 s[24:25], 0
	s_mov_b32 s28, 0x7f800001
	s_branch .LBB142_958
.LBB142_955:
	s_mov_b64 s[26:27], -1
	s_mov_b64 s[24:25], s[20:21]
	s_branch .LBB142_1103
.LBB142_956:
	s_mov_b64 s[24:25], 0
                                        ; implicit-def: $sgpr28
	s_branch .LBB142_959
.LBB142_957:
	s_mov_b64 s[24:25], -1
                                        ; implicit-def: $sgpr28
.LBB142_958:
	s_mov_b64 s[26:27], 0
.LBB142_959:
	s_and_b64 vcc, exec, s[26:27]
	s_cbranch_vccz .LBB142_961
; %bb.960:
	v_mov_b32_e32 v0, 0
	s_mov_b32 s28, 0
	v_cmp_ne_u16_sdwa s[24:25], s11, v0 src0_sel:BYTE_0 src1_sel:DWORD
.LBB142_961:
	s_andn2_b64 vcc, exec, s[24:25]
	s_cbranch_vccnz .LBB142_963
; %bb.962:
	s_mov_b32 s28, s33
.LBB142_963:
	s_bfe_u32 s24, s28, 0x10010
	s_add_i32 s24, s28, s24
	s_addk_i32 s24, 0x7fff
	s_lshr_b32 s26, s24, 16
	v_cmp_o_f32_e64 s[24:25], s28, s28
	s_and_b64 s[24:25], s[24:25], exec
	s_cselect_b32 s24, s26, 0x7fc0
	v_mov_b32_e32 v0, s24
	global_store_dword v[10:11], v0, off
	s_mov_b64 s[24:25], 0
.LBB142_964:
	s_mov_b64 s[26:27], 0
.LBB142_965:
	s_and_b64 vcc, exec, s[26:27]
	s_cbranch_vccz .LBB142_978
; %bb.966:
	v_cmp_eq_u16_e32 vcc, 44, v12
	s_mov_b64 s[24:25], -1
	s_cbranch_vccz .LBB142_978
; %bb.967:
	v_mov_b32_e32 v0, 0xff
	v_and_b32_e32 v0, s11, v0
	s_movk_i32 s24, 0x80
	v_cmp_gt_i16_e32 vcc, s24, v0
	v_readfirstlane_b32 s29, v0
	s_cbranch_vccnz .LBB142_970
; %bb.968:
	v_mov_b32_e32 v0, 0x80
	v_cmp_eq_u16_e32 vcc, s29, v0
	s_cbranch_vccz .LBB142_971
; %bb.969:
	s_mov_b64 s[24:25], 0
	s_mov_b32 s28, 0x7f800001
	s_branch .LBB142_972
.LBB142_970:
	s_mov_b64 s[26:27], -1
	s_mov_b64 s[24:25], 0
                                        ; implicit-def: $sgpr28
	s_branch .LBB142_973
.LBB142_971:
	s_mov_b64 s[24:25], -1
                                        ; implicit-def: $sgpr28
.LBB142_972:
	s_mov_b64 s[26:27], 0
.LBB142_973:
	s_and_b64 vcc, exec, s[26:27]
	s_cbranch_vccz .LBB142_983
; %bb.974:
	s_and_b32 s28, 0xffff, s29
	v_cmp_ne_u16_e64 s[24:25], s29, 0
	s_andn2_b64 vcc, exec, s[24:25]
	s_cbranch_vccz .LBB142_984
.LBB142_975:
	s_bfe_u32 s24, s28, 0x80017
	s_cmpk_eq_i32 s24, 0xff
	v_mov_b32_e32 v0, 0xff
	s_cbranch_scc1 .LBB142_977
.LBB142_976:
	s_lshr_b32 s29, s28, 23
	s_bitcmp1_b32 s28, 22
	s_cselect_b64 s[26:27], -1, 0
	s_and_b32 s25, s28, 0x3fffff
	s_or_b32 s24, s24, s25
	s_cmp_lg_u32 s24, 0
	s_cselect_b64 s[24:25], -1, 0
	s_and_b64 s[24:25], s[26:27], s[24:25]
	v_cndmask_b32_e64 v0, 0, 1, s[24:25]
	v_add_u32_e32 v0, s29, v0
.LBB142_977:
	s_mov_b64 s[24:25], 0
	global_store_byte v[10:11], v0, off
.LBB142_978:
	s_mov_b64 s[26:27], 0
.LBB142_979:
	s_and_b64 vcc, exec, s[26:27]
	s_cbranch_vccz .LBB142_991
; %bb.980:
	v_cmp_eq_u16_e32 vcc, 29, v12
	s_mov_b64 s[24:25], -1
	s_cbranch_vccz .LBB142_991
; %bb.981:
	v_mov_b32_e32 v0, 0x80
	v_cmp_lt_i16_sdwa s[24:25], s11, v0 src0_sel:BYTE_0 src1_sel:DWORD
	s_and_b64 vcc, exec, s[24:25]
	s_cbranch_vccnz .LBB142_985
; %bb.982:
	v_cmp_ne_u16_sdwa s[24:25], s11, v0 src0_sel:BYTE_0 src1_sel:DWORD
	s_mov_b64 s[28:29], 0
	s_mov_b64 s[26:27], 0
	s_branch .LBB142_986
.LBB142_983:
	s_andn2_b64 vcc, exec, s[24:25]
	s_cbranch_vccnz .LBB142_975
.LBB142_984:
	s_mov_b32 s28, s34
	s_bfe_u32 s24, s28, 0x80017
	s_cmpk_eq_i32 s24, 0xff
	v_mov_b32_e32 v0, 0xff
	s_cbranch_scc0 .LBB142_976
	s_branch .LBB142_977
.LBB142_985:
	s_mov_b64 s[28:29], -1
	s_mov_b64 s[24:25], 0
                                        ; implicit-def: $sgpr26_sgpr27
.LBB142_986:
	s_andn2_b64 vcc, exec, s[28:29]
	s_cbranch_vccnz .LBB142_988
; %bb.987:
	v_mov_b32_e32 v0, 0
	v_cmp_ne_u16_sdwa s[24:25], s11, v0 src0_sel:BYTE_0 src1_sel:DWORD
	s_mov_b64 s[26:27], 0
.LBB142_988:
	s_andn2_b64 vcc, exec, s[24:25]
	v_pk_mov_b32 v[0:1], s[26:27], s[26:27] op_sel:[0,1]
	s_cbranch_vccnz .LBB142_990
; %bb.989:
	v_pk_mov_b32 v[0:1], v[8:9], v[8:9] op_sel:[0,1]
.LBB142_990:
	s_mov_b64 s[24:25], 0
	global_store_dwordx2 v[10:11], v[0:1], off
.LBB142_991:
	s_mov_b64 s[26:27], 0
.LBB142_992:
	s_and_b64 vcc, exec, s[26:27]
	s_cbranch_vccz .LBB142_1015
; %bb.993:
	v_cmp_gt_i16_e32 vcc, 27, v12
	s_mov_b64 s[26:27], -1
	s_cbranch_vccnz .LBB142_1013
; %bb.994:
	v_cmp_lt_i16_e32 vcc, 27, v12
	s_cbranch_vccz .LBB142_1003
; %bb.995:
	v_mov_b32_e32 v0, 0x80
	v_cmp_lt_i16_sdwa s[26:27], s11, v0 src0_sel:BYTE_0 src1_sel:DWORD
	s_and_b64 vcc, exec, s[26:27]
	s_cbranch_vccnz .LBB142_997
; %bb.996:
	v_cmp_ne_u16_sdwa s[26:27], s11, v0 src0_sel:BYTE_0 src1_sel:DWORD
	s_mov_b64 s[28:29], 0
	s_mov_b32 s30, 0
	s_branch .LBB142_998
.LBB142_997:
	s_mov_b64 s[28:29], -1
	s_mov_b64 s[26:27], 0
                                        ; implicit-def: $sgpr30
.LBB142_998:
	s_andn2_b64 vcc, exec, s[28:29]
	s_cbranch_vccnz .LBB142_1000
; %bb.999:
	v_mov_b32_e32 v0, 0
	s_mov_b32 s30, 0
	v_cmp_ne_u16_sdwa s[26:27], s11, v0 src0_sel:BYTE_0 src1_sel:DWORD
.LBB142_1000:
	s_andn2_b64 vcc, exec, s[26:27]
	v_mov_b32_e32 v0, s30
	s_cbranch_vccnz .LBB142_1002
; %bb.1001:
	v_mov_b32_e32 v0, v15
.LBB142_1002:
	global_store_dword v[10:11], v0, off
	s_mov_b64 s[26:27], 0
.LBB142_1003:
	s_and_b64 vcc, exec, s[26:27]
	s_cbranch_vccz .LBB142_1012
; %bb.1004:
	v_mov_b32_e32 v0, 0x80
	v_cmp_lt_i16_sdwa s[26:27], s11, v0 src0_sel:BYTE_0 src1_sel:DWORD
	s_and_b64 vcc, exec, s[26:27]
	s_cbranch_vccnz .LBB142_1006
; %bb.1005:
	v_cmp_ne_u16_sdwa s[26:27], s11, v0 src0_sel:BYTE_0 src1_sel:DWORD
	s_mov_b64 s[28:29], 0
	s_mov_b32 s30, 0
	s_branch .LBB142_1007
.LBB142_1006:
	s_mov_b64 s[28:29], -1
	s_mov_b64 s[26:27], 0
                                        ; implicit-def: $sgpr30
.LBB142_1007:
	s_andn2_b64 vcc, exec, s[28:29]
	s_cbranch_vccnz .LBB142_1009
; %bb.1008:
	v_mov_b32_e32 v0, 0
	s_mov_b32 s30, 0
	v_cmp_ne_u16_sdwa s[26:27], s11, v0 src0_sel:BYTE_0 src1_sel:DWORD
.LBB142_1009:
	s_andn2_b64 vcc, exec, s[26:27]
	v_mov_b32_e32 v0, s30
	s_cbranch_vccnz .LBB142_1011
; %bb.1010:
	v_mov_b32_e32 v0, v15
.LBB142_1011:
	global_store_short v[10:11], v0, off
.LBB142_1012:
	s_mov_b64 s[26:27], 0
.LBB142_1013:
	s_andn2_b64 vcc, exec, s[26:27]
	s_cbranch_vccnz .LBB142_1015
; %bb.1014:
	v_mov_b32_e32 v0, s11
	global_store_byte v[10:11], v0, off
.LBB142_1015:
	s_mov_b64 s[28:29], 0
.LBB142_1016:
	s_mov_b64 s[26:27], 0
	s_and_b64 vcc, exec, s[28:29]
	s_cbranch_vccz .LBB142_1023
; %bb.1017:
	v_cmp_lt_i16_e32 vcc, 22, v12
	s_mov_b64 s[28:29], -1
	s_cbranch_vccz .LBB142_1086
; %bb.1018:
	v_cmp_gt_i16_e32 vcc, 24, v12
	s_cbranch_vccnz .LBB142_1063
; %bb.1019:
	v_cmp_lt_i16_e32 vcc, 24, v12
	s_cbranch_vccz .LBB142_1040
; %bb.1020:
	v_mov_b32_e32 v0, 0x80
	v_cmp_lt_i16_sdwa s[28:29], s11, v0 src0_sel:BYTE_0 src1_sel:DWORD
	s_and_b64 vcc, exec, s[28:29]
	s_cbranch_vccnz .LBB142_1024
; %bb.1021:
	v_cmp_eq_u16_sdwa s[28:29], s11, v0 src0_sel:BYTE_0 src1_sel:DWORD
	s_and_b64 vcc, exec, s[28:29]
	s_cbranch_vccz .LBB142_1025
; %bb.1022:
	s_mov_b64 s[28:29], 0
	s_mov_b32 s34, 0x7f800001
	s_branch .LBB142_1026
.LBB142_1023:
	s_mov_b64 s[28:29], 0
	s_branch .LBB142_1103
.LBB142_1024:
	s_mov_b64 s[30:31], -1
	s_mov_b64 s[28:29], 0
                                        ; implicit-def: $sgpr34
	s_branch .LBB142_1027
.LBB142_1025:
	s_mov_b64 s[28:29], -1
                                        ; implicit-def: $sgpr34
.LBB142_1026:
	s_mov_b64 s[30:31], 0
.LBB142_1027:
	s_and_b64 vcc, exec, s[30:31]
	s_cbranch_vccz .LBB142_1030
; %bb.1028:
	v_mov_b32_e32 v0, 0
	s_mov_b32 s34, 0
	v_cmp_ne_u16_sdwa s[28:29], s11, v0 src0_sel:BYTE_0 src1_sel:DWORD
	s_andn2_b64 vcc, exec, s[28:29]
	s_cbranch_vccz .LBB142_1031
.LBB142_1029:
	s_and_b32 s28, s34, 0x7fffffff
	s_cmp_gt_u32 s28, 0x477fffff
	v_mov_b32_e32 v1, 0x80
	s_cbranch_scc0 .LBB142_1032
	s_branch .LBB142_1039
.LBB142_1030:
	s_andn2_b64 vcc, exec, s[28:29]
	s_cbranch_vccnz .LBB142_1029
.LBB142_1031:
	s_mov_b32 s34, s33
	s_and_b32 s28, s34, 0x7fffffff
	s_cmp_gt_u32 s28, 0x477fffff
	v_mov_b32_e32 v1, 0x80
	s_cbranch_scc1 .LBB142_1039
.LBB142_1032:
	s_cmp_lt_u32 s28, 0x38000000
	s_cbranch_scc1 .LBB142_1034
; %bb.1033:
	s_bfe_u32 s28, s34, 0x10015
	s_add_i32 s28, s34, s28
	s_add_i32 s28, s28, 0x88fffff
	s_lshr_b32 s35, s28, 21
	s_mov_b64 s[30:31], 0
	s_mov_b64 s[28:29], -1
	s_branch .LBB142_1035
.LBB142_1034:
	s_mov_b64 s[30:31], -1
	s_mov_b64 s[28:29], 0
                                        ; implicit-def: $sgpr35
.LBB142_1035:
	s_andn2_b64 vcc, exec, s[30:31]
	v_mov_b32_e32 v0, s35
                                        ; implicit-def: $sgpr30
	s_cbranch_vccnz .LBB142_1037
; %bb.1036:
	v_mov_b32_e32 v0, 0x42800000
	v_add_f32_e64 v0, |s34|, v0
	v_and_b32_e32 v0, 0xff, v0
	s_mov_b32 s30, 0
	v_cmp_ne_u32_e64 s[28:29], 0, v0
.LBB142_1037:
	s_andn2_b64 vcc, exec, s[28:29]
	v_mov_b32_e32 v1, s30
	s_cbranch_vccnz .LBB142_1039
; %bb.1038:
	s_lshr_b32 s28, s34, 24
	s_and_b32 s28, s28, 0x80
	v_or_b32_e32 v1, s28, v0
.LBB142_1039:
	global_store_byte v[10:11], v1, off
	s_mov_b64 s[28:29], 0
.LBB142_1040:
	s_and_b64 vcc, exec, s[28:29]
	s_cbranch_vccz .LBB142_1062
; %bb.1041:
	v_mov_b32_e32 v0, 0x80
	v_cmp_lt_i16_sdwa s[28:29], s11, v0 src0_sel:BYTE_0 src1_sel:DWORD
	s_and_b64 vcc, exec, s[28:29]
	s_cbranch_vccnz .LBB142_1044
; %bb.1042:
	v_cmp_eq_u16_sdwa s[28:29], s11, v0 src0_sel:BYTE_0 src1_sel:DWORD
	s_and_b64 vcc, exec, s[28:29]
	s_cbranch_vccz .LBB142_1045
; %bb.1043:
	s_mov_b64 s[28:29], 0
	s_mov_b32 s34, 0x7f800001
	s_branch .LBB142_1046
.LBB142_1044:
	s_mov_b64 s[30:31], -1
	s_mov_b64 s[28:29], 0
                                        ; implicit-def: $sgpr34
	s_branch .LBB142_1047
.LBB142_1045:
	s_mov_b64 s[28:29], -1
                                        ; implicit-def: $sgpr34
.LBB142_1046:
	s_mov_b64 s[30:31], 0
.LBB142_1047:
	s_and_b64 vcc, exec, s[30:31]
	s_cbranch_vccz .LBB142_1052
; %bb.1048:
	v_mov_b32_e32 v0, 0
	s_mov_b32 s34, 0
	v_cmp_ne_u16_sdwa s[28:29], s11, v0 src0_sel:BYTE_0 src1_sel:DWORD
	s_andn2_b64 vcc, exec, s[28:29]
	s_cbranch_vccz .LBB142_1053
.LBB142_1049:
	s_and_b32 s30, s34, 0x7fffffff
	s_cmp_gt_u32 s30, 0x43efffff
	s_cbranch_scc1 .LBB142_1054
.LBB142_1050:
	s_cmp_lt_u32 s30, 0x3c800000
	s_cbranch_scc1 .LBB142_1055
; %bb.1051:
	s_bfe_u32 s28, s34, 0x10014
	s_add_i32 s28, s34, s28
	s_add_i32 s28, s28, 0x407ffff
	s_lshr_b32 s29, s28, 20
	s_and_b32 s28, s28, 0xff00000
	s_cmp_lg_u32 s28, 0x7f00000
	s_cselect_b32 s31, s29, 0x7e
	s_mov_b64 s[28:29], 0
	s_branch .LBB142_1056
.LBB142_1052:
	s_andn2_b64 vcc, exec, s[28:29]
	s_cbranch_vccnz .LBB142_1049
.LBB142_1053:
	s_mov_b32 s34, s33
	s_and_b32 s30, s34, 0x7fffffff
	s_cmp_gt_u32 s30, 0x43efffff
	s_cbranch_scc0 .LBB142_1050
.LBB142_1054:
	s_mov_b64 s[28:29], -1
                                        ; implicit-def: $vgpr0
	s_branch .LBB142_1059
.LBB142_1055:
	s_mov_b64 s[28:29], -1
                                        ; implicit-def: $sgpr31
.LBB142_1056:
	s_andn2_b64 vcc, exec, s[28:29]
	v_mov_b32_e32 v0, s31
	s_cbranch_vccnz .LBB142_1058
; %bb.1057:
	v_mov_b32_e32 v0, 0x46800000
	v_add_f32_e64 v0, |s34|, v0
.LBB142_1058:
	s_mov_b64 s[28:29], 0
.LBB142_1059:
	s_andn2_b64 vcc, exec, s[28:29]
	s_cbranch_vccnz .LBB142_1061
; %bb.1060:
	s_cmp_gt_u32 s30, 0x7f800000
	s_movk_i32 s28, 0x7f
	s_cselect_b32 s28, s28, 0x7e
	v_mov_b32_e32 v0, s28
.LBB142_1061:
	s_lshr_b32 s28, s34, 24
	s_and_b32 s28, s28, 0x80
	v_or_b32_e32 v0, s28, v0
	global_store_byte v[10:11], v0, off
.LBB142_1062:
	s_mov_b64 s[28:29], 0
.LBB142_1063:
	s_andn2_b64 vcc, exec, s[28:29]
	s_cbranch_vccnz .LBB142_1085
; %bb.1064:
	v_mov_b32_e32 v0, 0x80
	v_cmp_lt_i16_sdwa s[28:29], s11, v0 src0_sel:BYTE_0 src1_sel:DWORD
	s_and_b64 vcc, exec, s[28:29]
	s_cbranch_vccnz .LBB142_1067
; %bb.1065:
	v_cmp_eq_u16_sdwa s[28:29], s11, v0 src0_sel:BYTE_0 src1_sel:DWORD
	s_and_b64 vcc, exec, s[28:29]
	s_cbranch_vccz .LBB142_1068
; %bb.1066:
	s_mov_b64 s[28:29], 0
	s_mov_b32 s34, 0x7f800001
	s_branch .LBB142_1069
.LBB142_1067:
	s_mov_b64 s[30:31], -1
	s_mov_b64 s[28:29], 0
                                        ; implicit-def: $sgpr34
	s_branch .LBB142_1070
.LBB142_1068:
	s_mov_b64 s[28:29], -1
                                        ; implicit-def: $sgpr34
.LBB142_1069:
	s_mov_b64 s[30:31], 0
.LBB142_1070:
	s_and_b64 vcc, exec, s[30:31]
	s_cbranch_vccz .LBB142_1075
; %bb.1071:
	v_mov_b32_e32 v0, 0
	s_mov_b32 s34, 0
	v_cmp_ne_u16_sdwa s[28:29], s11, v0 src0_sel:BYTE_0 src1_sel:DWORD
	s_andn2_b64 vcc, exec, s[28:29]
	s_cbranch_vccz .LBB142_1076
.LBB142_1072:
	s_and_b32 s30, s34, 0x7fffffff
	s_cmp_gt_u32 s30, 0x477fffff
	s_cbranch_scc1 .LBB142_1077
.LBB142_1073:
	s_cmp_lt_u32 s30, 0x38800000
	s_cbranch_scc1 .LBB142_1078
; %bb.1074:
	s_bfe_u32 s28, s34, 0x10015
	s_add_i32 s28, s34, s28
	s_add_i32 s28, s28, 0x80fffff
	s_lshr_b32 s31, s28, 21
	s_mov_b64 s[28:29], 0
	s_branch .LBB142_1079
.LBB142_1075:
	s_andn2_b64 vcc, exec, s[28:29]
	s_cbranch_vccnz .LBB142_1072
.LBB142_1076:
	s_mov_b32 s34, s33
	s_and_b32 s30, s34, 0x7fffffff
	s_cmp_gt_u32 s30, 0x477fffff
	s_cbranch_scc0 .LBB142_1073
.LBB142_1077:
	s_mov_b64 s[28:29], -1
                                        ; implicit-def: $vgpr0
	s_branch .LBB142_1082
.LBB142_1078:
	s_mov_b64 s[28:29], -1
                                        ; implicit-def: $sgpr31
.LBB142_1079:
	s_andn2_b64 vcc, exec, s[28:29]
	v_mov_b32_e32 v0, s31
	s_cbranch_vccnz .LBB142_1081
; %bb.1080:
	v_mov_b32_e32 v0, 0x43000000
	v_add_f32_e64 v0, |s34|, v0
.LBB142_1081:
	s_mov_b64 s[28:29], 0
.LBB142_1082:
	s_andn2_b64 vcc, exec, s[28:29]
	s_cbranch_vccnz .LBB142_1084
; %bb.1083:
	s_cmp_gt_u32 s30, 0x7f800000
	s_movk_i32 s28, 0x7f
	s_cselect_b32 s28, s28, 0x7c
	v_mov_b32_e32 v0, s28
.LBB142_1084:
	s_lshr_b32 s28, s34, 24
	s_and_b32 s28, s28, 0x80
	v_or_b32_e32 v0, s28, v0
	global_store_byte v[10:11], v0, off
.LBB142_1085:
	s_mov_b64 s[28:29], 0
.LBB142_1086:
	s_andn2_b64 vcc, exec, s[28:29]
	s_mov_b64 s[28:29], 0
	s_cbranch_vccnz .LBB142_1103
; %bb.1087:
	v_cmp_lt_i16_e32 vcc, 14, v12
	s_mov_b64 s[30:31], -1
	s_cbranch_vccz .LBB142_1101
; %bb.1088:
	v_cmp_eq_u16_e32 vcc, 15, v12
	s_mov_b64 s[24:25], -1
	s_cbranch_vccz .LBB142_1100
; %bb.1089:
	v_mov_b32_e32 v0, 0x80
	v_cmp_lt_i16_sdwa s[24:25], s11, v0 src0_sel:BYTE_0 src1_sel:DWORD
	s_and_b64 vcc, exec, s[24:25]
	s_cbranch_vccnz .LBB142_1092
; %bb.1090:
	v_cmp_eq_u16_sdwa s[24:25], s11, v0 src0_sel:BYTE_0 src1_sel:DWORD
	s_and_b64 vcc, exec, s[24:25]
	s_cbranch_vccz .LBB142_1093
; %bb.1091:
	s_mov_b64 s[24:25], 0
	s_mov_b32 s30, 0x7f800001
	s_branch .LBB142_1095
.LBB142_1092:
	s_mov_b64 s[28:29], -1
	s_mov_b64 s[24:25], 0
	s_branch .LBB142_1094
.LBB142_1093:
	s_mov_b64 s[24:25], -1
.LBB142_1094:
                                        ; implicit-def: $sgpr30
.LBB142_1095:
	s_and_b64 vcc, exec, s[28:29]
	s_cbranch_vccz .LBB142_1097
; %bb.1096:
	v_mov_b32_e32 v0, 0
	s_mov_b32 s30, 0
	v_cmp_ne_u16_sdwa s[24:25], s11, v0 src0_sel:BYTE_0 src1_sel:DWORD
.LBB142_1097:
	s_andn2_b64 vcc, exec, s[24:25]
	s_cbranch_vccnz .LBB142_1099
; %bb.1098:
	s_mov_b32 s30, s33
.LBB142_1099:
	s_bfe_u32 s24, s30, 0x10010
	s_add_i32 s24, s30, s24
	s_addk_i32 s24, 0x7fff
	s_lshr_b32 s28, s24, 16
	v_cmp_o_f32_e64 s[24:25], s30, s30
	s_and_b64 s[24:25], s[24:25], exec
	s_cselect_b32 s24, s28, 0x7fc0
	v_mov_b32_e32 v0, s24
	global_store_short v[10:11], v0, off
	s_mov_b64 s[24:25], 0
.LBB142_1100:
	s_mov_b64 s[30:31], 0
.LBB142_1101:
	s_mov_b64 s[28:29], 0
	s_and_b64 vcc, exec, s[30:31]
	s_cbranch_vccz .LBB142_1103
; %bb.1102:
	v_cmp_ne_u16_e32 vcc, 11, v12
	s_andn2_b64 s[24:25], s[24:25], exec
	s_and_b64 s[30:31], vcc, exec
	s_mov_b64 s[28:29], -1
	s_or_b64 s[24:25], s[24:25], s[30:31]
.LBB142_1103:
	s_and_b64 s[30:31], s[26:27], exec
	s_and_b64 s[26:27], s[28:29], exec
	s_andn2_b64 s[28:29], s[20:21], exec
	s_and_b64 s[24:25], s[24:25], exec
	s_or_b64 s[24:25], s[28:29], s[24:25]
.LBB142_1104:
	s_or_b64 exec, exec, s[22:23]
	s_andn2_b64 s[20:21], s[20:21], exec
	s_and_b64 s[24:25], s[24:25], exec
	s_and_b64 s[28:29], s[30:31], exec
	;; [unrolled: 1-line block ×3, first 2 shown]
	s_or_b64 s[20:21], s[20:21], s[24:25]
.LBB142_1105:
	s_or_b64 exec, exec, s[18:19]
	s_andn2_b64 s[14:15], s[14:15], exec
	s_and_b64 s[20:21], s[20:21], exec
	s_and_b64 s[18:19], s[28:29], exec
	;; [unrolled: 1-line block ×3, first 2 shown]
	s_or_b64 s[14:15], s[14:15], s[20:21]
.LBB142_1106:
	s_or_b64 exec, exec, s[16:17]
	s_andn2_b64 s[6:7], s[6:7], exec
	s_and_b64 s[14:15], s[14:15], exec
	s_and_b64 s[18:19], s[18:19], exec
	s_and_b64 s[16:17], s[22:23], exec
	s_or_b64 s[6:7], s[6:7], s[14:15]
	s_or_b64 exec, exec, s[12:13]
	s_mov_b64 s[12:13], 0
	s_and_saveexec_b64 s[14:15], s[6:7]
	s_cbranch_execz .LBB142_322
.LBB142_1107:
	s_mov_b64 s[12:13], exec
	s_andn2_b64 s[16:17], s[16:17], exec
	s_trap 2
	s_or_b64 exec, exec, s[14:15]
	s_and_saveexec_b64 s[6:7], s[16:17]
	s_cbranch_execnz .LBB142_323
.LBB142_1108:
	s_or_b64 exec, exec, s[6:7]
	s_and_saveexec_b64 s[2:3], s[18:19]
	s_xor_b64 s[2:3], exec, s[2:3]
	s_cbranch_execz .LBB142_1241
.LBB142_1109:
	v_cmp_gt_i16_e32 vcc, 5, v12
	s_mov_b64 s[6:7], -1
	s_cbranch_vccnz .LBB142_1190
; %bb.1110:
	v_cmp_gt_i16_e32 vcc, 8, v12
	s_cbranch_vccnz .LBB142_1150
; %bb.1111:
	v_cmp_gt_i16_e32 vcc, 9, v12
	s_cbranch_vccnz .LBB142_1137
; %bb.1112:
	v_cmp_lt_i16_e32 vcc, 9, v12
	s_cbranch_vccz .LBB142_1124
; %bb.1113:
	v_mov_b32_e32 v0, 0x80
	v_cmp_lt_i16_sdwa s[6:7], s11, v0 src0_sel:BYTE_0 src1_sel:DWORD
	s_and_b64 vcc, exec, s[6:7]
	s_cbranch_vccnz .LBB142_1116
; %bb.1114:
	v_cmp_eq_u16_sdwa s[6:7], s11, v0 src0_sel:BYTE_0 src1_sel:DWORD
	s_and_b64 vcc, exec, s[6:7]
	s_cbranch_vccz .LBB142_1117
; %bb.1115:
	s_mov_b64 s[6:7], 0
	s_mov_b32 s15, 0x7ff80000
	s_brev_b32 s14, 4
	s_branch .LBB142_1118
.LBB142_1116:
	s_mov_b64 s[16:17], -1
	s_mov_b64 s[6:7], 0
                                        ; implicit-def: $sgpr14_sgpr15
	s_branch .LBB142_1119
.LBB142_1117:
	s_mov_b64 s[6:7], -1
                                        ; implicit-def: $sgpr14_sgpr15
.LBB142_1118:
	s_mov_b64 s[16:17], 0
.LBB142_1119:
	s_and_b64 vcc, exec, s[16:17]
	s_cbranch_vccz .LBB142_1121
; %bb.1120:
	v_mov_b32_e32 v0, 0
	v_cmp_ne_u16_sdwa s[6:7], s11, v0 src0_sel:BYTE_0 src1_sel:DWORD
	s_mov_b64 s[14:15], 0
.LBB142_1121:
	s_andn2_b64 vcc, exec, s[6:7]
	v_pk_mov_b32 v[0:1], s[14:15], s[14:15] op_sel:[0,1]
	s_cbranch_vccnz .LBB142_1123
; %bb.1122:
	v_pk_mov_b32 v[0:1], v[6:7], v[6:7] op_sel:[0,1]
.LBB142_1123:
	v_mov_b32_e32 v2, 0
	v_mov_b32_e32 v3, v2
	global_store_dwordx4 v[10:11], v[0:3], off
	s_mov_b64 s[6:7], 0
.LBB142_1124:
	s_and_b64 vcc, exec, s[6:7]
	s_cbranch_vccz .LBB142_1136
; %bb.1125:
	v_mov_b32_e32 v0, 0x80
	v_cmp_lt_i16_sdwa s[6:7], s11, v0 src0_sel:BYTE_0 src1_sel:DWORD
	s_and_b64 vcc, exec, s[6:7]
	s_cbranch_vccnz .LBB142_1128
; %bb.1126:
	v_cmp_eq_u16_sdwa s[6:7], s11, v0 src0_sel:BYTE_0 src1_sel:DWORD
	s_and_b64 vcc, exec, s[6:7]
	s_cbranch_vccz .LBB142_1129
; %bb.1127:
	s_mov_b64 s[6:7], 0
	s_mov_b32 s16, 0x7f800001
	s_branch .LBB142_1130
.LBB142_1128:
	s_mov_b64 s[14:15], -1
	s_mov_b64 s[6:7], 0
                                        ; implicit-def: $sgpr16
	s_branch .LBB142_1131
.LBB142_1129:
	s_mov_b64 s[6:7], -1
                                        ; implicit-def: $sgpr16
.LBB142_1130:
	s_mov_b64 s[14:15], 0
.LBB142_1131:
	s_and_b64 vcc, exec, s[14:15]
	v_mov_b32_e32 v0, s16
	s_cbranch_vccz .LBB142_1133
; %bb.1132:
	s_mov_b32 s6, 0xffff
	v_mov_b32_e32 v0, s11
	v_mov_b32_e32 v1, 0
	v_and_b32_sdwa v0, s6, v0 dst_sel:DWORD dst_unused:UNUSED_PAD src0_sel:DWORD src1_sel:BYTE_0
	v_cmp_ne_u16_sdwa s[6:7], s11, v1 src0_sel:BYTE_0 src1_sel:DWORD
.LBB142_1133:
	s_andn2_b64 vcc, exec, s[6:7]
	s_cbranch_vccnz .LBB142_1135
; %bb.1134:
	v_mov_b32_e32 v0, s33
.LBB142_1135:
	v_mov_b32_e32 v1, 0
	global_store_dwordx2 v[10:11], v[0:1], off
.LBB142_1136:
	s_mov_b64 s[6:7], 0
.LBB142_1137:
	s_andn2_b64 vcc, exec, s[6:7]
	s_cbranch_vccnz .LBB142_1149
; %bb.1138:
	v_mov_b32_e32 v0, 0x80
	v_cmp_lt_i16_sdwa s[6:7], s11, v0 src0_sel:BYTE_0 src1_sel:DWORD
	s_and_b64 vcc, exec, s[6:7]
	s_cbranch_vccnz .LBB142_1141
; %bb.1139:
	v_cmp_eq_u16_sdwa s[6:7], s11, v0 src0_sel:BYTE_0 src1_sel:DWORD
	s_and_b64 vcc, exec, s[6:7]
	s_cbranch_vccz .LBB142_1142
; %bb.1140:
	s_mov_b64 s[6:7], 0
	s_movk_i32 s16, 0x7e00
	s_branch .LBB142_1143
.LBB142_1141:
	s_mov_b64 s[14:15], -1
	s_mov_b64 s[6:7], 0
                                        ; implicit-def: $sgpr16
	s_branch .LBB142_1144
.LBB142_1142:
	s_mov_b64 s[6:7], -1
                                        ; implicit-def: $sgpr16
.LBB142_1143:
	s_mov_b64 s[14:15], 0
.LBB142_1144:
	s_and_b64 vcc, exec, s[14:15]
	v_mov_b32_e32 v0, s16
	s_cbranch_vccz .LBB142_1146
; %bb.1145:
	s_mov_b32 s6, 0xffff
	v_mov_b32_e32 v0, s11
	v_mov_b32_e32 v1, 0
	v_and_b32_sdwa v0, s6, v0 dst_sel:DWORD dst_unused:UNUSED_PAD src0_sel:DWORD src1_sel:BYTE_0
	v_cmp_ne_u16_sdwa s[6:7], s11, v1 src0_sel:BYTE_0 src1_sel:DWORD
.LBB142_1146:
	s_andn2_b64 vcc, exec, s[6:7]
	s_cbranch_vccnz .LBB142_1148
; %bb.1147:
	v_mov_b32_e32 v0, v14
.LBB142_1148:
	global_store_dword v[10:11], v0, off
.LBB142_1149:
	s_mov_b64 s[6:7], 0
.LBB142_1150:
	s_andn2_b64 vcc, exec, s[6:7]
	s_cbranch_vccnz .LBB142_1189
; %bb.1151:
	v_cmp_gt_i16_e32 vcc, 6, v12
	s_mov_b64 s[6:7], -1
	s_cbranch_vccnz .LBB142_1177
; %bb.1152:
	v_cmp_lt_i16_e32 vcc, 6, v12
	s_cbranch_vccz .LBB142_1164
; %bb.1153:
	v_mov_b32_e32 v0, 0x80
	v_cmp_lt_i16_sdwa s[6:7], s11, v0 src0_sel:BYTE_0 src1_sel:DWORD
	s_and_b64 vcc, exec, s[6:7]
	s_cbranch_vccnz .LBB142_1156
; %bb.1154:
	v_cmp_eq_u16_sdwa s[6:7], s11, v0 src0_sel:BYTE_0 src1_sel:DWORD
	s_and_b64 vcc, exec, s[6:7]
	s_cbranch_vccz .LBB142_1157
; %bb.1155:
	s_mov_b64 s[6:7], 0
	s_mov_b32 s15, 0x7ff80000
	s_brev_b32 s14, 4
	s_branch .LBB142_1158
.LBB142_1156:
	s_mov_b64 s[16:17], -1
	s_mov_b64 s[6:7], 0
                                        ; implicit-def: $sgpr14_sgpr15
	s_branch .LBB142_1159
.LBB142_1157:
	s_mov_b64 s[6:7], -1
                                        ; implicit-def: $sgpr14_sgpr15
.LBB142_1158:
	s_mov_b64 s[16:17], 0
.LBB142_1159:
	s_and_b64 vcc, exec, s[16:17]
	s_cbranch_vccz .LBB142_1161
; %bb.1160:
	v_mov_b32_e32 v0, 0
	v_cmp_ne_u16_sdwa s[6:7], s11, v0 src0_sel:BYTE_0 src1_sel:DWORD
	s_mov_b64 s[14:15], 0
.LBB142_1161:
	s_andn2_b64 vcc, exec, s[6:7]
	v_pk_mov_b32 v[0:1], s[14:15], s[14:15] op_sel:[0,1]
	s_cbranch_vccnz .LBB142_1163
; %bb.1162:
	v_pk_mov_b32 v[0:1], v[6:7], v[6:7] op_sel:[0,1]
.LBB142_1163:
	global_store_dwordx2 v[10:11], v[0:1], off
	s_mov_b64 s[6:7], 0
.LBB142_1164:
	s_and_b64 vcc, exec, s[6:7]
	s_cbranch_vccz .LBB142_1176
; %bb.1165:
	v_mov_b32_e32 v0, 0x80
	v_cmp_lt_i16_sdwa s[6:7], s11, v0 src0_sel:BYTE_0 src1_sel:DWORD
	s_and_b64 vcc, exec, s[6:7]
	s_cbranch_vccnz .LBB142_1168
; %bb.1166:
	v_cmp_eq_u16_sdwa s[6:7], s11, v0 src0_sel:BYTE_0 src1_sel:DWORD
	s_and_b64 vcc, exec, s[6:7]
	s_cbranch_vccz .LBB142_1169
; %bb.1167:
	s_mov_b64 s[6:7], 0
	s_mov_b32 s16, 0x7f800001
	s_branch .LBB142_1170
.LBB142_1168:
	s_mov_b64 s[14:15], -1
	s_mov_b64 s[6:7], 0
                                        ; implicit-def: $sgpr16
	s_branch .LBB142_1171
.LBB142_1169:
	s_mov_b64 s[6:7], -1
                                        ; implicit-def: $sgpr16
.LBB142_1170:
	s_mov_b64 s[14:15], 0
.LBB142_1171:
	s_and_b64 vcc, exec, s[14:15]
	s_cbranch_vccz .LBB142_1173
; %bb.1172:
	v_mov_b32_e32 v0, 0
	s_mov_b32 s16, 0
	v_cmp_ne_u16_sdwa s[6:7], s11, v0 src0_sel:BYTE_0 src1_sel:DWORD
.LBB142_1173:
	s_andn2_b64 vcc, exec, s[6:7]
	s_cbranch_vccnz .LBB142_1175
; %bb.1174:
	s_mov_b32 s16, s33
.LBB142_1175:
	v_mov_b32_e32 v0, s16
	global_store_dword v[10:11], v0, off
.LBB142_1176:
	s_mov_b64 s[6:7], 0
.LBB142_1177:
	s_andn2_b64 vcc, exec, s[6:7]
	s_cbranch_vccnz .LBB142_1189
; %bb.1178:
	v_mov_b32_e32 v0, 0xff
	v_and_b32_e32 v0, s11, v0
	s_movk_i32 s6, 0x80
	v_cmp_gt_i16_e32 vcc, s6, v0
	s_cbranch_vccnz .LBB142_1181
; %bb.1179:
	v_cmp_eq_u16_e32 vcc, s6, v0
	s_cbranch_vccz .LBB142_1182
; %bb.1180:
	s_mov_b64 s[6:7], 0
	s_movk_i32 s16, 0x7e00
	s_branch .LBB142_1183
.LBB142_1181:
	s_mov_b64 s[14:15], -1
	s_mov_b64 s[6:7], 0
                                        ; implicit-def: $sgpr16
	s_branch .LBB142_1184
.LBB142_1182:
	s_mov_b64 s[6:7], -1
                                        ; implicit-def: $sgpr16
.LBB142_1183:
	s_mov_b64 s[14:15], 0
.LBB142_1184:
	s_and_b64 vcc, exec, s[14:15]
	v_mov_b32_e32 v1, s16
	s_cbranch_vccz .LBB142_1186
; %bb.1185:
	v_cmp_ne_u16_e64 s[6:7], 0, v0
	v_mov_b32_e32 v1, v0
.LBB142_1186:
	s_andn2_b64 vcc, exec, s[6:7]
	s_cbranch_vccnz .LBB142_1188
; %bb.1187:
	v_mov_b32_e32 v1, v14
.LBB142_1188:
	global_store_short v[10:11], v1, off
.LBB142_1189:
	s_mov_b64 s[6:7], 0
.LBB142_1190:
	s_andn2_b64 vcc, exec, s[6:7]
	s_cbranch_vccnz .LBB142_1241
; %bb.1191:
	v_cmp_gt_i16_e32 vcc, 2, v12
	s_mov_b64 s[6:7], -1
	s_cbranch_vccnz .LBB142_1222
; %bb.1192:
	v_cmp_gt_i16_e32 vcc, 3, v12
	s_cbranch_vccnz .LBB142_1212
; %bb.1193:
	v_cmp_lt_i16_e32 vcc, 3, v12
	s_cbranch_vccz .LBB142_1202
; %bb.1194:
	v_mov_b32_e32 v0, 0x80
	v_cmp_lt_i16_sdwa s[6:7], s11, v0 src0_sel:BYTE_0 src1_sel:DWORD
	s_and_b64 vcc, exec, s[6:7]
	s_cbranch_vccnz .LBB142_1196
; %bb.1195:
	v_cmp_ne_u16_sdwa s[6:7], s11, v0 src0_sel:BYTE_0 src1_sel:DWORD
	s_mov_b64 s[16:17], 0
	s_mov_b64 s[14:15], 0
	s_branch .LBB142_1197
.LBB142_1196:
	s_mov_b64 s[16:17], -1
	s_mov_b64 s[6:7], 0
                                        ; implicit-def: $sgpr14_sgpr15
.LBB142_1197:
	s_andn2_b64 vcc, exec, s[16:17]
	s_cbranch_vccnz .LBB142_1199
; %bb.1198:
	v_mov_b32_e32 v0, 0
	v_cmp_ne_u16_sdwa s[6:7], s11, v0 src0_sel:BYTE_0 src1_sel:DWORD
	s_mov_b64 s[14:15], 0
.LBB142_1199:
	s_andn2_b64 vcc, exec, s[6:7]
	v_pk_mov_b32 v[0:1], s[14:15], s[14:15] op_sel:[0,1]
	s_cbranch_vccnz .LBB142_1201
; %bb.1200:
	v_pk_mov_b32 v[0:1], v[4:5], v[4:5] op_sel:[0,1]
.LBB142_1201:
	global_store_dwordx2 v[10:11], v[0:1], off
	s_mov_b64 s[6:7], 0
.LBB142_1202:
	s_and_b64 vcc, exec, s[6:7]
	s_cbranch_vccz .LBB142_1211
; %bb.1203:
	v_mov_b32_e32 v0, 0x80
	v_cmp_lt_i16_sdwa s[6:7], s11, v0 src0_sel:BYTE_0 src1_sel:DWORD
	s_and_b64 vcc, exec, s[6:7]
	s_cbranch_vccnz .LBB142_1205
; %bb.1204:
	v_cmp_ne_u16_sdwa s[6:7], s11, v0 src0_sel:BYTE_0 src1_sel:DWORD
	s_mov_b64 s[14:15], 0
	s_mov_b32 s16, 0
	s_branch .LBB142_1206
.LBB142_1205:
	s_mov_b64 s[14:15], -1
	s_mov_b64 s[6:7], 0
                                        ; implicit-def: $sgpr16
.LBB142_1206:
	s_andn2_b64 vcc, exec, s[14:15]
	s_cbranch_vccnz .LBB142_1208
; %bb.1207:
	v_mov_b32_e32 v0, 0
	s_mov_b32 s16, 0
	v_cmp_ne_u16_sdwa s[6:7], s11, v0 src0_sel:BYTE_0 src1_sel:DWORD
.LBB142_1208:
	s_andn2_b64 vcc, exec, s[6:7]
	v_mov_b32_e32 v0, s16
	s_cbranch_vccnz .LBB142_1210
; %bb.1209:
	v_mov_b32_e32 v0, v13
.LBB142_1210:
	global_store_dword v[10:11], v0, off
.LBB142_1211:
	s_mov_b64 s[6:7], 0
.LBB142_1212:
	s_andn2_b64 vcc, exec, s[6:7]
	s_cbranch_vccnz .LBB142_1221
; %bb.1213:
	v_mov_b32_e32 v0, 0x80
	v_cmp_lt_i16_sdwa s[6:7], s11, v0 src0_sel:BYTE_0 src1_sel:DWORD
	s_and_b64 vcc, exec, s[6:7]
	s_cbranch_vccnz .LBB142_1215
; %bb.1214:
	v_cmp_ne_u16_sdwa s[6:7], s11, v0 src0_sel:BYTE_0 src1_sel:DWORD
	s_mov_b64 s[14:15], 0
	s_mov_b32 s16, 0
	s_branch .LBB142_1216
.LBB142_1215:
	s_mov_b64 s[14:15], -1
	s_mov_b64 s[6:7], 0
                                        ; implicit-def: $sgpr16
.LBB142_1216:
	s_andn2_b64 vcc, exec, s[14:15]
	s_cbranch_vccnz .LBB142_1218
; %bb.1217:
	v_mov_b32_e32 v0, 0
	s_mov_b32 s16, 0
	v_cmp_ne_u16_sdwa s[6:7], s11, v0 src0_sel:BYTE_0 src1_sel:DWORD
.LBB142_1218:
	s_andn2_b64 vcc, exec, s[6:7]
	v_mov_b32_e32 v0, s16
	s_cbranch_vccnz .LBB142_1220
; %bb.1219:
	v_mov_b32_e32 v0, v13
.LBB142_1220:
	global_store_short v[10:11], v0, off
.LBB142_1221:
	s_mov_b64 s[6:7], 0
.LBB142_1222:
	s_andn2_b64 vcc, exec, s[6:7]
	s_cbranch_vccnz .LBB142_1241
; %bb.1223:
	v_cmp_lt_i16_e32 vcc, 0, v12
	s_mov_b64 s[6:7], -1
	s_cbranch_vccz .LBB142_1232
; %bb.1224:
	v_mov_b32_e32 v0, 0x80
	v_cmp_lt_i16_sdwa s[6:7], s11, v0 src0_sel:BYTE_0 src1_sel:DWORD
	s_and_b64 vcc, exec, s[6:7]
	s_cbranch_vccnz .LBB142_1226
; %bb.1225:
	v_cmp_ne_u16_sdwa s[6:7], s11, v0 src0_sel:BYTE_0 src1_sel:DWORD
	s_mov_b64 s[14:15], 0
	s_mov_b32 s16, 0
	s_branch .LBB142_1227
.LBB142_1226:
	s_mov_b64 s[14:15], -1
	s_mov_b64 s[6:7], 0
                                        ; implicit-def: $sgpr16
.LBB142_1227:
	s_andn2_b64 vcc, exec, s[14:15]
	s_cbranch_vccnz .LBB142_1229
; %bb.1228:
	v_mov_b32_e32 v0, 0
	s_mov_b32 s16, 0
	v_cmp_ne_u16_sdwa s[6:7], s11, v0 src0_sel:BYTE_0 src1_sel:DWORD
.LBB142_1229:
	s_andn2_b64 vcc, exec, s[6:7]
	v_mov_b32_e32 v0, s16
	s_cbranch_vccnz .LBB142_1231
; %bb.1230:
	v_mov_b32_e32 v0, v13
.LBB142_1231:
	global_store_byte v[10:11], v0, off
	s_mov_b64 s[6:7], 0
.LBB142_1232:
	s_and_b64 vcc, exec, s[6:7]
	s_cbranch_vccz .LBB142_1241
; %bb.1233:
	v_mov_b32_e32 v0, 0x80
	v_cmp_lt_i16_sdwa s[6:7], s11, v0 src0_sel:BYTE_0 src1_sel:DWORD
	s_and_b64 vcc, exec, s[6:7]
	s_cbranch_vccnz .LBB142_1235
; %bb.1234:
	v_cmp_ne_u16_sdwa s[6:7], s11, v0 src0_sel:BYTE_0 src1_sel:DWORD
	s_mov_b64 s[14:15], 0
	s_mov_b32 s16, 0
	s_branch .LBB142_1236
.LBB142_1235:
	s_mov_b64 s[14:15], -1
	s_mov_b64 s[6:7], 0
                                        ; implicit-def: $sgpr16
.LBB142_1236:
	s_andn2_b64 vcc, exec, s[14:15]
	s_cbranch_vccnz .LBB142_1238
; %bb.1237:
	v_mov_b32_e32 v0, 0
	s_mov_b32 s16, 0
	v_cmp_ne_u16_sdwa s[6:7], s11, v0 src0_sel:BYTE_0 src1_sel:DWORD
.LBB142_1238:
	s_andn2_b64 vcc, exec, s[6:7]
	v_mov_b32_e32 v0, s16
	s_cbranch_vccnz .LBB142_1240
; %bb.1239:
	v_mov_b32_e32 v0, v4
.LBB142_1240:
	global_store_byte v[10:11], v0, off
.LBB142_1241:
	s_or_b64 exec, exec, s[2:3]
	s_and_b64 s[2:3], s[12:13], exec
                                        ; implicit-def: $vgpr12
                                        ; implicit-def: $vgpr16
.LBB142_1242:
	s_or_saveexec_b64 s[4:5], s[4:5]
	s_mov_b64 s[12:13], 0
                                        ; implicit-def: $vgpr4_vgpr5
	s_xor_b64 exec, exec, s[4:5]
	s_cbranch_execz .LBB142_2170
; %bb.1243:
	v_mul_lo_u32 v6, s10, v16
	v_ashrrev_i32_e32 v0, 31, v6
	v_mov_b32_e32 v1, s9
	v_add_co_u32_e32 v4, vcc, s8, v6
	v_addc_co_u32_e32 v5, vcc, v1, v0, vcc
	v_cmp_gt_i16_e64 s[0:1], 11, v12
	s_and_b64 vcc, exec, s[0:1]
	s_cbranch_vccnz .LBB142_1252
; %bb.1244:
	v_cmp_lt_i16_e32 vcc, 25, v12
	s_mov_b64 s[16:17], -1
	s_mov_b64 s[14:15], 0
	s_mov_b64 s[6:7], 0
	s_cbranch_vccz .LBB142_1446
; %bb.1245:
	v_cmp_lt_i16_e32 vcc, 28, v12
	s_cbranch_vccz .LBB142_1421
; %bb.1246:
	v_cmp_lt_i16_e32 vcc, 43, v12
	;; [unrolled: 3-line block ×3, first 2 shown]
	s_cbranch_vccz .LBB142_1394
; %bb.1248:
	v_cmp_eq_u16_e32 vcc, 46, v12
	s_mov_b64 s[6:7], -1
	s_mov_b64 s[16:17], 0
	s_cbranch_vccz .LBB142_1394
; %bb.1249:
	v_mov_b32_e32 v0, 0x80
	v_cmp_lt_i16_sdwa s[6:7], s11, v0 src0_sel:BYTE_0 src1_sel:DWORD
	s_and_b64 vcc, exec, s[6:7]
	s_cbranch_vccnz .LBB142_1261
; %bb.1250:
	v_cmp_eq_u16_sdwa s[6:7], s11, v0 src0_sel:BYTE_0 src1_sel:DWORD
	s_and_b64 vcc, exec, s[6:7]
	s_cbranch_vccz .LBB142_1387
; %bb.1251:
	s_mov_b64 s[6:7], 0
	s_mov_b32 s18, 0x7f800001
	s_branch .LBB142_1389
.LBB142_1252:
	s_mov_b64 s[14:15], 0
	s_mov_b64 s[6:7], s[2:3]
	s_cbranch_execz .LBB142_1546
; %bb.1253:
	v_cmp_gt_i16_e32 vcc, 5, v12
	s_mov_b64 s[12:13], -1
	s_cbranch_vccnz .LBB142_1335
; %bb.1254:
	v_cmp_gt_i16_e32 vcc, 8, v12
	s_cbranch_vccnz .LBB142_1295
; %bb.1255:
	v_cmp_gt_i16_e32 vcc, 9, v12
	s_cbranch_vccnz .LBB142_1282
; %bb.1256:
	v_cmp_lt_i16_e32 vcc, 9, v12
	s_cbranch_vccz .LBB142_1269
; %bb.1257:
	v_mov_b32_e32 v0, 0x80
	v_cmp_lt_i16_sdwa s[12:13], s11, v0 src0_sel:BYTE_0 src1_sel:DWORD
	s_and_b64 vcc, exec, s[12:13]
	s_cbranch_vccnz .LBB142_1260
; %bb.1258:
	v_cmp_eq_u16_sdwa s[12:13], s11, v0 src0_sel:BYTE_0 src1_sel:DWORD
	s_and_b64 vcc, exec, s[12:13]
	s_cbranch_vccz .LBB142_1262
; %bb.1259:
	s_mov_b64 s[12:13], 0
	s_mov_b32 s15, 0x7ff80000
	s_brev_b32 s14, 4
	s_branch .LBB142_1263
.LBB142_1260:
	s_mov_b64 s[16:17], -1
	s_mov_b64 s[12:13], 0
                                        ; implicit-def: $sgpr14_sgpr15
	s_branch .LBB142_1264
.LBB142_1261:
	s_mov_b64 s[14:15], -1
	s_mov_b64 s[6:7], 0
	s_branch .LBB142_1388
.LBB142_1262:
	s_mov_b64 s[12:13], -1
                                        ; implicit-def: $sgpr14_sgpr15
.LBB142_1263:
	s_mov_b64 s[16:17], 0
.LBB142_1264:
	s_and_b64 vcc, exec, s[16:17]
	s_cbranch_vccz .LBB142_1266
; %bb.1265:
	v_mov_b32_e32 v0, 0
	v_cmp_ne_u16_sdwa s[12:13], s11, v0 src0_sel:BYTE_0 src1_sel:DWORD
	s_mov_b64 s[14:15], 0
.LBB142_1266:
	s_andn2_b64 vcc, exec, s[12:13]
	v_pk_mov_b32 v[0:1], s[14:15], s[14:15] op_sel:[0,1]
	s_cbranch_vccnz .LBB142_1268
; %bb.1267:
	s_and_b32 s13, s11, 7
	s_flbit_i32_b32 s15, s13
	s_min_u32 s15, s15, 32
	v_lshrrev_b16_e64 v0, 3, s11
	s_sub_i32 s16, s15, 28
	v_readfirstlane_b32 s14, v0
	s_lshl_b32 s16, s11, s16
	s_lshl_b32 s12, s11, 24
	s_and_b32 s14, s14, 15
	s_sub_i32 s15, 29, s15
	s_and_b32 s16, s16, 7
	s_cmp_eq_u32 s14, 0
	s_cselect_b32 s14, s15, s14
	s_cselect_b32 s13, s16, s13
	s_lshl_b32 s14, s14, 23
	s_and_b32 s12, s12, 0x80000000
	s_add_i32 s14, s14, 0x3b800000
	s_lshl_b32 s13, s13, 20
	s_or_b32 s12, s12, s14
	s_or_b32 s12, s12, s13
	v_cvt_f64_f32_e32 v[0:1], s12
.LBB142_1268:
	v_mov_b32_e32 v2, 0
	v_mov_b32_e32 v3, v2
	global_store_dwordx4 v[4:5], v[0:3], off
	s_mov_b64 s[12:13], 0
.LBB142_1269:
	s_and_b64 vcc, exec, s[12:13]
	s_cbranch_vccz .LBB142_1281
; %bb.1270:
	v_mov_b32_e32 v0, 0x80
	v_cmp_lt_i16_sdwa s[12:13], s11, v0 src0_sel:BYTE_0 src1_sel:DWORD
	s_and_b64 vcc, exec, s[12:13]
	s_cbranch_vccnz .LBB142_1273
; %bb.1271:
	v_cmp_eq_u16_sdwa s[12:13], s11, v0 src0_sel:BYTE_0 src1_sel:DWORD
	s_and_b64 vcc, exec, s[12:13]
	s_cbranch_vccz .LBB142_1274
; %bb.1272:
	s_mov_b64 s[12:13], 0
	s_mov_b32 s16, 0x7f800001
	s_branch .LBB142_1275
.LBB142_1273:
	s_mov_b64 s[14:15], -1
	s_mov_b64 s[12:13], 0
                                        ; implicit-def: $sgpr16
	s_branch .LBB142_1276
.LBB142_1274:
	s_mov_b64 s[12:13], -1
                                        ; implicit-def: $sgpr16
.LBB142_1275:
	s_mov_b64 s[14:15], 0
.LBB142_1276:
	s_and_b64 vcc, exec, s[14:15]
	v_mov_b32_e32 v0, s16
	s_cbranch_vccz .LBB142_1278
; %bb.1277:
	s_mov_b32 s12, 0xffff
	v_mov_b32_e32 v0, s11
	v_mov_b32_e32 v1, 0
	v_and_b32_sdwa v0, s12, v0 dst_sel:DWORD dst_unused:UNUSED_PAD src0_sel:DWORD src1_sel:BYTE_0
	v_cmp_ne_u16_sdwa s[12:13], s11, v1 src0_sel:BYTE_0 src1_sel:DWORD
.LBB142_1278:
	s_andn2_b64 vcc, exec, s[12:13]
	s_cbranch_vccnz .LBB142_1280
; %bb.1279:
	s_and_b32 s13, s11, 7
	s_flbit_i32_b32 s15, s13
	s_min_u32 s15, s15, 32
	v_lshrrev_b16_e64 v0, 3, s11
	s_sub_i32 s16, s15, 28
	v_readfirstlane_b32 s14, v0
	s_lshl_b32 s16, s11, s16
	s_lshl_b32 s12, s11, 24
	s_and_b32 s14, s14, 15
	s_sub_i32 s15, 29, s15
	s_and_b32 s16, s16, 7
	s_cmp_eq_u32 s14, 0
	s_cselect_b32 s14, s15, s14
	s_cselect_b32 s13, s16, s13
	s_lshl_b32 s14, s14, 23
	s_and_b32 s12, s12, 0x80000000
	s_add_i32 s14, s14, 0x3b800000
	s_lshl_b32 s13, s13, 20
	s_or_b32 s12, s12, s14
	s_or_b32 s12, s12, s13
	v_mov_b32_e32 v0, s12
.LBB142_1280:
	v_mov_b32_e32 v1, 0
	global_store_dwordx2 v[4:5], v[0:1], off
.LBB142_1281:
	s_mov_b64 s[12:13], 0
.LBB142_1282:
	s_andn2_b64 vcc, exec, s[12:13]
	s_cbranch_vccnz .LBB142_1294
; %bb.1283:
	v_mov_b32_e32 v0, 0x80
	v_cmp_lt_i16_sdwa s[12:13], s11, v0 src0_sel:BYTE_0 src1_sel:DWORD
	s_and_b64 vcc, exec, s[12:13]
	s_cbranch_vccnz .LBB142_1286
; %bb.1284:
	v_cmp_eq_u16_sdwa s[12:13], s11, v0 src0_sel:BYTE_0 src1_sel:DWORD
	s_and_b64 vcc, exec, s[12:13]
	s_cbranch_vccz .LBB142_1287
; %bb.1285:
	s_mov_b64 s[12:13], 0
	s_movk_i32 s16, 0x7e00
	s_branch .LBB142_1288
.LBB142_1286:
	s_mov_b64 s[14:15], -1
	s_mov_b64 s[12:13], 0
                                        ; implicit-def: $sgpr16
	s_branch .LBB142_1289
.LBB142_1287:
	s_mov_b64 s[12:13], -1
                                        ; implicit-def: $sgpr16
.LBB142_1288:
	s_mov_b64 s[14:15], 0
.LBB142_1289:
	s_and_b64 vcc, exec, s[14:15]
	v_mov_b32_e32 v0, s16
	s_cbranch_vccz .LBB142_1291
; %bb.1290:
	s_mov_b32 s12, 0xffff
	v_mov_b32_e32 v0, s11
	v_mov_b32_e32 v1, 0
	v_and_b32_sdwa v0, s12, v0 dst_sel:DWORD dst_unused:UNUSED_PAD src0_sel:DWORD src1_sel:BYTE_0
	v_cmp_ne_u16_sdwa s[12:13], s11, v1 src0_sel:BYTE_0 src1_sel:DWORD
.LBB142_1291:
	s_andn2_b64 vcc, exec, s[12:13]
	s_cbranch_vccnz .LBB142_1293
; %bb.1292:
	s_and_b32 s13, s11, 7
	s_flbit_i32_b32 s15, s13
	s_min_u32 s15, s15, 32
	v_lshrrev_b16_e64 v0, 3, s11
	s_sub_i32 s16, s15, 28
	v_readfirstlane_b32 s14, v0
	s_lshl_b32 s16, s11, s16
	s_lshl_b32 s12, s11, 24
	s_and_b32 s14, s14, 15
	s_sub_i32 s15, 29, s15
	s_and_b32 s16, s16, 7
	s_cmp_eq_u32 s14, 0
	s_cselect_b32 s14, s15, s14
	s_cselect_b32 s13, s16, s13
	s_lshl_b32 s14, s14, 23
	s_and_b32 s12, s12, 0x80000000
	s_add_i32 s14, s14, 0x3b800000
	s_lshl_b32 s13, s13, 20
	s_or_b32 s12, s12, s14
	s_or_b32 s12, s12, s13
	v_cvt_f16_f32_e32 v0, s12
.LBB142_1293:
	global_store_dword v[4:5], v0, off
.LBB142_1294:
	s_mov_b64 s[12:13], 0
.LBB142_1295:
	s_andn2_b64 vcc, exec, s[12:13]
	s_cbranch_vccnz .LBB142_1334
; %bb.1296:
	v_cmp_gt_i16_e32 vcc, 6, v12
	s_mov_b64 s[12:13], -1
	s_cbranch_vccnz .LBB142_1322
; %bb.1297:
	v_cmp_lt_i16_e32 vcc, 6, v12
	s_cbranch_vccz .LBB142_1309
; %bb.1298:
	v_mov_b32_e32 v0, 0x80
	v_cmp_lt_i16_sdwa s[12:13], s11, v0 src0_sel:BYTE_0 src1_sel:DWORD
	s_and_b64 vcc, exec, s[12:13]
	s_cbranch_vccnz .LBB142_1301
; %bb.1299:
	v_cmp_eq_u16_sdwa s[12:13], s11, v0 src0_sel:BYTE_0 src1_sel:DWORD
	s_and_b64 vcc, exec, s[12:13]
	s_cbranch_vccz .LBB142_1302
; %bb.1300:
	s_mov_b64 s[12:13], 0
	s_mov_b32 s15, 0x7ff80000
	s_brev_b32 s14, 4
	s_branch .LBB142_1303
.LBB142_1301:
	s_mov_b64 s[16:17], -1
	s_mov_b64 s[12:13], 0
                                        ; implicit-def: $sgpr14_sgpr15
	s_branch .LBB142_1304
.LBB142_1302:
	s_mov_b64 s[12:13], -1
                                        ; implicit-def: $sgpr14_sgpr15
.LBB142_1303:
	s_mov_b64 s[16:17], 0
.LBB142_1304:
	s_and_b64 vcc, exec, s[16:17]
	s_cbranch_vccz .LBB142_1306
; %bb.1305:
	v_mov_b32_e32 v0, 0
	v_cmp_ne_u16_sdwa s[12:13], s11, v0 src0_sel:BYTE_0 src1_sel:DWORD
	s_mov_b64 s[14:15], 0
.LBB142_1306:
	s_andn2_b64 vcc, exec, s[12:13]
	v_pk_mov_b32 v[0:1], s[14:15], s[14:15] op_sel:[0,1]
	s_cbranch_vccnz .LBB142_1308
; %bb.1307:
	s_and_b32 s13, s11, 7
	s_flbit_i32_b32 s15, s13
	s_min_u32 s15, s15, 32
	v_lshrrev_b16_e64 v0, 3, s11
	s_sub_i32 s16, s15, 28
	v_readfirstlane_b32 s14, v0
	s_lshl_b32 s16, s11, s16
	s_lshl_b32 s12, s11, 24
	s_and_b32 s14, s14, 15
	s_sub_i32 s15, 29, s15
	s_and_b32 s16, s16, 7
	s_cmp_eq_u32 s14, 0
	s_cselect_b32 s14, s15, s14
	s_cselect_b32 s13, s16, s13
	s_lshl_b32 s14, s14, 23
	s_and_b32 s12, s12, 0x80000000
	s_add_i32 s14, s14, 0x3b800000
	s_lshl_b32 s13, s13, 20
	s_or_b32 s12, s12, s14
	s_or_b32 s12, s12, s13
	v_cvt_f64_f32_e32 v[0:1], s12
.LBB142_1308:
	global_store_dwordx2 v[4:5], v[0:1], off
	s_mov_b64 s[12:13], 0
.LBB142_1309:
	s_and_b64 vcc, exec, s[12:13]
	s_cbranch_vccz .LBB142_1321
; %bb.1310:
	v_mov_b32_e32 v0, 0x80
	v_cmp_lt_i16_sdwa s[12:13], s11, v0 src0_sel:BYTE_0 src1_sel:DWORD
	s_and_b64 vcc, exec, s[12:13]
	s_cbranch_vccnz .LBB142_1313
; %bb.1311:
	v_cmp_eq_u16_sdwa s[12:13], s11, v0 src0_sel:BYTE_0 src1_sel:DWORD
	s_and_b64 vcc, exec, s[12:13]
	s_cbranch_vccz .LBB142_1314
; %bb.1312:
	s_mov_b64 s[12:13], 0
	s_mov_b32 s16, 0x7f800001
	s_branch .LBB142_1315
.LBB142_1313:
	s_mov_b64 s[14:15], -1
	s_mov_b64 s[12:13], 0
                                        ; implicit-def: $sgpr16
	s_branch .LBB142_1316
.LBB142_1314:
	s_mov_b64 s[12:13], -1
                                        ; implicit-def: $sgpr16
.LBB142_1315:
	s_mov_b64 s[14:15], 0
.LBB142_1316:
	s_and_b64 vcc, exec, s[14:15]
	v_mov_b32_e32 v0, s16
	s_cbranch_vccz .LBB142_1318
; %bb.1317:
	s_mov_b32 s12, 0xffff
	v_mov_b32_e32 v0, s11
	v_mov_b32_e32 v1, 0
	v_and_b32_sdwa v0, s12, v0 dst_sel:DWORD dst_unused:UNUSED_PAD src0_sel:DWORD src1_sel:BYTE_0
	v_cmp_ne_u16_sdwa s[12:13], s11, v1 src0_sel:BYTE_0 src1_sel:DWORD
.LBB142_1318:
	s_andn2_b64 vcc, exec, s[12:13]
	s_cbranch_vccnz .LBB142_1320
; %bb.1319:
	s_and_b32 s13, s11, 7
	s_flbit_i32_b32 s15, s13
	s_min_u32 s15, s15, 32
	v_lshrrev_b16_e64 v0, 3, s11
	s_sub_i32 s16, s15, 28
	v_readfirstlane_b32 s14, v0
	s_lshl_b32 s16, s11, s16
	s_lshl_b32 s12, s11, 24
	s_and_b32 s14, s14, 15
	s_sub_i32 s15, 29, s15
	s_and_b32 s16, s16, 7
	s_cmp_eq_u32 s14, 0
	s_cselect_b32 s14, s15, s14
	s_cselect_b32 s13, s16, s13
	s_lshl_b32 s14, s14, 23
	s_and_b32 s12, s12, 0x80000000
	s_add_i32 s14, s14, 0x3b800000
	s_lshl_b32 s13, s13, 20
	s_or_b32 s12, s12, s14
	s_or_b32 s12, s12, s13
	v_mov_b32_e32 v0, s12
.LBB142_1320:
	global_store_dword v[4:5], v0, off
.LBB142_1321:
	s_mov_b64 s[12:13], 0
.LBB142_1322:
	s_andn2_b64 vcc, exec, s[12:13]
	s_cbranch_vccnz .LBB142_1334
; %bb.1323:
	v_mov_b32_e32 v0, 0xff
	v_and_b32_e32 v0, s11, v0
	s_movk_i32 s12, 0x80
	v_cmp_gt_i16_e32 vcc, s12, v0
	s_cbranch_vccnz .LBB142_1326
; %bb.1324:
	v_cmp_eq_u16_e32 vcc, s12, v0
	s_cbranch_vccz .LBB142_1327
; %bb.1325:
	s_mov_b64 s[12:13], 0
	s_movk_i32 s16, 0x7e00
	s_branch .LBB142_1328
.LBB142_1326:
	s_mov_b64 s[14:15], -1
	s_mov_b64 s[12:13], 0
                                        ; implicit-def: $sgpr16
	s_branch .LBB142_1329
.LBB142_1327:
	s_mov_b64 s[12:13], -1
                                        ; implicit-def: $sgpr16
.LBB142_1328:
	s_mov_b64 s[14:15], 0
.LBB142_1329:
	s_and_b64 vcc, exec, s[14:15]
	v_mov_b32_e32 v1, s16
	s_cbranch_vccz .LBB142_1331
; %bb.1330:
	v_cmp_ne_u16_e64 s[12:13], 0, v0
	v_mov_b32_e32 v1, v0
.LBB142_1331:
	s_andn2_b64 vcc, exec, s[12:13]
	s_cbranch_vccnz .LBB142_1333
; %bb.1332:
	s_and_b32 s13, s11, 7
	s_flbit_i32_b32 s15, s13
	s_min_u32 s15, s15, 32
	v_lshrrev_b16_e64 v0, 3, s11
	s_sub_i32 s16, s15, 28
	v_readfirstlane_b32 s14, v0
	s_lshl_b32 s16, s11, s16
	s_lshl_b32 s12, s11, 24
	s_and_b32 s14, s14, 15
	s_sub_i32 s15, 29, s15
	s_and_b32 s16, s16, 7
	s_cmp_eq_u32 s14, 0
	s_cselect_b32 s14, s15, s14
	s_cselect_b32 s13, s16, s13
	s_lshl_b32 s14, s14, 23
	s_and_b32 s12, s12, 0x80000000
	s_add_i32 s14, s14, 0x3b800000
	s_lshl_b32 s13, s13, 20
	s_or_b32 s12, s12, s14
	s_or_b32 s12, s12, s13
	v_cvt_f16_f32_e32 v1, s12
.LBB142_1333:
	global_store_short v[4:5], v1, off
.LBB142_1334:
	s_mov_b64 s[12:13], 0
.LBB142_1335:
	s_andn2_b64 vcc, exec, s[12:13]
	s_cbranch_vccnz .LBB142_1386
; %bb.1336:
	v_cmp_gt_i16_e32 vcc, 2, v12
	s_mov_b64 s[12:13], -1
	s_cbranch_vccnz .LBB142_1367
; %bb.1337:
	v_cmp_gt_i16_e32 vcc, 3, v12
	s_cbranch_vccnz .LBB142_1357
; %bb.1338:
	v_cmp_lt_i16_e32 vcc, 3, v12
	s_cbranch_vccz .LBB142_1347
; %bb.1339:
	v_mov_b32_e32 v0, 0x80
	v_cmp_lt_i16_sdwa s[12:13], s11, v0 src0_sel:BYTE_0 src1_sel:DWORD
	s_and_b64 vcc, exec, s[12:13]
	s_cbranch_vccnz .LBB142_1341
; %bb.1340:
	v_cmp_ne_u16_sdwa s[12:13], s11, v0 src0_sel:BYTE_0 src1_sel:DWORD
	s_mov_b64 s[16:17], 0
	s_mov_b64 s[14:15], 0
	s_branch .LBB142_1342
.LBB142_1341:
	s_mov_b64 s[16:17], -1
	s_mov_b64 s[12:13], 0
                                        ; implicit-def: $sgpr14_sgpr15
.LBB142_1342:
	s_andn2_b64 vcc, exec, s[16:17]
	s_cbranch_vccnz .LBB142_1344
; %bb.1343:
	v_mov_b32_e32 v0, 0
	v_cmp_ne_u16_sdwa s[12:13], s11, v0 src0_sel:BYTE_0 src1_sel:DWORD
	s_mov_b64 s[14:15], 0
.LBB142_1344:
	s_andn2_b64 vcc, exec, s[12:13]
	v_pk_mov_b32 v[0:1], s[14:15], s[14:15] op_sel:[0,1]
	s_cbranch_vccnz .LBB142_1346
; %bb.1345:
	s_and_b32 s13, s11, 7
	s_flbit_i32_b32 s15, s13
	s_min_u32 s15, s15, 32
	v_lshrrev_b16_e64 v0, 3, s11
	s_sub_i32 s16, s15, 28
	v_readfirstlane_b32 s14, v0
	s_lshl_b32 s16, s11, s16
	s_lshl_b32 s12, s11, 24
	s_and_b32 s14, s14, 15
	s_sub_i32 s15, 29, s15
	s_and_b32 s16, s16, 7
	s_cmp_eq_u32 s14, 0
	s_cselect_b32 s14, s15, s14
	s_cselect_b32 s13, s16, s13
	s_lshl_b32 s14, s14, 23
	s_and_b32 s12, s12, 0x80000000
	s_add_i32 s14, s14, 0x3b800000
	s_lshl_b32 s13, s13, 20
	s_or_b32 s12, s12, s14
	s_or_b32 s12, s12, s13
	v_trunc_f32_e32 v0, s12
	s_mov_b32 s12, 0x2f800000
	v_mul_f32_e64 v1, |v0|, s12
	v_floor_f32_e32 v1, v1
	s_mov_b32 s12, 0xcf800000
	v_fma_f32 v2, v1, s12, |v0|
	v_cvt_u32_f32_e32 v2, v2
	v_cvt_u32_f32_e32 v1, v1
	v_ashrrev_i32_e32 v3, 31, v0
	v_xor_b32_e32 v0, v2, v3
	v_xor_b32_e32 v1, v1, v3
	v_sub_co_u32_e32 v0, vcc, v0, v3
	v_subb_co_u32_e32 v1, vcc, v1, v3, vcc
.LBB142_1346:
	global_store_dwordx2 v[4:5], v[0:1], off
	s_mov_b64 s[12:13], 0
.LBB142_1347:
	s_and_b64 vcc, exec, s[12:13]
	s_cbranch_vccz .LBB142_1356
; %bb.1348:
	v_mov_b32_e32 v0, 0x80
	v_cmp_lt_i16_sdwa s[12:13], s11, v0 src0_sel:BYTE_0 src1_sel:DWORD
	s_and_b64 vcc, exec, s[12:13]
	s_cbranch_vccnz .LBB142_1350
; %bb.1349:
	v_cmp_ne_u16_sdwa s[12:13], s11, v0 src0_sel:BYTE_0 src1_sel:DWORD
	s_mov_b64 s[14:15], 0
	s_mov_b32 s16, 0
	s_branch .LBB142_1351
.LBB142_1350:
	s_mov_b64 s[14:15], -1
	s_mov_b64 s[12:13], 0
                                        ; implicit-def: $sgpr16
.LBB142_1351:
	s_andn2_b64 vcc, exec, s[14:15]
	s_cbranch_vccnz .LBB142_1353
; %bb.1352:
	v_mov_b32_e32 v0, 0
	s_mov_b32 s16, 0
	v_cmp_ne_u16_sdwa s[12:13], s11, v0 src0_sel:BYTE_0 src1_sel:DWORD
.LBB142_1353:
	s_andn2_b64 vcc, exec, s[12:13]
	v_mov_b32_e32 v0, s16
	s_cbranch_vccnz .LBB142_1355
; %bb.1354:
	s_and_b32 s13, s11, 7
	s_flbit_i32_b32 s15, s13
	s_min_u32 s15, s15, 32
	v_lshrrev_b16_e64 v0, 3, s11
	s_sub_i32 s16, s15, 28
	v_readfirstlane_b32 s14, v0
	s_lshl_b32 s16, s11, s16
	s_lshl_b32 s12, s11, 24
	s_and_b32 s14, s14, 15
	s_sub_i32 s15, 29, s15
	s_and_b32 s16, s16, 7
	s_cmp_eq_u32 s14, 0
	s_cselect_b32 s14, s15, s14
	s_cselect_b32 s13, s16, s13
	s_lshl_b32 s14, s14, 23
	s_and_b32 s12, s12, 0x80000000
	s_add_i32 s14, s14, 0x3b800000
	s_lshl_b32 s13, s13, 20
	s_or_b32 s12, s12, s14
	s_or_b32 s12, s12, s13
	v_cvt_i32_f32_e32 v0, s12
.LBB142_1355:
	global_store_dword v[4:5], v0, off
.LBB142_1356:
	s_mov_b64 s[12:13], 0
.LBB142_1357:
	s_andn2_b64 vcc, exec, s[12:13]
	s_cbranch_vccnz .LBB142_1366
; %bb.1358:
	v_mov_b32_e32 v0, 0x80
	v_cmp_lt_i16_sdwa s[12:13], s11, v0 src0_sel:BYTE_0 src1_sel:DWORD
	s_and_b64 vcc, exec, s[12:13]
	s_cbranch_vccnz .LBB142_1360
; %bb.1359:
	v_cmp_ne_u16_sdwa s[12:13], s11, v0 src0_sel:BYTE_0 src1_sel:DWORD
	s_mov_b64 s[14:15], 0
	s_mov_b32 s16, 0
	s_branch .LBB142_1361
.LBB142_1360:
	s_mov_b64 s[14:15], -1
	s_mov_b64 s[12:13], 0
                                        ; implicit-def: $sgpr16
.LBB142_1361:
	s_andn2_b64 vcc, exec, s[14:15]
	s_cbranch_vccnz .LBB142_1363
; %bb.1362:
	v_mov_b32_e32 v0, 0
	s_mov_b32 s16, 0
	v_cmp_ne_u16_sdwa s[12:13], s11, v0 src0_sel:BYTE_0 src1_sel:DWORD
.LBB142_1363:
	s_andn2_b64 vcc, exec, s[12:13]
	v_mov_b32_e32 v0, s16
	s_cbranch_vccnz .LBB142_1365
; %bb.1364:
	s_and_b32 s13, s11, 7
	s_flbit_i32_b32 s15, s13
	s_min_u32 s15, s15, 32
	v_lshrrev_b16_e64 v0, 3, s11
	s_sub_i32 s16, s15, 28
	v_readfirstlane_b32 s14, v0
	s_lshl_b32 s16, s11, s16
	s_lshl_b32 s12, s11, 24
	s_and_b32 s14, s14, 15
	s_sub_i32 s15, 29, s15
	s_and_b32 s16, s16, 7
	s_cmp_eq_u32 s14, 0
	s_cselect_b32 s14, s15, s14
	s_cselect_b32 s13, s16, s13
	s_lshl_b32 s14, s14, 23
	s_and_b32 s12, s12, 0x80000000
	s_add_i32 s14, s14, 0x3b800000
	s_lshl_b32 s13, s13, 20
	s_or_b32 s12, s12, s14
	s_or_b32 s12, s12, s13
	v_cvt_i32_f32_e32 v0, s12
.LBB142_1365:
	global_store_short v[4:5], v0, off
.LBB142_1366:
	s_mov_b64 s[12:13], 0
.LBB142_1367:
	s_andn2_b64 vcc, exec, s[12:13]
	s_cbranch_vccnz .LBB142_1386
; %bb.1368:
	v_cmp_lt_i16_e32 vcc, 0, v12
	s_mov_b64 s[12:13], -1
	s_cbranch_vccz .LBB142_1377
; %bb.1369:
	v_mov_b32_e32 v0, 0x80
	v_cmp_lt_i16_sdwa s[12:13], s11, v0 src0_sel:BYTE_0 src1_sel:DWORD
	s_and_b64 vcc, exec, s[12:13]
	s_cbranch_vccnz .LBB142_1371
; %bb.1370:
	v_cmp_ne_u16_sdwa s[12:13], s11, v0 src0_sel:BYTE_0 src1_sel:DWORD
	s_mov_b64 s[14:15], 0
	s_mov_b32 s16, 0
	s_branch .LBB142_1372
.LBB142_1371:
	s_mov_b64 s[14:15], -1
	s_mov_b64 s[12:13], 0
                                        ; implicit-def: $sgpr16
.LBB142_1372:
	s_andn2_b64 vcc, exec, s[14:15]
	s_cbranch_vccnz .LBB142_1374
; %bb.1373:
	v_mov_b32_e32 v0, 0
	s_mov_b32 s16, 0
	v_cmp_ne_u16_sdwa s[12:13], s11, v0 src0_sel:BYTE_0 src1_sel:DWORD
.LBB142_1374:
	s_andn2_b64 vcc, exec, s[12:13]
	v_mov_b32_e32 v0, s16
	s_cbranch_vccnz .LBB142_1376
; %bb.1375:
	s_and_b32 s13, s11, 7
	s_flbit_i32_b32 s15, s13
	s_min_u32 s15, s15, 32
	v_lshrrev_b16_e64 v0, 3, s11
	s_sub_i32 s16, s15, 28
	v_readfirstlane_b32 s14, v0
	s_lshl_b32 s16, s11, s16
	s_lshl_b32 s12, s11, 24
	s_and_b32 s14, s14, 15
	s_sub_i32 s15, 29, s15
	s_and_b32 s16, s16, 7
	s_cmp_eq_u32 s14, 0
	s_cselect_b32 s14, s15, s14
	s_cselect_b32 s13, s16, s13
	s_lshl_b32 s14, s14, 23
	s_and_b32 s12, s12, 0x80000000
	s_add_i32 s14, s14, 0x3b800000
	s_lshl_b32 s13, s13, 20
	s_or_b32 s12, s12, s14
	s_or_b32 s12, s12, s13
	v_cvt_i32_f32_e32 v0, s12
.LBB142_1376:
	global_store_byte v[4:5], v0, off
	s_mov_b64 s[12:13], 0
.LBB142_1377:
	s_and_b64 vcc, exec, s[12:13]
	s_cbranch_vccz .LBB142_1386
; %bb.1378:
	v_mov_b32_e32 v0, 0x80
	v_cmp_lt_i16_sdwa s[12:13], s11, v0 src0_sel:BYTE_0 src1_sel:DWORD
	s_and_b64 vcc, exec, s[12:13]
	s_cbranch_vccnz .LBB142_1380
; %bb.1379:
	v_cmp_ne_u16_sdwa s[12:13], s11, v0 src0_sel:BYTE_0 src1_sel:DWORD
	s_mov_b64 s[14:15], 0
	s_mov_b32 s16, 0
	s_branch .LBB142_1381
.LBB142_1380:
	s_mov_b64 s[14:15], -1
	s_mov_b64 s[12:13], 0
                                        ; implicit-def: $sgpr16
.LBB142_1381:
	s_andn2_b64 vcc, exec, s[14:15]
	s_cbranch_vccnz .LBB142_1383
; %bb.1382:
	v_mov_b32_e32 v0, 0
	s_mov_b32 s16, 0
	v_cmp_ne_u16_sdwa s[12:13], s11, v0 src0_sel:BYTE_0 src1_sel:DWORD
.LBB142_1383:
	s_andn2_b64 vcc, exec, s[12:13]
	v_mov_b32_e32 v0, s16
	s_cbranch_vccnz .LBB142_1385
; %bb.1384:
	s_and_b32 s13, s11, 7
	s_flbit_i32_b32 s15, s13
	s_min_u32 s15, s15, 32
	v_lshrrev_b16_e64 v0, 3, s11
	s_sub_i32 s16, s15, 28
	v_readfirstlane_b32 s14, v0
	s_lshl_b32 s16, s11, s16
	s_lshl_b32 s12, s11, 24
	s_and_b32 s14, s14, 15
	s_sub_i32 s15, 29, s15
	s_and_b32 s16, s16, 7
	s_cmp_eq_u32 s14, 0
	s_cselect_b32 s14, s15, s14
	s_cselect_b32 s13, s16, s13
	s_lshl_b32 s14, s14, 23
	s_and_b32 s12, s12, 0x80000000
	s_add_i32 s14, s14, 0x3b800000
	s_lshl_b32 s13, s13, 20
	s_or_b32 s12, s12, s14
	s_or_b32 s12, s12, s13
	v_trunc_f32_e32 v0, s12
	s_mov_b32 s12, 0x2f800000
	v_mul_f32_e64 v1, |v0|, s12
	v_floor_f32_e32 v1, v1
	s_mov_b32 s12, 0xcf800000
	v_fma_f32 v1, v1, s12, |v0|
	v_cvt_u32_f32_e32 v1, v1
	v_ashrrev_i32_e32 v0, 31, v0
	v_xor_b32_e32 v1, v1, v0
	v_sub_u32_e32 v0, v1, v0
.LBB142_1385:
	global_store_byte v[4:5], v0, off
.LBB142_1386:
	s_branch .LBB142_1547
.LBB142_1387:
	s_mov_b64 s[6:7], -1
.LBB142_1388:
                                        ; implicit-def: $sgpr18
.LBB142_1389:
	s_and_b64 vcc, exec, s[14:15]
	s_cbranch_vccz .LBB142_1391
; %bb.1390:
	v_mov_b32_e32 v0, 0
	s_mov_b32 s18, 0
	v_cmp_ne_u16_sdwa s[6:7], s11, v0 src0_sel:BYTE_0 src1_sel:DWORD
.LBB142_1391:
	s_andn2_b64 vcc, exec, s[6:7]
	s_cbranch_vccnz .LBB142_1393
; %bb.1392:
	s_and_b32 s7, s11, 7
	s_flbit_i32_b32 s15, s7
	s_min_u32 s15, s15, 32
	v_lshrrev_b16_e64 v0, 3, s11
	s_sub_i32 s18, s15, 28
	v_readfirstlane_b32 s14, v0
	s_lshl_b32 s18, s11, s18
	s_lshl_b32 s6, s11, 24
	s_and_b32 s14, s14, 15
	s_sub_i32 s15, 29, s15
	s_and_b32 s18, s18, 7
	s_cmp_eq_u32 s14, 0
	s_cselect_b32 s14, s15, s14
	s_cselect_b32 s7, s18, s7
	s_lshl_b32 s14, s14, 23
	s_and_b32 s6, s6, 0x80000000
	s_add_i32 s14, s14, 0x3b800000
	s_lshl_b32 s7, s7, 20
	s_or_b32 s6, s6, s14
	s_or_b32 s18, s6, s7
.LBB142_1393:
	s_bfe_u32 s6, s18, 0x10010
	s_add_i32 s6, s18, s6
	s_addk_i32 s6, 0x7fff
	s_lshr_b32 s14, s6, 16
	v_cmp_o_f32_e64 s[6:7], s18, s18
	s_and_b64 s[6:7], s[6:7], exec
	s_cselect_b32 s6, s14, 0x7fc0
	v_mov_b32_e32 v0, s6
	s_mov_b64 s[6:7], 0
	s_mov_b64 s[14:15], -1
	global_store_dword v[4:5], v0, off
.LBB142_1394:
	s_and_b64 vcc, exec, s[16:17]
	s_cbranch_vccz .LBB142_1407
; %bb.1395:
	v_cmp_eq_u16_e32 vcc, 44, v12
	s_mov_b64 s[6:7], -1
	s_cbranch_vccz .LBB142_1407
; %bb.1396:
	v_mov_b32_e32 v0, 0xff
	v_and_b32_e32 v0, s11, v0
	s_movk_i32 s6, 0x80
	v_cmp_gt_i16_e32 vcc, s6, v0
	v_readfirstlane_b32 s17, v0
	s_cbranch_vccnz .LBB142_1399
; %bb.1397:
	v_mov_b32_e32 v0, 0x80
	v_cmp_eq_u16_e32 vcc, s17, v0
	s_cbranch_vccz .LBB142_1400
; %bb.1398:
	s_mov_b64 s[6:7], 0
	s_mov_b32 s16, 0x7f800001
	s_branch .LBB142_1401
.LBB142_1399:
	s_mov_b64 s[14:15], -1
	s_mov_b64 s[6:7], 0
                                        ; implicit-def: $sgpr16
	s_branch .LBB142_1402
.LBB142_1400:
	s_mov_b64 s[6:7], -1
                                        ; implicit-def: $sgpr16
.LBB142_1401:
	s_mov_b64 s[14:15], 0
.LBB142_1402:
	s_and_b64 vcc, exec, s[14:15]
	s_cbranch_vccz .LBB142_1412
; %bb.1403:
	s_and_b32 s16, 0xffff, s17
	v_cmp_ne_u16_e64 s[6:7], s17, 0
	s_andn2_b64 vcc, exec, s[6:7]
	s_cbranch_vccz .LBB142_1413
.LBB142_1404:
	s_bfe_u32 s6, s16, 0x80017
	s_cmpk_eq_i32 s6, 0xff
	v_mov_b32_e32 v0, 0xff
	s_cbranch_scc1 .LBB142_1406
.LBB142_1405:
	s_lshr_b32 s17, s16, 23
	s_bitcmp1_b32 s16, 22
	s_cselect_b64 s[14:15], -1, 0
	s_and_b32 s7, s16, 0x3fffff
	s_or_b32 s6, s6, s7
	s_cmp_lg_u32 s6, 0
	s_cselect_b64 s[6:7], -1, 0
	s_and_b64 s[6:7], s[14:15], s[6:7]
	v_cndmask_b32_e64 v0, 0, 1, s[6:7]
	v_add_u32_e32 v0, s17, v0
.LBB142_1406:
	s_mov_b64 s[6:7], 0
	s_mov_b64 s[14:15], -1
	global_store_byte v[4:5], v0, off
.LBB142_1407:
	s_mov_b64 s[16:17], 0
.LBB142_1408:
	s_and_b64 vcc, exec, s[16:17]
	s_cbranch_vccz .LBB142_1420
; %bb.1409:
	v_cmp_eq_u16_e32 vcc, 29, v12
	s_mov_b64 s[6:7], -1
	s_cbranch_vccz .LBB142_1420
; %bb.1410:
	v_mov_b32_e32 v0, 0x80
	v_cmp_lt_i16_sdwa s[6:7], s11, v0 src0_sel:BYTE_0 src1_sel:DWORD
	s_and_b64 vcc, exec, s[6:7]
	s_cbranch_vccnz .LBB142_1414
; %bb.1411:
	v_cmp_ne_u16_sdwa s[6:7], s11, v0 src0_sel:BYTE_0 src1_sel:DWORD
	s_mov_b64 s[16:17], 0
	s_mov_b64 s[14:15], 0
	s_branch .LBB142_1415
.LBB142_1412:
	s_andn2_b64 vcc, exec, s[6:7]
	s_cbranch_vccnz .LBB142_1404
.LBB142_1413:
	s_and_b32 s6, s11, 7
	s_flbit_i32_b32 s14, s6
	s_min_u32 s14, s14, 32
	v_lshrrev_b16_e64 v0, 3, s11
	s_sub_i32 s15, s14, 28
	v_readfirstlane_b32 s7, v0
	s_lshl_b32 s15, s11, s15
	s_and_b32 s7, s7, 15
	s_sub_i32 s14, 29, s14
	s_and_b32 s15, s15, 7
	s_cmp_eq_u32 s7, 0
	s_cselect_b32 s7, s14, s7
	s_cselect_b32 s6, s15, s6
	s_lshl_b32 s6, s6, 20
	s_lshl_b32 s7, s7, 23
	s_or_b32 s6, s7, s6
	s_add_i32 s16, s6, 0x3b800000
	s_bfe_u32 s6, s16, 0x80017
	s_cmpk_eq_i32 s6, 0xff
	v_mov_b32_e32 v0, 0xff
	s_cbranch_scc0 .LBB142_1405
	s_branch .LBB142_1406
.LBB142_1414:
	s_mov_b64 s[16:17], -1
	s_mov_b64 s[6:7], 0
                                        ; implicit-def: $sgpr14_sgpr15
.LBB142_1415:
	s_andn2_b64 vcc, exec, s[16:17]
	s_cbranch_vccnz .LBB142_1417
; %bb.1416:
	v_mov_b32_e32 v0, 0
	v_cmp_ne_u16_sdwa s[6:7], s11, v0 src0_sel:BYTE_0 src1_sel:DWORD
	s_mov_b64 s[14:15], 0
.LBB142_1417:
	s_andn2_b64 vcc, exec, s[6:7]
	v_pk_mov_b32 v[0:1], s[14:15], s[14:15] op_sel:[0,1]
	s_cbranch_vccnz .LBB142_1419
; %bb.1418:
	s_and_b32 s7, s11, 7
	s_flbit_i32_b32 s15, s7
	s_min_u32 s15, s15, 32
	v_lshrrev_b16_e64 v0, 3, s11
	s_sub_i32 s16, s15, 28
	v_readfirstlane_b32 s14, v0
	s_lshl_b32 s16, s11, s16
	s_lshl_b32 s6, s11, 24
	s_and_b32 s14, s14, 15
	s_sub_i32 s15, 29, s15
	s_and_b32 s16, s16, 7
	s_cmp_eq_u32 s14, 0
	s_cselect_b32 s14, s15, s14
	s_cselect_b32 s7, s16, s7
	s_lshl_b32 s14, s14, 23
	s_and_b32 s6, s6, 0x80000000
	s_add_i32 s14, s14, 0x3b800000
	s_lshl_b32 s7, s7, 20
	s_or_b32 s6, s6, s14
	s_or_b32 s6, s6, s7
	v_trunc_f32_e32 v0, s6
	v_mul_f32_e32 v1, 0x2f800000, v0
	v_floor_f32_e32 v1, v1
	v_fmac_f32_e32 v0, 0xcf800000, v1
	v_cvt_u32_f32_e32 v0, v0
	v_cvt_u32_f32_e32 v1, v1
.LBB142_1419:
	global_store_dwordx2 v[4:5], v[0:1], off
	s_mov_b64 s[6:7], 0
	s_mov_b64 s[14:15], -1
.LBB142_1420:
	s_mov_b64 s[16:17], 0
.LBB142_1421:
	s_and_b64 vcc, exec, s[16:17]
	s_cbranch_vccz .LBB142_1445
; %bb.1422:
	v_cmp_gt_i16_e32 vcc, 27, v12
	s_mov_b64 s[14:15], -1
	s_cbranch_vccnz .LBB142_1442
; %bb.1423:
	v_cmp_lt_i16_e32 vcc, 27, v12
	s_cbranch_vccz .LBB142_1432
; %bb.1424:
	v_mov_b32_e32 v0, 0x80
	v_cmp_lt_i16_sdwa s[14:15], s11, v0 src0_sel:BYTE_0 src1_sel:DWORD
	s_and_b64 vcc, exec, s[14:15]
	s_cbranch_vccnz .LBB142_1426
; %bb.1425:
	v_cmp_ne_u16_sdwa s[14:15], s11, v0 src0_sel:BYTE_0 src1_sel:DWORD
	s_mov_b64 s[16:17], 0
	s_mov_b32 s18, 0
	s_branch .LBB142_1427
.LBB142_1426:
	s_mov_b64 s[16:17], -1
	s_mov_b64 s[14:15], 0
                                        ; implicit-def: $sgpr18
.LBB142_1427:
	s_andn2_b64 vcc, exec, s[16:17]
	s_cbranch_vccnz .LBB142_1429
; %bb.1428:
	v_mov_b32_e32 v0, 0
	s_mov_b32 s18, 0
	v_cmp_ne_u16_sdwa s[14:15], s11, v0 src0_sel:BYTE_0 src1_sel:DWORD
.LBB142_1429:
	s_andn2_b64 vcc, exec, s[14:15]
	v_mov_b32_e32 v0, s18
	s_cbranch_vccnz .LBB142_1431
; %bb.1430:
	s_and_b32 s15, s11, 7
	s_flbit_i32_b32 s17, s15
	s_min_u32 s17, s17, 32
	v_lshrrev_b16_e64 v0, 3, s11
	s_sub_i32 s18, s17, 28
	v_readfirstlane_b32 s16, v0
	s_lshl_b32 s18, s11, s18
	s_lshl_b32 s14, s11, 24
	s_and_b32 s16, s16, 15
	s_sub_i32 s17, 29, s17
	s_and_b32 s18, s18, 7
	s_cmp_eq_u32 s16, 0
	s_cselect_b32 s16, s17, s16
	s_cselect_b32 s15, s18, s15
	s_lshl_b32 s16, s16, 23
	s_and_b32 s14, s14, 0x80000000
	s_add_i32 s16, s16, 0x3b800000
	s_lshl_b32 s15, s15, 20
	s_or_b32 s14, s14, s16
	s_or_b32 s14, s14, s15
	v_cvt_u32_f32_e32 v0, s14
.LBB142_1431:
	global_store_dword v[4:5], v0, off
	s_mov_b64 s[14:15], 0
.LBB142_1432:
	s_and_b64 vcc, exec, s[14:15]
	s_cbranch_vccz .LBB142_1441
; %bb.1433:
	v_mov_b32_e32 v0, 0x80
	v_cmp_lt_i16_sdwa s[14:15], s11, v0 src0_sel:BYTE_0 src1_sel:DWORD
	s_and_b64 vcc, exec, s[14:15]
	s_cbranch_vccnz .LBB142_1435
; %bb.1434:
	v_cmp_ne_u16_sdwa s[14:15], s11, v0 src0_sel:BYTE_0 src1_sel:DWORD
	s_mov_b64 s[16:17], 0
	s_mov_b32 s18, 0
	s_branch .LBB142_1436
.LBB142_1435:
	s_mov_b64 s[16:17], -1
	s_mov_b64 s[14:15], 0
                                        ; implicit-def: $sgpr18
.LBB142_1436:
	s_andn2_b64 vcc, exec, s[16:17]
	s_cbranch_vccnz .LBB142_1438
; %bb.1437:
	v_mov_b32_e32 v0, 0
	s_mov_b32 s18, 0
	v_cmp_ne_u16_sdwa s[14:15], s11, v0 src0_sel:BYTE_0 src1_sel:DWORD
.LBB142_1438:
	s_andn2_b64 vcc, exec, s[14:15]
	v_mov_b32_e32 v0, s18
	s_cbranch_vccnz .LBB142_1440
; %bb.1439:
	s_and_b32 s15, s11, 7
	s_flbit_i32_b32 s17, s15
	s_min_u32 s17, s17, 32
	v_lshrrev_b16_e64 v0, 3, s11
	s_sub_i32 s18, s17, 28
	v_readfirstlane_b32 s16, v0
	s_lshl_b32 s18, s11, s18
	s_lshl_b32 s14, s11, 24
	s_and_b32 s16, s16, 15
	s_sub_i32 s17, 29, s17
	s_and_b32 s18, s18, 7
	s_cmp_eq_u32 s16, 0
	s_cselect_b32 s16, s17, s16
	s_cselect_b32 s15, s18, s15
	s_lshl_b32 s16, s16, 23
	s_and_b32 s14, s14, 0x80000000
	s_add_i32 s16, s16, 0x3b800000
	s_lshl_b32 s15, s15, 20
	s_or_b32 s14, s14, s16
	s_or_b32 s14, s14, s15
	v_cvt_u32_f32_e32 v0, s14
.LBB142_1440:
	global_store_short v[4:5], v0, off
.LBB142_1441:
	s_mov_b64 s[14:15], 0
.LBB142_1442:
	s_andn2_b64 vcc, exec, s[14:15]
	s_cbranch_vccnz .LBB142_1444
; %bb.1443:
	v_mov_b32_e32 v0, s11
	global_store_byte v[4:5], v0, off
.LBB142_1444:
	s_mov_b64 s[14:15], -1
.LBB142_1445:
	s_mov_b64 s[16:17], 0
.LBB142_1446:
	s_and_b64 vcc, exec, s[16:17]
	s_cbranch_vccz .LBB142_1532
; %bb.1447:
	v_cmp_lt_i16_e32 vcc, 22, v12
	s_mov_b64 s[12:13], -1
	s_cbranch_vccz .LBB142_1515
; %bb.1448:
	v_cmp_gt_i16_e32 vcc, 24, v12
	s_cbranch_vccnz .LBB142_1492
; %bb.1449:
	v_cmp_lt_i16_e32 vcc, 24, v12
	s_cbranch_vccz .LBB142_1469
; %bb.1450:
	v_mov_b32_e32 v0, 0x80
	v_cmp_lt_i16_sdwa s[12:13], s11, v0 src0_sel:BYTE_0 src1_sel:DWORD
	s_and_b64 vcc, exec, s[12:13]
	s_cbranch_vccnz .LBB142_1453
; %bb.1451:
	v_cmp_eq_u16_sdwa s[12:13], s11, v0 src0_sel:BYTE_0 src1_sel:DWORD
	s_and_b64 vcc, exec, s[12:13]
	s_cbranch_vccz .LBB142_1454
; %bb.1452:
	s_mov_b64 s[12:13], 0
	s_mov_b32 s16, 0x7f800001
	s_branch .LBB142_1455
.LBB142_1453:
	s_mov_b64 s[14:15], -1
	s_mov_b64 s[12:13], 0
                                        ; implicit-def: $sgpr16
	s_branch .LBB142_1456
.LBB142_1454:
	s_mov_b64 s[12:13], -1
                                        ; implicit-def: $sgpr16
.LBB142_1455:
	s_mov_b64 s[14:15], 0
.LBB142_1456:
	s_and_b64 vcc, exec, s[14:15]
	s_cbranch_vccz .LBB142_1459
; %bb.1457:
	v_mov_b32_e32 v0, 0
	s_mov_b32 s16, 0
	v_cmp_ne_u16_sdwa s[12:13], s11, v0 src0_sel:BYTE_0 src1_sel:DWORD
	s_andn2_b64 vcc, exec, s[12:13]
	s_cbranch_vccz .LBB142_1460
.LBB142_1458:
	s_and_b32 s12, s16, 0x7fffffff
	s_cmp_gt_u32 s12, 0x477fffff
	v_mov_b32_e32 v1, 0x80
	s_cbranch_scc0 .LBB142_1461
	s_branch .LBB142_1468
.LBB142_1459:
	s_andn2_b64 vcc, exec, s[12:13]
	s_cbranch_vccnz .LBB142_1458
.LBB142_1460:
	s_and_b32 s13, s11, 7
	s_flbit_i32_b32 s15, s13
	s_min_u32 s15, s15, 32
	v_lshrrev_b16_e64 v0, 3, s11
	s_sub_i32 s16, s15, 28
	v_readfirstlane_b32 s14, v0
	s_lshl_b32 s16, s11, s16
	s_lshl_b32 s12, s11, 24
	s_and_b32 s14, s14, 15
	s_sub_i32 s15, 29, s15
	s_and_b32 s16, s16, 7
	s_cmp_eq_u32 s14, 0
	s_cselect_b32 s14, s15, s14
	s_cselect_b32 s13, s16, s13
	s_lshl_b32 s14, s14, 23
	s_and_b32 s12, s12, 0x80000000
	s_add_i32 s14, s14, 0x3b800000
	s_lshl_b32 s13, s13, 20
	s_or_b32 s12, s12, s14
	s_or_b32 s16, s12, s13
	s_and_b32 s12, s16, 0x7fffffff
	s_cmp_gt_u32 s12, 0x477fffff
	v_mov_b32_e32 v1, 0x80
	s_cbranch_scc1 .LBB142_1468
.LBB142_1461:
	s_cmp_gt_u32 s12, 0x37ffffff
	s_cbranch_scc0 .LBB142_1463
; %bb.1462:
	s_bfe_u32 s12, s16, 0x10015
	s_add_i32 s12, s16, s12
	s_add_i32 s12, s12, 0x88fffff
	s_lshr_b32 s17, s12, 21
	s_mov_b64 s[14:15], 0
	s_mov_b64 s[12:13], -1
	s_branch .LBB142_1464
.LBB142_1463:
	s_mov_b64 s[14:15], -1
	s_mov_b64 s[12:13], 0
                                        ; implicit-def: $sgpr17
.LBB142_1464:
	s_andn2_b64 vcc, exec, s[14:15]
	v_mov_b32_e32 v0, s17
                                        ; implicit-def: $sgpr14
	s_cbranch_vccnz .LBB142_1466
; %bb.1465:
	v_mov_b32_e32 v0, 0x42800000
	v_add_f32_e64 v0, |s16|, v0
	v_and_b32_e32 v0, 0xff, v0
	s_mov_b32 s14, 0
	v_cmp_ne_u32_e64 s[12:13], 0, v0
.LBB142_1466:
	s_andn2_b64 vcc, exec, s[12:13]
	v_mov_b32_e32 v1, s14
	s_cbranch_vccnz .LBB142_1468
; %bb.1467:
	s_lshr_b32 s12, s16, 24
	s_and_b32 s12, s12, 0x80
	v_or_b32_e32 v1, s12, v0
.LBB142_1468:
	global_store_byte v[4:5], v1, off
	s_mov_b64 s[12:13], 0
.LBB142_1469:
	s_and_b64 vcc, exec, s[12:13]
	s_cbranch_vccz .LBB142_1491
; %bb.1470:
	v_mov_b32_e32 v0, 0x80
	v_cmp_lt_i16_sdwa s[12:13], s11, v0 src0_sel:BYTE_0 src1_sel:DWORD
	s_and_b64 vcc, exec, s[12:13]
	s_cbranch_vccnz .LBB142_1473
; %bb.1471:
	v_cmp_eq_u16_sdwa s[12:13], s11, v0 src0_sel:BYTE_0 src1_sel:DWORD
	s_and_b64 vcc, exec, s[12:13]
	s_cbranch_vccz .LBB142_1474
; %bb.1472:
	s_mov_b64 s[12:13], 0
	s_mov_b32 s16, 0x7f800001
	s_branch .LBB142_1475
.LBB142_1473:
	s_mov_b64 s[14:15], -1
	s_mov_b64 s[12:13], 0
                                        ; implicit-def: $sgpr16
	s_branch .LBB142_1476
.LBB142_1474:
	s_mov_b64 s[12:13], -1
                                        ; implicit-def: $sgpr16
.LBB142_1475:
	s_mov_b64 s[14:15], 0
.LBB142_1476:
	s_and_b64 vcc, exec, s[14:15]
	s_cbranch_vccz .LBB142_1481
; %bb.1477:
	v_mov_b32_e32 v0, 0
	s_mov_b32 s16, 0
	v_cmp_ne_u16_sdwa s[12:13], s11, v0 src0_sel:BYTE_0 src1_sel:DWORD
	s_andn2_b64 vcc, exec, s[12:13]
	s_cbranch_vccz .LBB142_1482
.LBB142_1478:
	s_and_b32 s14, s16, 0x7fffffff
	s_cmp_lt_u32 s14, 0x43f00000
	s_cbranch_scc0 .LBB142_1483
.LBB142_1479:
	s_cmp_gt_u32 s14, 0x3c7fffff
	s_cbranch_scc0 .LBB142_1484
; %bb.1480:
	s_bfe_u32 s12, s16, 0x10014
	s_add_i32 s12, s16, s12
	s_add_i32 s12, s12, 0x407ffff
	s_lshr_b32 s13, s12, 20
	s_and_b32 s12, s12, 0xff00000
	s_cmp_lg_u32 s12, 0x7f00000
	s_cselect_b32 s15, s13, 0x7e
	s_mov_b64 s[12:13], 0
	s_branch .LBB142_1485
.LBB142_1481:
	s_andn2_b64 vcc, exec, s[12:13]
	s_cbranch_vccnz .LBB142_1478
.LBB142_1482:
	s_and_b32 s13, s11, 7
	s_flbit_i32_b32 s15, s13
	s_min_u32 s15, s15, 32
	v_lshrrev_b16_e64 v0, 3, s11
	s_sub_i32 s16, s15, 28
	v_readfirstlane_b32 s14, v0
	s_lshl_b32 s16, s11, s16
	s_lshl_b32 s12, s11, 24
	s_and_b32 s14, s14, 15
	s_sub_i32 s15, 29, s15
	s_and_b32 s16, s16, 7
	s_cmp_eq_u32 s14, 0
	s_cselect_b32 s14, s15, s14
	s_cselect_b32 s13, s16, s13
	s_lshl_b32 s14, s14, 23
	s_and_b32 s12, s12, 0x80000000
	s_add_i32 s14, s14, 0x3b800000
	s_lshl_b32 s13, s13, 20
	s_or_b32 s12, s12, s14
	s_or_b32 s16, s12, s13
	s_and_b32 s14, s16, 0x7fffffff
	s_cmp_lt_u32 s14, 0x43f00000
	s_cbranch_scc1 .LBB142_1479
.LBB142_1483:
	s_mov_b64 s[12:13], -1
                                        ; implicit-def: $vgpr0
	s_branch .LBB142_1488
.LBB142_1484:
	s_mov_b64 s[12:13], -1
                                        ; implicit-def: $sgpr15
.LBB142_1485:
	s_andn2_b64 vcc, exec, s[12:13]
	v_mov_b32_e32 v0, s15
	s_cbranch_vccnz .LBB142_1487
; %bb.1486:
	v_mov_b32_e32 v0, 0x46800000
	v_add_f32_e64 v0, |s16|, v0
.LBB142_1487:
	s_mov_b64 s[12:13], 0
.LBB142_1488:
	s_andn2_b64 vcc, exec, s[12:13]
	s_cbranch_vccnz .LBB142_1490
; %bb.1489:
	s_cmp_gt_u32 s14, 0x7f800000
	s_movk_i32 s12, 0x7f
	s_cselect_b32 s12, s12, 0x7e
	v_mov_b32_e32 v0, s12
.LBB142_1490:
	s_lshr_b32 s12, s16, 24
	s_and_b32 s12, s12, 0x80
	v_or_b32_e32 v0, s12, v0
	global_store_byte v[4:5], v0, off
.LBB142_1491:
	s_mov_b64 s[12:13], 0
.LBB142_1492:
	s_andn2_b64 vcc, exec, s[12:13]
	s_cbranch_vccnz .LBB142_1514
; %bb.1493:
	v_mov_b32_e32 v0, 0x80
	v_cmp_lt_i16_sdwa s[12:13], s11, v0 src0_sel:BYTE_0 src1_sel:DWORD
	s_and_b64 vcc, exec, s[12:13]
	s_cbranch_vccnz .LBB142_1496
; %bb.1494:
	v_cmp_eq_u16_sdwa s[12:13], s11, v0 src0_sel:BYTE_0 src1_sel:DWORD
	s_and_b64 vcc, exec, s[12:13]
	s_cbranch_vccz .LBB142_1497
; %bb.1495:
	s_mov_b64 s[12:13], 0
	s_mov_b32 s16, 0x7f800001
	s_branch .LBB142_1498
.LBB142_1496:
	s_mov_b64 s[14:15], -1
	s_mov_b64 s[12:13], 0
                                        ; implicit-def: $sgpr16
	s_branch .LBB142_1499
.LBB142_1497:
	s_mov_b64 s[12:13], -1
                                        ; implicit-def: $sgpr16
.LBB142_1498:
	s_mov_b64 s[14:15], 0
.LBB142_1499:
	s_and_b64 vcc, exec, s[14:15]
	s_cbranch_vccz .LBB142_1504
; %bb.1500:
	v_mov_b32_e32 v0, 0
	s_mov_b32 s16, 0
	v_cmp_ne_u16_sdwa s[12:13], s11, v0 src0_sel:BYTE_0 src1_sel:DWORD
	s_andn2_b64 vcc, exec, s[12:13]
	s_cbranch_vccz .LBB142_1505
.LBB142_1501:
	s_and_b32 s14, s16, 0x7fffffff
	s_cmp_lt_u32 s14, 0x47800000
	s_cbranch_scc0 .LBB142_1506
.LBB142_1502:
	s_cmp_gt_u32 s14, 0x387fffff
	s_cbranch_scc0 .LBB142_1507
; %bb.1503:
	s_bfe_u32 s12, s16, 0x10015
	s_add_i32 s12, s16, s12
	s_add_i32 s12, s12, 0x80fffff
	s_lshr_b32 s15, s12, 21
	s_mov_b64 s[12:13], 0
	s_branch .LBB142_1508
.LBB142_1504:
	s_andn2_b64 vcc, exec, s[12:13]
	s_cbranch_vccnz .LBB142_1501
.LBB142_1505:
	s_and_b32 s13, s11, 7
	s_flbit_i32_b32 s15, s13
	s_min_u32 s15, s15, 32
	v_lshrrev_b16_e64 v0, 3, s11
	s_sub_i32 s16, s15, 28
	v_readfirstlane_b32 s14, v0
	s_lshl_b32 s16, s11, s16
	s_lshl_b32 s12, s11, 24
	s_and_b32 s14, s14, 15
	s_sub_i32 s15, 29, s15
	s_and_b32 s16, s16, 7
	s_cmp_eq_u32 s14, 0
	s_cselect_b32 s14, s15, s14
	s_cselect_b32 s13, s16, s13
	s_lshl_b32 s14, s14, 23
	s_and_b32 s12, s12, 0x80000000
	s_add_i32 s14, s14, 0x3b800000
	s_lshl_b32 s13, s13, 20
	s_or_b32 s12, s12, s14
	s_or_b32 s16, s12, s13
	s_and_b32 s14, s16, 0x7fffffff
	s_cmp_lt_u32 s14, 0x47800000
	s_cbranch_scc1 .LBB142_1502
.LBB142_1506:
	s_mov_b64 s[12:13], -1
                                        ; implicit-def: $vgpr0
	s_branch .LBB142_1511
.LBB142_1507:
	s_mov_b64 s[12:13], -1
                                        ; implicit-def: $sgpr15
.LBB142_1508:
	s_andn2_b64 vcc, exec, s[12:13]
	v_mov_b32_e32 v0, s15
	s_cbranch_vccnz .LBB142_1510
; %bb.1509:
	v_mov_b32_e32 v0, 0x43000000
	v_add_f32_e64 v0, |s16|, v0
.LBB142_1510:
	s_mov_b64 s[12:13], 0
.LBB142_1511:
	s_andn2_b64 vcc, exec, s[12:13]
	s_cbranch_vccnz .LBB142_1513
; %bb.1512:
	s_cmp_gt_u32 s14, 0x7f800000
	s_movk_i32 s12, 0x7f
	s_cselect_b32 s12, s12, 0x7c
	v_mov_b32_e32 v0, s12
.LBB142_1513:
	s_lshr_b32 s12, s16, 24
	s_and_b32 s12, s12, 0x80
	v_or_b32_e32 v0, s12, v0
	global_store_byte v[4:5], v0, off
.LBB142_1514:
	s_mov_b64 s[12:13], 0
	s_mov_b64 s[14:15], -1
.LBB142_1515:
	s_andn2_b64 vcc, exec, s[12:13]
	s_mov_b64 s[12:13], 0
	s_cbranch_vccnz .LBB142_1532
; %bb.1516:
	v_cmp_lt_i16_e32 vcc, 14, v12
	s_mov_b64 s[16:17], -1
	s_cbranch_vccz .LBB142_1530
; %bb.1517:
	v_cmp_eq_u16_e32 vcc, 15, v12
	s_mov_b64 s[6:7], -1
	s_cbranch_vccz .LBB142_1529
; %bb.1518:
	v_mov_b32_e32 v0, 0x80
	v_cmp_lt_i16_sdwa s[6:7], s11, v0 src0_sel:BYTE_0 src1_sel:DWORD
	s_and_b64 vcc, exec, s[6:7]
	s_cbranch_vccnz .LBB142_1521
; %bb.1519:
	v_cmp_eq_u16_sdwa s[6:7], s11, v0 src0_sel:BYTE_0 src1_sel:DWORD
	s_and_b64 vcc, exec, s[6:7]
	s_cbranch_vccz .LBB142_1522
; %bb.1520:
	s_mov_b64 s[6:7], 0
	s_mov_b32 s14, 0x7f800001
	s_branch .LBB142_1524
.LBB142_1521:
	s_mov_b64 s[12:13], -1
	s_mov_b64 s[6:7], 0
	s_branch .LBB142_1523
.LBB142_1522:
	s_mov_b64 s[6:7], -1
.LBB142_1523:
                                        ; implicit-def: $sgpr14
.LBB142_1524:
	s_and_b64 vcc, exec, s[12:13]
	s_cbranch_vccz .LBB142_1526
; %bb.1525:
	v_mov_b32_e32 v0, 0
	s_mov_b32 s14, 0
	v_cmp_ne_u16_sdwa s[6:7], s11, v0 src0_sel:BYTE_0 src1_sel:DWORD
.LBB142_1526:
	s_andn2_b64 vcc, exec, s[6:7]
	s_cbranch_vccnz .LBB142_1528
; %bb.1527:
	s_and_b32 s7, s11, 7
	s_flbit_i32_b32 s13, s7
	s_min_u32 s13, s13, 32
	v_lshrrev_b16_e64 v0, 3, s11
	s_sub_i32 s14, s13, 28
	v_readfirstlane_b32 s12, v0
	s_lshl_b32 s14, s11, s14
	s_lshl_b32 s6, s11, 24
	s_and_b32 s12, s12, 15
	s_sub_i32 s13, 29, s13
	s_and_b32 s14, s14, 7
	s_cmp_eq_u32 s12, 0
	s_cselect_b32 s12, s13, s12
	s_cselect_b32 s7, s14, s7
	s_lshl_b32 s12, s12, 23
	s_and_b32 s6, s6, 0x80000000
	s_add_i32 s12, s12, 0x3b800000
	s_lshl_b32 s7, s7, 20
	s_or_b32 s6, s6, s12
	s_or_b32 s14, s6, s7
.LBB142_1528:
	s_bfe_u32 s6, s14, 0x10010
	s_add_i32 s6, s14, s6
	s_addk_i32 s6, 0x7fff
	s_lshr_b32 s12, s6, 16
	v_cmp_o_f32_e64 s[6:7], s14, s14
	s_and_b64 s[6:7], s[6:7], exec
	s_cselect_b32 s6, s12, 0x7fc0
	v_mov_b32_e32 v0, s6
	global_store_short v[4:5], v0, off
	s_mov_b64 s[6:7], 0
	s_mov_b64 s[14:15], -1
.LBB142_1529:
	s_mov_b64 s[16:17], 0
.LBB142_1530:
	s_mov_b64 s[12:13], 0
	s_and_b64 vcc, exec, s[16:17]
	s_cbranch_vccz .LBB142_1532
; %bb.1531:
	v_cmp_ne_u16_e64 s[6:7], 11, v12
	s_mov_b64 s[12:13], -1
.LBB142_1532:
	s_and_b64 vcc, exec, s[6:7]
	s_mov_b64 s[6:7], s[2:3]
	s_cbranch_vccnz .LBB142_1544
; %bb.1533:
	s_andn2_b64 vcc, exec, s[12:13]
	s_cbranch_vccnz .LBB142_1545
.LBB142_1534:
	v_mov_b32_e32 v0, 0x80
	v_cmp_lt_i16_sdwa s[12:13], s11, v0 src0_sel:BYTE_0 src1_sel:DWORD
	s_and_b64 vcc, exec, s[12:13]
	s_cbranch_vccnz .LBB142_1537
; %bb.1535:
	v_cmp_eq_u16_sdwa s[12:13], s11, v0 src0_sel:BYTE_0 src1_sel:DWORD
	s_and_b64 vcc, exec, s[12:13]
	s_cbranch_vccz .LBB142_1538
; %bb.1536:
	s_mov_b64 s[14:15], 0
	s_mov_b64 s[12:13], -1
	s_branch .LBB142_1539
.LBB142_1537:
	s_mov_b64 s[14:15], 0
                                        ; implicit-def: $sgpr12_sgpr13
	s_cbranch_execnz .LBB142_1540
	s_branch .LBB142_1541
.LBB142_1538:
	s_mov_b64 s[14:15], -1
                                        ; implicit-def: $sgpr12_sgpr13
.LBB142_1539:
	s_branch .LBB142_1541
.LBB142_1540:
	v_mov_b32_e32 v0, 0
	v_cmp_ne_u16_sdwa s[14:15], s11, v0 src0_sel:BYTE_0 src1_sel:DWORD
	s_mov_b64 s[12:13], 0
.LBB142_1541:
	s_andn2_b64 vcc, exec, s[14:15]
	s_cbranch_vccnz .LBB142_1543
; %bb.1542:
	s_and_b32 s12, s11, 7
	s_flbit_i32_b32 s14, s12
	s_min_u32 s14, s14, 32
	v_lshrrev_b16_e64 v0, 3, s11
	s_sub_i32 s15, s14, 28
	v_readfirstlane_b32 s13, v0
	s_lshl_b32 s15, s11, s15
	s_and_b32 s13, s13, 15
	s_sub_i32 s14, 29, s14
	s_and_b32 s15, s15, 7
	s_cmp_eq_u32 s13, 0
	s_cselect_b32 s13, s14, s13
	s_cselect_b32 s12, s15, s12
	s_lshl_b32 s13, s13, 23
	s_add_i32 s13, s13, 0x3b800000
	s_lshl_b32 s12, s12, 20
	s_and_b32 s13, s13, 0x7f800000
	s_or_b32 s12, s13, s12
	s_cmp_lg_u32 s12, 0
	s_cselect_b64 s[12:13], -1, 0
.LBB142_1543:
	v_cndmask_b32_e64 v0, 0, 1, s[12:13]
	global_store_byte v[4:5], v0, off
	s_mov_b64 s[14:15], -1
	s_branch .LBB142_1546
.LBB142_1544:
	s_or_b64 s[6:7], s[2:3], exec
	s_trap 2
	s_cbranch_execz .LBB142_1534
.LBB142_1545:
.LBB142_1546:
	s_andn2_b64 vcc, exec, s[14:15]
	s_cbranch_vccnz .LBB142_2168
.LBB142_1547:
	s_lshl_b32 s10, s10, 7
	v_add_u32_e32 v6, s10, v6
	v_ashrrev_i32_e32 v0, 31, v6
	v_mov_b32_e32 v1, s9
	v_add_co_u32_e32 v4, vcc, s8, v6
	v_addc_co_u32_e32 v5, vcc, v1, v0, vcc
	s_and_b64 vcc, exec, s[0:1]
	s_cbranch_vccnz .LBB142_1556
; %bb.1548:
	v_cmp_lt_i16_e32 vcc, 25, v12
	s_mov_b64 s[18:19], -1
	s_mov_b64 s[14:15], 0
	s_mov_b64 s[16:17], 0
	s_mov_b64 s[12:13], 0
	s_cbranch_vccz .LBB142_1750
; %bb.1549:
	v_cmp_lt_i16_e32 vcc, 28, v12
	s_cbranch_vccz .LBB142_1725
; %bb.1550:
	v_cmp_lt_i16_e32 vcc, 43, v12
	;; [unrolled: 3-line block ×3, first 2 shown]
	s_cbranch_vccz .LBB142_1698
; %bb.1552:
	v_cmp_eq_u16_e32 vcc, 46, v12
	s_mov_b64 s[12:13], -1
	s_mov_b64 s[18:19], 0
	s_cbranch_vccz .LBB142_1698
; %bb.1553:
	v_mov_b32_e32 v0, 0x80
	v_cmp_lt_i16_sdwa s[12:13], s11, v0 src0_sel:BYTE_0 src1_sel:DWORD
	s_and_b64 vcc, exec, s[12:13]
	s_cbranch_vccnz .LBB142_1565
; %bb.1554:
	v_cmp_eq_u16_sdwa s[12:13], s11, v0 src0_sel:BYTE_0 src1_sel:DWORD
	s_and_b64 vcc, exec, s[12:13]
	s_cbranch_vccz .LBB142_1691
; %bb.1555:
	s_mov_b64 s[12:13], 0
	s_mov_b32 s20, 0x7f800001
	s_branch .LBB142_1693
.LBB142_1556:
	s_mov_b64 s[16:17], 0
	s_cbranch_execz .LBB142_1851
; %bb.1557:
	v_cmp_gt_i16_e32 vcc, 5, v12
	s_mov_b64 s[12:13], -1
	s_cbranch_vccnz .LBB142_1639
; %bb.1558:
	v_cmp_gt_i16_e32 vcc, 8, v12
	s_cbranch_vccnz .LBB142_1599
; %bb.1559:
	v_cmp_gt_i16_e32 vcc, 9, v12
	s_cbranch_vccnz .LBB142_1586
; %bb.1560:
	v_cmp_lt_i16_e32 vcc, 9, v12
	s_cbranch_vccz .LBB142_1573
; %bb.1561:
	v_mov_b32_e32 v0, 0x80
	v_cmp_lt_i16_sdwa s[12:13], s11, v0 src0_sel:BYTE_0 src1_sel:DWORD
	s_and_b64 vcc, exec, s[12:13]
	s_cbranch_vccnz .LBB142_1564
; %bb.1562:
	v_cmp_eq_u16_sdwa s[12:13], s11, v0 src0_sel:BYTE_0 src1_sel:DWORD
	s_and_b64 vcc, exec, s[12:13]
	s_cbranch_vccz .LBB142_1566
; %bb.1563:
	s_mov_b64 s[12:13], 0
	s_mov_b32 s15, 0x7ff80000
	s_brev_b32 s14, 4
	s_branch .LBB142_1567
.LBB142_1564:
	s_mov_b64 s[16:17], -1
	s_mov_b64 s[12:13], 0
                                        ; implicit-def: $sgpr14_sgpr15
	s_branch .LBB142_1568
.LBB142_1565:
	s_mov_b64 s[16:17], -1
	s_mov_b64 s[12:13], 0
	s_branch .LBB142_1692
.LBB142_1566:
	s_mov_b64 s[12:13], -1
                                        ; implicit-def: $sgpr14_sgpr15
.LBB142_1567:
	s_mov_b64 s[16:17], 0
.LBB142_1568:
	s_and_b64 vcc, exec, s[16:17]
	s_cbranch_vccz .LBB142_1570
; %bb.1569:
	v_mov_b32_e32 v0, 0
	v_cmp_ne_u16_sdwa s[12:13], s11, v0 src0_sel:BYTE_0 src1_sel:DWORD
	s_mov_b64 s[14:15], 0
.LBB142_1570:
	s_andn2_b64 vcc, exec, s[12:13]
	v_pk_mov_b32 v[0:1], s[14:15], s[14:15] op_sel:[0,1]
	s_cbranch_vccnz .LBB142_1572
; %bb.1571:
	s_and_b32 s13, s11, 7
	s_flbit_i32_b32 s15, s13
	s_min_u32 s15, s15, 32
	v_lshrrev_b16_e64 v0, 3, s11
	s_sub_i32 s16, s15, 28
	v_readfirstlane_b32 s14, v0
	s_lshl_b32 s16, s11, s16
	s_lshl_b32 s12, s11, 24
	s_and_b32 s14, s14, 15
	s_sub_i32 s15, 29, s15
	s_and_b32 s16, s16, 7
	s_cmp_eq_u32 s14, 0
	s_cselect_b32 s14, s15, s14
	s_cselect_b32 s13, s16, s13
	s_lshl_b32 s14, s14, 23
	s_and_b32 s12, s12, 0x80000000
	s_add_i32 s14, s14, 0x3b800000
	s_lshl_b32 s13, s13, 20
	s_or_b32 s12, s12, s14
	s_or_b32 s12, s12, s13
	v_cvt_f64_f32_e32 v[0:1], s12
.LBB142_1572:
	v_mov_b32_e32 v2, 0
	v_mov_b32_e32 v3, v2
	global_store_dwordx4 v[4:5], v[0:3], off
	s_mov_b64 s[12:13], 0
.LBB142_1573:
	s_and_b64 vcc, exec, s[12:13]
	s_cbranch_vccz .LBB142_1585
; %bb.1574:
	v_mov_b32_e32 v0, 0x80
	v_cmp_lt_i16_sdwa s[12:13], s11, v0 src0_sel:BYTE_0 src1_sel:DWORD
	s_and_b64 vcc, exec, s[12:13]
	s_cbranch_vccnz .LBB142_1577
; %bb.1575:
	v_cmp_eq_u16_sdwa s[12:13], s11, v0 src0_sel:BYTE_0 src1_sel:DWORD
	s_and_b64 vcc, exec, s[12:13]
	s_cbranch_vccz .LBB142_1578
; %bb.1576:
	s_mov_b64 s[12:13], 0
	s_mov_b32 s16, 0x7f800001
	s_branch .LBB142_1579
.LBB142_1577:
	s_mov_b64 s[14:15], -1
	s_mov_b64 s[12:13], 0
                                        ; implicit-def: $sgpr16
	s_branch .LBB142_1580
.LBB142_1578:
	s_mov_b64 s[12:13], -1
                                        ; implicit-def: $sgpr16
.LBB142_1579:
	s_mov_b64 s[14:15], 0
.LBB142_1580:
	s_and_b64 vcc, exec, s[14:15]
	v_mov_b32_e32 v0, s16
	s_cbranch_vccz .LBB142_1582
; %bb.1581:
	s_mov_b32 s12, 0xffff
	v_mov_b32_e32 v0, s11
	v_mov_b32_e32 v1, 0
	v_and_b32_sdwa v0, s12, v0 dst_sel:DWORD dst_unused:UNUSED_PAD src0_sel:DWORD src1_sel:BYTE_0
	v_cmp_ne_u16_sdwa s[12:13], s11, v1 src0_sel:BYTE_0 src1_sel:DWORD
.LBB142_1582:
	s_andn2_b64 vcc, exec, s[12:13]
	s_cbranch_vccnz .LBB142_1584
; %bb.1583:
	s_and_b32 s13, s11, 7
	s_flbit_i32_b32 s15, s13
	s_min_u32 s15, s15, 32
	v_lshrrev_b16_e64 v0, 3, s11
	s_sub_i32 s16, s15, 28
	v_readfirstlane_b32 s14, v0
	s_lshl_b32 s16, s11, s16
	s_lshl_b32 s12, s11, 24
	s_and_b32 s14, s14, 15
	s_sub_i32 s15, 29, s15
	s_and_b32 s16, s16, 7
	s_cmp_eq_u32 s14, 0
	s_cselect_b32 s14, s15, s14
	s_cselect_b32 s13, s16, s13
	s_lshl_b32 s14, s14, 23
	s_and_b32 s12, s12, 0x80000000
	s_add_i32 s14, s14, 0x3b800000
	s_lshl_b32 s13, s13, 20
	s_or_b32 s12, s12, s14
	s_or_b32 s12, s12, s13
	v_mov_b32_e32 v0, s12
.LBB142_1584:
	v_mov_b32_e32 v1, 0
	global_store_dwordx2 v[4:5], v[0:1], off
.LBB142_1585:
	s_mov_b64 s[12:13], 0
.LBB142_1586:
	s_andn2_b64 vcc, exec, s[12:13]
	s_cbranch_vccnz .LBB142_1598
; %bb.1587:
	v_mov_b32_e32 v0, 0x80
	v_cmp_lt_i16_sdwa s[12:13], s11, v0 src0_sel:BYTE_0 src1_sel:DWORD
	s_and_b64 vcc, exec, s[12:13]
	s_cbranch_vccnz .LBB142_1590
; %bb.1588:
	v_cmp_eq_u16_sdwa s[12:13], s11, v0 src0_sel:BYTE_0 src1_sel:DWORD
	s_and_b64 vcc, exec, s[12:13]
	s_cbranch_vccz .LBB142_1591
; %bb.1589:
	s_mov_b64 s[12:13], 0
	s_movk_i32 s16, 0x7e00
	s_branch .LBB142_1592
.LBB142_1590:
	s_mov_b64 s[14:15], -1
	s_mov_b64 s[12:13], 0
                                        ; implicit-def: $sgpr16
	s_branch .LBB142_1593
.LBB142_1591:
	s_mov_b64 s[12:13], -1
                                        ; implicit-def: $sgpr16
.LBB142_1592:
	s_mov_b64 s[14:15], 0
.LBB142_1593:
	s_and_b64 vcc, exec, s[14:15]
	v_mov_b32_e32 v0, s16
	s_cbranch_vccz .LBB142_1595
; %bb.1594:
	s_mov_b32 s12, 0xffff
	v_mov_b32_e32 v0, s11
	v_mov_b32_e32 v1, 0
	v_and_b32_sdwa v0, s12, v0 dst_sel:DWORD dst_unused:UNUSED_PAD src0_sel:DWORD src1_sel:BYTE_0
	v_cmp_ne_u16_sdwa s[12:13], s11, v1 src0_sel:BYTE_0 src1_sel:DWORD
.LBB142_1595:
	s_andn2_b64 vcc, exec, s[12:13]
	s_cbranch_vccnz .LBB142_1597
; %bb.1596:
	s_and_b32 s13, s11, 7
	s_flbit_i32_b32 s15, s13
	s_min_u32 s15, s15, 32
	v_lshrrev_b16_e64 v0, 3, s11
	s_sub_i32 s16, s15, 28
	v_readfirstlane_b32 s14, v0
	s_lshl_b32 s16, s11, s16
	s_lshl_b32 s12, s11, 24
	s_and_b32 s14, s14, 15
	s_sub_i32 s15, 29, s15
	s_and_b32 s16, s16, 7
	s_cmp_eq_u32 s14, 0
	s_cselect_b32 s14, s15, s14
	s_cselect_b32 s13, s16, s13
	s_lshl_b32 s14, s14, 23
	s_and_b32 s12, s12, 0x80000000
	s_add_i32 s14, s14, 0x3b800000
	s_lshl_b32 s13, s13, 20
	s_or_b32 s12, s12, s14
	s_or_b32 s12, s12, s13
	v_cvt_f16_f32_e32 v0, s12
.LBB142_1597:
	global_store_dword v[4:5], v0, off
.LBB142_1598:
	s_mov_b64 s[12:13], 0
.LBB142_1599:
	s_andn2_b64 vcc, exec, s[12:13]
	s_cbranch_vccnz .LBB142_1638
; %bb.1600:
	v_cmp_gt_i16_e32 vcc, 6, v12
	s_mov_b64 s[12:13], -1
	s_cbranch_vccnz .LBB142_1626
; %bb.1601:
	v_cmp_lt_i16_e32 vcc, 6, v12
	s_cbranch_vccz .LBB142_1613
; %bb.1602:
	v_mov_b32_e32 v0, 0x80
	v_cmp_lt_i16_sdwa s[12:13], s11, v0 src0_sel:BYTE_0 src1_sel:DWORD
	s_and_b64 vcc, exec, s[12:13]
	s_cbranch_vccnz .LBB142_1605
; %bb.1603:
	v_cmp_eq_u16_sdwa s[12:13], s11, v0 src0_sel:BYTE_0 src1_sel:DWORD
	s_and_b64 vcc, exec, s[12:13]
	s_cbranch_vccz .LBB142_1606
; %bb.1604:
	s_mov_b64 s[12:13], 0
	s_mov_b32 s15, 0x7ff80000
	s_brev_b32 s14, 4
	s_branch .LBB142_1607
.LBB142_1605:
	s_mov_b64 s[16:17], -1
	s_mov_b64 s[12:13], 0
                                        ; implicit-def: $sgpr14_sgpr15
	s_branch .LBB142_1608
.LBB142_1606:
	s_mov_b64 s[12:13], -1
                                        ; implicit-def: $sgpr14_sgpr15
.LBB142_1607:
	s_mov_b64 s[16:17], 0
.LBB142_1608:
	s_and_b64 vcc, exec, s[16:17]
	s_cbranch_vccz .LBB142_1610
; %bb.1609:
	v_mov_b32_e32 v0, 0
	v_cmp_ne_u16_sdwa s[12:13], s11, v0 src0_sel:BYTE_0 src1_sel:DWORD
	s_mov_b64 s[14:15], 0
.LBB142_1610:
	s_andn2_b64 vcc, exec, s[12:13]
	v_pk_mov_b32 v[0:1], s[14:15], s[14:15] op_sel:[0,1]
	s_cbranch_vccnz .LBB142_1612
; %bb.1611:
	s_and_b32 s13, s11, 7
	s_flbit_i32_b32 s15, s13
	s_min_u32 s15, s15, 32
	v_lshrrev_b16_e64 v0, 3, s11
	s_sub_i32 s16, s15, 28
	v_readfirstlane_b32 s14, v0
	s_lshl_b32 s16, s11, s16
	s_lshl_b32 s12, s11, 24
	s_and_b32 s14, s14, 15
	s_sub_i32 s15, 29, s15
	s_and_b32 s16, s16, 7
	s_cmp_eq_u32 s14, 0
	s_cselect_b32 s14, s15, s14
	s_cselect_b32 s13, s16, s13
	s_lshl_b32 s14, s14, 23
	s_and_b32 s12, s12, 0x80000000
	s_add_i32 s14, s14, 0x3b800000
	s_lshl_b32 s13, s13, 20
	s_or_b32 s12, s12, s14
	s_or_b32 s12, s12, s13
	v_cvt_f64_f32_e32 v[0:1], s12
.LBB142_1612:
	global_store_dwordx2 v[4:5], v[0:1], off
	s_mov_b64 s[12:13], 0
.LBB142_1613:
	s_and_b64 vcc, exec, s[12:13]
	s_cbranch_vccz .LBB142_1625
; %bb.1614:
	v_mov_b32_e32 v0, 0x80
	v_cmp_lt_i16_sdwa s[12:13], s11, v0 src0_sel:BYTE_0 src1_sel:DWORD
	s_and_b64 vcc, exec, s[12:13]
	s_cbranch_vccnz .LBB142_1617
; %bb.1615:
	v_cmp_eq_u16_sdwa s[12:13], s11, v0 src0_sel:BYTE_0 src1_sel:DWORD
	s_and_b64 vcc, exec, s[12:13]
	s_cbranch_vccz .LBB142_1618
; %bb.1616:
	s_mov_b64 s[12:13], 0
	s_mov_b32 s16, 0x7f800001
	s_branch .LBB142_1619
.LBB142_1617:
	s_mov_b64 s[14:15], -1
	s_mov_b64 s[12:13], 0
                                        ; implicit-def: $sgpr16
	s_branch .LBB142_1620
.LBB142_1618:
	s_mov_b64 s[12:13], -1
                                        ; implicit-def: $sgpr16
.LBB142_1619:
	s_mov_b64 s[14:15], 0
.LBB142_1620:
	s_and_b64 vcc, exec, s[14:15]
	v_mov_b32_e32 v0, s16
	s_cbranch_vccz .LBB142_1622
; %bb.1621:
	s_mov_b32 s12, 0xffff
	v_mov_b32_e32 v0, s11
	v_mov_b32_e32 v1, 0
	v_and_b32_sdwa v0, s12, v0 dst_sel:DWORD dst_unused:UNUSED_PAD src0_sel:DWORD src1_sel:BYTE_0
	v_cmp_ne_u16_sdwa s[12:13], s11, v1 src0_sel:BYTE_0 src1_sel:DWORD
.LBB142_1622:
	s_andn2_b64 vcc, exec, s[12:13]
	s_cbranch_vccnz .LBB142_1624
; %bb.1623:
	s_and_b32 s13, s11, 7
	s_flbit_i32_b32 s15, s13
	s_min_u32 s15, s15, 32
	v_lshrrev_b16_e64 v0, 3, s11
	s_sub_i32 s16, s15, 28
	v_readfirstlane_b32 s14, v0
	s_lshl_b32 s16, s11, s16
	s_lshl_b32 s12, s11, 24
	s_and_b32 s14, s14, 15
	s_sub_i32 s15, 29, s15
	s_and_b32 s16, s16, 7
	s_cmp_eq_u32 s14, 0
	s_cselect_b32 s14, s15, s14
	s_cselect_b32 s13, s16, s13
	s_lshl_b32 s14, s14, 23
	s_and_b32 s12, s12, 0x80000000
	s_add_i32 s14, s14, 0x3b800000
	s_lshl_b32 s13, s13, 20
	s_or_b32 s12, s12, s14
	s_or_b32 s12, s12, s13
	v_mov_b32_e32 v0, s12
.LBB142_1624:
	global_store_dword v[4:5], v0, off
.LBB142_1625:
	s_mov_b64 s[12:13], 0
.LBB142_1626:
	s_andn2_b64 vcc, exec, s[12:13]
	s_cbranch_vccnz .LBB142_1638
; %bb.1627:
	v_mov_b32_e32 v0, 0xff
	v_and_b32_e32 v0, s11, v0
	s_movk_i32 s12, 0x80
	v_cmp_gt_i16_e32 vcc, s12, v0
	s_cbranch_vccnz .LBB142_1630
; %bb.1628:
	v_cmp_eq_u16_e32 vcc, s12, v0
	s_cbranch_vccz .LBB142_1631
; %bb.1629:
	s_mov_b64 s[12:13], 0
	s_movk_i32 s16, 0x7e00
	s_branch .LBB142_1632
.LBB142_1630:
	s_mov_b64 s[14:15], -1
	s_mov_b64 s[12:13], 0
                                        ; implicit-def: $sgpr16
	s_branch .LBB142_1633
.LBB142_1631:
	s_mov_b64 s[12:13], -1
                                        ; implicit-def: $sgpr16
.LBB142_1632:
	s_mov_b64 s[14:15], 0
.LBB142_1633:
	s_and_b64 vcc, exec, s[14:15]
	v_mov_b32_e32 v1, s16
	s_cbranch_vccz .LBB142_1635
; %bb.1634:
	v_cmp_ne_u16_e64 s[12:13], 0, v0
	v_mov_b32_e32 v1, v0
.LBB142_1635:
	s_andn2_b64 vcc, exec, s[12:13]
	s_cbranch_vccnz .LBB142_1637
; %bb.1636:
	s_and_b32 s13, s11, 7
	s_flbit_i32_b32 s15, s13
	s_min_u32 s15, s15, 32
	v_lshrrev_b16_e64 v0, 3, s11
	s_sub_i32 s16, s15, 28
	v_readfirstlane_b32 s14, v0
	s_lshl_b32 s16, s11, s16
	s_lshl_b32 s12, s11, 24
	s_and_b32 s14, s14, 15
	s_sub_i32 s15, 29, s15
	s_and_b32 s16, s16, 7
	s_cmp_eq_u32 s14, 0
	s_cselect_b32 s14, s15, s14
	s_cselect_b32 s13, s16, s13
	s_lshl_b32 s14, s14, 23
	s_and_b32 s12, s12, 0x80000000
	s_add_i32 s14, s14, 0x3b800000
	s_lshl_b32 s13, s13, 20
	s_or_b32 s12, s12, s14
	s_or_b32 s12, s12, s13
	v_cvt_f16_f32_e32 v1, s12
.LBB142_1637:
	global_store_short v[4:5], v1, off
.LBB142_1638:
	s_mov_b64 s[12:13], 0
.LBB142_1639:
	s_andn2_b64 vcc, exec, s[12:13]
	s_cbranch_vccnz .LBB142_1690
; %bb.1640:
	v_cmp_gt_i16_e32 vcc, 2, v12
	s_mov_b64 s[12:13], -1
	s_cbranch_vccnz .LBB142_1671
; %bb.1641:
	v_cmp_gt_i16_e32 vcc, 3, v12
	s_cbranch_vccnz .LBB142_1661
; %bb.1642:
	v_cmp_lt_i16_e32 vcc, 3, v12
	s_cbranch_vccz .LBB142_1651
; %bb.1643:
	v_mov_b32_e32 v0, 0x80
	v_cmp_lt_i16_sdwa s[12:13], s11, v0 src0_sel:BYTE_0 src1_sel:DWORD
	s_and_b64 vcc, exec, s[12:13]
	s_cbranch_vccnz .LBB142_1645
; %bb.1644:
	v_cmp_ne_u16_sdwa s[12:13], s11, v0 src0_sel:BYTE_0 src1_sel:DWORD
	s_mov_b64 s[16:17], 0
	s_mov_b64 s[14:15], 0
	s_branch .LBB142_1646
.LBB142_1645:
	s_mov_b64 s[16:17], -1
	s_mov_b64 s[12:13], 0
                                        ; implicit-def: $sgpr14_sgpr15
.LBB142_1646:
	s_andn2_b64 vcc, exec, s[16:17]
	s_cbranch_vccnz .LBB142_1648
; %bb.1647:
	v_mov_b32_e32 v0, 0
	v_cmp_ne_u16_sdwa s[12:13], s11, v0 src0_sel:BYTE_0 src1_sel:DWORD
	s_mov_b64 s[14:15], 0
.LBB142_1648:
	s_andn2_b64 vcc, exec, s[12:13]
	v_pk_mov_b32 v[0:1], s[14:15], s[14:15] op_sel:[0,1]
	s_cbranch_vccnz .LBB142_1650
; %bb.1649:
	s_and_b32 s13, s11, 7
	s_flbit_i32_b32 s15, s13
	s_min_u32 s15, s15, 32
	v_lshrrev_b16_e64 v0, 3, s11
	s_sub_i32 s16, s15, 28
	v_readfirstlane_b32 s14, v0
	s_lshl_b32 s16, s11, s16
	s_lshl_b32 s12, s11, 24
	s_and_b32 s14, s14, 15
	s_sub_i32 s15, 29, s15
	s_and_b32 s16, s16, 7
	s_cmp_eq_u32 s14, 0
	s_cselect_b32 s14, s15, s14
	s_cselect_b32 s13, s16, s13
	s_lshl_b32 s14, s14, 23
	s_and_b32 s12, s12, 0x80000000
	s_add_i32 s14, s14, 0x3b800000
	s_lshl_b32 s13, s13, 20
	s_or_b32 s12, s12, s14
	s_or_b32 s12, s12, s13
	v_trunc_f32_e32 v0, s12
	s_mov_b32 s12, 0x2f800000
	v_mul_f32_e64 v1, |v0|, s12
	v_floor_f32_e32 v1, v1
	s_mov_b32 s12, 0xcf800000
	v_fma_f32 v2, v1, s12, |v0|
	v_cvt_u32_f32_e32 v2, v2
	v_cvt_u32_f32_e32 v1, v1
	v_ashrrev_i32_e32 v3, 31, v0
	v_xor_b32_e32 v0, v2, v3
	v_xor_b32_e32 v1, v1, v3
	v_sub_co_u32_e32 v0, vcc, v0, v3
	v_subb_co_u32_e32 v1, vcc, v1, v3, vcc
.LBB142_1650:
	global_store_dwordx2 v[4:5], v[0:1], off
	s_mov_b64 s[12:13], 0
.LBB142_1651:
	s_and_b64 vcc, exec, s[12:13]
	s_cbranch_vccz .LBB142_1660
; %bb.1652:
	v_mov_b32_e32 v0, 0x80
	v_cmp_lt_i16_sdwa s[12:13], s11, v0 src0_sel:BYTE_0 src1_sel:DWORD
	s_and_b64 vcc, exec, s[12:13]
	s_cbranch_vccnz .LBB142_1654
; %bb.1653:
	v_cmp_ne_u16_sdwa s[12:13], s11, v0 src0_sel:BYTE_0 src1_sel:DWORD
	s_mov_b64 s[14:15], 0
	s_mov_b32 s16, 0
	s_branch .LBB142_1655
.LBB142_1654:
	s_mov_b64 s[14:15], -1
	s_mov_b64 s[12:13], 0
                                        ; implicit-def: $sgpr16
.LBB142_1655:
	s_andn2_b64 vcc, exec, s[14:15]
	s_cbranch_vccnz .LBB142_1657
; %bb.1656:
	v_mov_b32_e32 v0, 0
	s_mov_b32 s16, 0
	v_cmp_ne_u16_sdwa s[12:13], s11, v0 src0_sel:BYTE_0 src1_sel:DWORD
.LBB142_1657:
	s_andn2_b64 vcc, exec, s[12:13]
	v_mov_b32_e32 v0, s16
	s_cbranch_vccnz .LBB142_1659
; %bb.1658:
	s_and_b32 s13, s11, 7
	s_flbit_i32_b32 s15, s13
	s_min_u32 s15, s15, 32
	v_lshrrev_b16_e64 v0, 3, s11
	s_sub_i32 s16, s15, 28
	v_readfirstlane_b32 s14, v0
	s_lshl_b32 s16, s11, s16
	s_lshl_b32 s12, s11, 24
	s_and_b32 s14, s14, 15
	s_sub_i32 s15, 29, s15
	s_and_b32 s16, s16, 7
	s_cmp_eq_u32 s14, 0
	s_cselect_b32 s14, s15, s14
	s_cselect_b32 s13, s16, s13
	s_lshl_b32 s14, s14, 23
	s_and_b32 s12, s12, 0x80000000
	s_add_i32 s14, s14, 0x3b800000
	s_lshl_b32 s13, s13, 20
	s_or_b32 s12, s12, s14
	s_or_b32 s12, s12, s13
	v_cvt_i32_f32_e32 v0, s12
.LBB142_1659:
	global_store_dword v[4:5], v0, off
.LBB142_1660:
	s_mov_b64 s[12:13], 0
.LBB142_1661:
	s_andn2_b64 vcc, exec, s[12:13]
	s_cbranch_vccnz .LBB142_1670
; %bb.1662:
	v_mov_b32_e32 v0, 0x80
	v_cmp_lt_i16_sdwa s[12:13], s11, v0 src0_sel:BYTE_0 src1_sel:DWORD
	s_and_b64 vcc, exec, s[12:13]
	s_cbranch_vccnz .LBB142_1664
; %bb.1663:
	v_cmp_ne_u16_sdwa s[12:13], s11, v0 src0_sel:BYTE_0 src1_sel:DWORD
	s_mov_b64 s[14:15], 0
	s_mov_b32 s16, 0
	s_branch .LBB142_1665
.LBB142_1664:
	s_mov_b64 s[14:15], -1
	s_mov_b64 s[12:13], 0
                                        ; implicit-def: $sgpr16
.LBB142_1665:
	s_andn2_b64 vcc, exec, s[14:15]
	s_cbranch_vccnz .LBB142_1667
; %bb.1666:
	v_mov_b32_e32 v0, 0
	s_mov_b32 s16, 0
	v_cmp_ne_u16_sdwa s[12:13], s11, v0 src0_sel:BYTE_0 src1_sel:DWORD
.LBB142_1667:
	s_andn2_b64 vcc, exec, s[12:13]
	v_mov_b32_e32 v0, s16
	s_cbranch_vccnz .LBB142_1669
; %bb.1668:
	s_and_b32 s13, s11, 7
	s_flbit_i32_b32 s15, s13
	s_min_u32 s15, s15, 32
	v_lshrrev_b16_e64 v0, 3, s11
	s_sub_i32 s16, s15, 28
	v_readfirstlane_b32 s14, v0
	s_lshl_b32 s16, s11, s16
	s_lshl_b32 s12, s11, 24
	s_and_b32 s14, s14, 15
	s_sub_i32 s15, 29, s15
	s_and_b32 s16, s16, 7
	s_cmp_eq_u32 s14, 0
	s_cselect_b32 s14, s15, s14
	s_cselect_b32 s13, s16, s13
	s_lshl_b32 s14, s14, 23
	s_and_b32 s12, s12, 0x80000000
	s_add_i32 s14, s14, 0x3b800000
	s_lshl_b32 s13, s13, 20
	s_or_b32 s12, s12, s14
	s_or_b32 s12, s12, s13
	v_cvt_i32_f32_e32 v0, s12
.LBB142_1669:
	global_store_short v[4:5], v0, off
.LBB142_1670:
	s_mov_b64 s[12:13], 0
.LBB142_1671:
	s_andn2_b64 vcc, exec, s[12:13]
	s_cbranch_vccnz .LBB142_1690
; %bb.1672:
	v_cmp_lt_i16_e32 vcc, 0, v12
	s_mov_b64 s[12:13], -1
	s_cbranch_vccz .LBB142_1681
; %bb.1673:
	v_mov_b32_e32 v0, 0x80
	v_cmp_lt_i16_sdwa s[12:13], s11, v0 src0_sel:BYTE_0 src1_sel:DWORD
	s_and_b64 vcc, exec, s[12:13]
	s_cbranch_vccnz .LBB142_1675
; %bb.1674:
	v_cmp_ne_u16_sdwa s[12:13], s11, v0 src0_sel:BYTE_0 src1_sel:DWORD
	s_mov_b64 s[14:15], 0
	s_mov_b32 s16, 0
	s_branch .LBB142_1676
.LBB142_1675:
	s_mov_b64 s[14:15], -1
	s_mov_b64 s[12:13], 0
                                        ; implicit-def: $sgpr16
.LBB142_1676:
	s_andn2_b64 vcc, exec, s[14:15]
	s_cbranch_vccnz .LBB142_1678
; %bb.1677:
	v_mov_b32_e32 v0, 0
	s_mov_b32 s16, 0
	v_cmp_ne_u16_sdwa s[12:13], s11, v0 src0_sel:BYTE_0 src1_sel:DWORD
.LBB142_1678:
	s_andn2_b64 vcc, exec, s[12:13]
	v_mov_b32_e32 v0, s16
	s_cbranch_vccnz .LBB142_1680
; %bb.1679:
	s_and_b32 s13, s11, 7
	s_flbit_i32_b32 s15, s13
	s_min_u32 s15, s15, 32
	v_lshrrev_b16_e64 v0, 3, s11
	s_sub_i32 s16, s15, 28
	v_readfirstlane_b32 s14, v0
	s_lshl_b32 s16, s11, s16
	s_lshl_b32 s12, s11, 24
	s_and_b32 s14, s14, 15
	s_sub_i32 s15, 29, s15
	s_and_b32 s16, s16, 7
	s_cmp_eq_u32 s14, 0
	s_cselect_b32 s14, s15, s14
	s_cselect_b32 s13, s16, s13
	s_lshl_b32 s14, s14, 23
	s_and_b32 s12, s12, 0x80000000
	s_add_i32 s14, s14, 0x3b800000
	s_lshl_b32 s13, s13, 20
	s_or_b32 s12, s12, s14
	s_or_b32 s12, s12, s13
	v_cvt_i32_f32_e32 v0, s12
.LBB142_1680:
	global_store_byte v[4:5], v0, off
	s_mov_b64 s[12:13], 0
.LBB142_1681:
	s_and_b64 vcc, exec, s[12:13]
	s_cbranch_vccz .LBB142_1690
; %bb.1682:
	v_mov_b32_e32 v0, 0x80
	v_cmp_lt_i16_sdwa s[12:13], s11, v0 src0_sel:BYTE_0 src1_sel:DWORD
	s_and_b64 vcc, exec, s[12:13]
	s_cbranch_vccnz .LBB142_1684
; %bb.1683:
	v_cmp_ne_u16_sdwa s[12:13], s11, v0 src0_sel:BYTE_0 src1_sel:DWORD
	s_mov_b64 s[14:15], 0
	s_mov_b32 s16, 0
	s_branch .LBB142_1685
.LBB142_1684:
	s_mov_b64 s[14:15], -1
	s_mov_b64 s[12:13], 0
                                        ; implicit-def: $sgpr16
.LBB142_1685:
	s_andn2_b64 vcc, exec, s[14:15]
	s_cbranch_vccnz .LBB142_1687
; %bb.1686:
	v_mov_b32_e32 v0, 0
	s_mov_b32 s16, 0
	v_cmp_ne_u16_sdwa s[12:13], s11, v0 src0_sel:BYTE_0 src1_sel:DWORD
.LBB142_1687:
	s_andn2_b64 vcc, exec, s[12:13]
	v_mov_b32_e32 v0, s16
	s_cbranch_vccnz .LBB142_1689
; %bb.1688:
	s_and_b32 s13, s11, 7
	s_flbit_i32_b32 s15, s13
	s_min_u32 s15, s15, 32
	v_lshrrev_b16_e64 v0, 3, s11
	s_sub_i32 s16, s15, 28
	v_readfirstlane_b32 s14, v0
	s_lshl_b32 s16, s11, s16
	s_lshl_b32 s12, s11, 24
	s_and_b32 s14, s14, 15
	s_sub_i32 s15, 29, s15
	s_and_b32 s16, s16, 7
	s_cmp_eq_u32 s14, 0
	s_cselect_b32 s14, s15, s14
	s_cselect_b32 s13, s16, s13
	s_lshl_b32 s14, s14, 23
	s_and_b32 s12, s12, 0x80000000
	s_add_i32 s14, s14, 0x3b800000
	s_lshl_b32 s13, s13, 20
	s_or_b32 s12, s12, s14
	s_or_b32 s12, s12, s13
	v_trunc_f32_e32 v0, s12
	s_mov_b32 s12, 0x2f800000
	v_mul_f32_e64 v1, |v0|, s12
	v_floor_f32_e32 v1, v1
	s_mov_b32 s12, 0xcf800000
	v_fma_f32 v1, v1, s12, |v0|
	v_cvt_u32_f32_e32 v1, v1
	v_ashrrev_i32_e32 v0, 31, v0
	v_xor_b32_e32 v1, v1, v0
	v_sub_u32_e32 v0, v1, v0
.LBB142_1689:
	global_store_byte v[4:5], v0, off
.LBB142_1690:
	s_branch .LBB142_1852
.LBB142_1691:
	s_mov_b64 s[12:13], -1
.LBB142_1692:
                                        ; implicit-def: $sgpr20
.LBB142_1693:
	s_and_b64 vcc, exec, s[16:17]
	s_cbranch_vccz .LBB142_1695
; %bb.1694:
	v_mov_b32_e32 v0, 0
	s_mov_b32 s20, 0
	v_cmp_ne_u16_sdwa s[12:13], s11, v0 src0_sel:BYTE_0 src1_sel:DWORD
.LBB142_1695:
	s_andn2_b64 vcc, exec, s[12:13]
	s_cbranch_vccnz .LBB142_1697
; %bb.1696:
	s_and_b32 s13, s11, 7
	s_flbit_i32_b32 s17, s13
	s_min_u32 s17, s17, 32
	v_lshrrev_b16_e64 v0, 3, s11
	s_sub_i32 s20, s17, 28
	v_readfirstlane_b32 s16, v0
	s_lshl_b32 s20, s11, s20
	s_lshl_b32 s12, s11, 24
	s_and_b32 s16, s16, 15
	s_sub_i32 s17, 29, s17
	s_and_b32 s20, s20, 7
	s_cmp_eq_u32 s16, 0
	s_cselect_b32 s16, s17, s16
	s_cselect_b32 s13, s20, s13
	s_lshl_b32 s16, s16, 23
	s_and_b32 s12, s12, 0x80000000
	s_add_i32 s16, s16, 0x3b800000
	s_lshl_b32 s13, s13, 20
	s_or_b32 s12, s12, s16
	s_or_b32 s20, s12, s13
.LBB142_1697:
	s_bfe_u32 s12, s20, 0x10010
	s_add_i32 s12, s20, s12
	s_addk_i32 s12, 0x7fff
	s_lshr_b32 s16, s12, 16
	v_cmp_o_f32_e64 s[12:13], s20, s20
	s_and_b64 s[12:13], s[12:13], exec
	s_cselect_b32 s12, s16, 0x7fc0
	v_mov_b32_e32 v0, s12
	s_mov_b64 s[12:13], 0
	s_mov_b64 s[16:17], -1
	global_store_dword v[4:5], v0, off
.LBB142_1698:
	s_and_b64 vcc, exec, s[18:19]
	s_cbranch_vccz .LBB142_1711
; %bb.1699:
	v_cmp_eq_u16_e32 vcc, 44, v12
	s_mov_b64 s[12:13], -1
	s_cbranch_vccz .LBB142_1711
; %bb.1700:
	v_mov_b32_e32 v0, 0xff
	v_and_b32_e32 v0, s11, v0
	s_movk_i32 s12, 0x80
	v_cmp_gt_i16_e32 vcc, s12, v0
	v_readfirstlane_b32 s19, v0
	s_cbranch_vccnz .LBB142_1703
; %bb.1701:
	v_mov_b32_e32 v0, 0x80
	v_cmp_eq_u16_e32 vcc, s19, v0
	s_cbranch_vccz .LBB142_1704
; %bb.1702:
	s_mov_b64 s[12:13], 0
	s_mov_b32 s18, 0x7f800001
	s_branch .LBB142_1705
.LBB142_1703:
	s_mov_b64 s[16:17], -1
	s_mov_b64 s[12:13], 0
                                        ; implicit-def: $sgpr18
	s_branch .LBB142_1706
.LBB142_1704:
	s_mov_b64 s[12:13], -1
                                        ; implicit-def: $sgpr18
.LBB142_1705:
	s_mov_b64 s[16:17], 0
.LBB142_1706:
	s_and_b64 vcc, exec, s[16:17]
	s_cbranch_vccz .LBB142_1716
; %bb.1707:
	s_and_b32 s18, 0xffff, s19
	v_cmp_ne_u16_e64 s[12:13], s19, 0
	s_andn2_b64 vcc, exec, s[12:13]
	s_cbranch_vccz .LBB142_1717
.LBB142_1708:
	s_bfe_u32 s12, s18, 0x80017
	s_cmpk_eq_i32 s12, 0xff
	v_mov_b32_e32 v0, 0xff
	s_cbranch_scc1 .LBB142_1710
.LBB142_1709:
	s_lshr_b32 s19, s18, 23
	s_bitcmp1_b32 s18, 22
	s_cselect_b64 s[16:17], -1, 0
	s_and_b32 s13, s18, 0x3fffff
	s_or_b32 s12, s12, s13
	s_cmp_lg_u32 s12, 0
	s_cselect_b64 s[12:13], -1, 0
	s_and_b64 s[12:13], s[16:17], s[12:13]
	v_cndmask_b32_e64 v0, 0, 1, s[12:13]
	v_add_u32_e32 v0, s19, v0
.LBB142_1710:
	s_mov_b64 s[12:13], 0
	s_mov_b64 s[16:17], -1
	global_store_byte v[4:5], v0, off
.LBB142_1711:
	s_mov_b64 s[18:19], 0
.LBB142_1712:
	s_and_b64 vcc, exec, s[18:19]
	s_cbranch_vccz .LBB142_1724
; %bb.1713:
	v_cmp_eq_u16_e32 vcc, 29, v12
	s_mov_b64 s[12:13], -1
	s_cbranch_vccz .LBB142_1724
; %bb.1714:
	v_mov_b32_e32 v0, 0x80
	v_cmp_lt_i16_sdwa s[12:13], s11, v0 src0_sel:BYTE_0 src1_sel:DWORD
	s_and_b64 vcc, exec, s[12:13]
	s_cbranch_vccnz .LBB142_1718
; %bb.1715:
	v_cmp_ne_u16_sdwa s[12:13], s11, v0 src0_sel:BYTE_0 src1_sel:DWORD
	s_mov_b64 s[18:19], 0
	s_mov_b64 s[16:17], 0
	s_branch .LBB142_1719
.LBB142_1716:
	s_andn2_b64 vcc, exec, s[12:13]
	s_cbranch_vccnz .LBB142_1708
.LBB142_1717:
	s_and_b32 s12, s11, 7
	s_flbit_i32_b32 s16, s12
	s_min_u32 s16, s16, 32
	v_lshrrev_b16_e64 v0, 3, s11
	s_sub_i32 s17, s16, 28
	v_readfirstlane_b32 s13, v0
	s_lshl_b32 s17, s11, s17
	s_and_b32 s13, s13, 15
	s_sub_i32 s16, 29, s16
	s_and_b32 s17, s17, 7
	s_cmp_eq_u32 s13, 0
	s_cselect_b32 s13, s16, s13
	s_cselect_b32 s12, s17, s12
	s_lshl_b32 s12, s12, 20
	s_lshl_b32 s13, s13, 23
	s_or_b32 s12, s13, s12
	s_add_i32 s18, s12, 0x3b800000
	s_bfe_u32 s12, s18, 0x80017
	s_cmpk_eq_i32 s12, 0xff
	v_mov_b32_e32 v0, 0xff
	s_cbranch_scc0 .LBB142_1709
	s_branch .LBB142_1710
.LBB142_1718:
	s_mov_b64 s[18:19], -1
	s_mov_b64 s[12:13], 0
                                        ; implicit-def: $sgpr16_sgpr17
.LBB142_1719:
	s_andn2_b64 vcc, exec, s[18:19]
	s_cbranch_vccnz .LBB142_1721
; %bb.1720:
	v_mov_b32_e32 v0, 0
	v_cmp_ne_u16_sdwa s[12:13], s11, v0 src0_sel:BYTE_0 src1_sel:DWORD
	s_mov_b64 s[16:17], 0
.LBB142_1721:
	s_andn2_b64 vcc, exec, s[12:13]
	v_pk_mov_b32 v[0:1], s[16:17], s[16:17] op_sel:[0,1]
	s_cbranch_vccnz .LBB142_1723
; %bb.1722:
	s_and_b32 s13, s11, 7
	s_flbit_i32_b32 s17, s13
	s_min_u32 s17, s17, 32
	v_lshrrev_b16_e64 v0, 3, s11
	s_sub_i32 s18, s17, 28
	v_readfirstlane_b32 s16, v0
	s_lshl_b32 s18, s11, s18
	s_lshl_b32 s12, s11, 24
	s_and_b32 s16, s16, 15
	s_sub_i32 s17, 29, s17
	s_and_b32 s18, s18, 7
	s_cmp_eq_u32 s16, 0
	s_cselect_b32 s16, s17, s16
	s_cselect_b32 s13, s18, s13
	s_lshl_b32 s16, s16, 23
	s_and_b32 s12, s12, 0x80000000
	s_add_i32 s16, s16, 0x3b800000
	s_lshl_b32 s13, s13, 20
	s_or_b32 s12, s12, s16
	s_or_b32 s12, s12, s13
	v_trunc_f32_e32 v0, s12
	v_mul_f32_e32 v1, 0x2f800000, v0
	v_floor_f32_e32 v1, v1
	v_fmac_f32_e32 v0, 0xcf800000, v1
	v_cvt_u32_f32_e32 v0, v0
	v_cvt_u32_f32_e32 v1, v1
.LBB142_1723:
	global_store_dwordx2 v[4:5], v[0:1], off
	s_mov_b64 s[12:13], 0
	s_mov_b64 s[16:17], -1
.LBB142_1724:
	s_mov_b64 s[18:19], 0
.LBB142_1725:
	s_and_b64 vcc, exec, s[18:19]
	s_cbranch_vccz .LBB142_1749
; %bb.1726:
	v_cmp_gt_i16_e32 vcc, 27, v12
	s_mov_b64 s[16:17], -1
	s_cbranch_vccnz .LBB142_1746
; %bb.1727:
	v_cmp_lt_i16_e32 vcc, 27, v12
	s_cbranch_vccz .LBB142_1736
; %bb.1728:
	v_mov_b32_e32 v0, 0x80
	v_cmp_lt_i16_sdwa s[16:17], s11, v0 src0_sel:BYTE_0 src1_sel:DWORD
	s_and_b64 vcc, exec, s[16:17]
	s_cbranch_vccnz .LBB142_1730
; %bb.1729:
	v_cmp_ne_u16_sdwa s[16:17], s11, v0 src0_sel:BYTE_0 src1_sel:DWORD
	s_mov_b64 s[18:19], 0
	s_mov_b32 s20, 0
	s_branch .LBB142_1731
.LBB142_1730:
	s_mov_b64 s[18:19], -1
	s_mov_b64 s[16:17], 0
                                        ; implicit-def: $sgpr20
.LBB142_1731:
	s_andn2_b64 vcc, exec, s[18:19]
	s_cbranch_vccnz .LBB142_1733
; %bb.1732:
	v_mov_b32_e32 v0, 0
	s_mov_b32 s20, 0
	v_cmp_ne_u16_sdwa s[16:17], s11, v0 src0_sel:BYTE_0 src1_sel:DWORD
.LBB142_1733:
	s_andn2_b64 vcc, exec, s[16:17]
	v_mov_b32_e32 v0, s20
	s_cbranch_vccnz .LBB142_1735
; %bb.1734:
	s_and_b32 s17, s11, 7
	s_flbit_i32_b32 s19, s17
	s_min_u32 s19, s19, 32
	v_lshrrev_b16_e64 v0, 3, s11
	s_sub_i32 s20, s19, 28
	v_readfirstlane_b32 s18, v0
	s_lshl_b32 s20, s11, s20
	s_lshl_b32 s16, s11, 24
	s_and_b32 s18, s18, 15
	s_sub_i32 s19, 29, s19
	s_and_b32 s20, s20, 7
	s_cmp_eq_u32 s18, 0
	s_cselect_b32 s18, s19, s18
	s_cselect_b32 s17, s20, s17
	s_lshl_b32 s18, s18, 23
	s_and_b32 s16, s16, 0x80000000
	s_add_i32 s18, s18, 0x3b800000
	s_lshl_b32 s17, s17, 20
	s_or_b32 s16, s16, s18
	s_or_b32 s16, s16, s17
	v_cvt_u32_f32_e32 v0, s16
.LBB142_1735:
	global_store_dword v[4:5], v0, off
	s_mov_b64 s[16:17], 0
.LBB142_1736:
	s_and_b64 vcc, exec, s[16:17]
	s_cbranch_vccz .LBB142_1745
; %bb.1737:
	v_mov_b32_e32 v0, 0x80
	v_cmp_lt_i16_sdwa s[16:17], s11, v0 src0_sel:BYTE_0 src1_sel:DWORD
	s_and_b64 vcc, exec, s[16:17]
	s_cbranch_vccnz .LBB142_1739
; %bb.1738:
	v_cmp_ne_u16_sdwa s[16:17], s11, v0 src0_sel:BYTE_0 src1_sel:DWORD
	s_mov_b64 s[18:19], 0
	s_mov_b32 s20, 0
	s_branch .LBB142_1740
.LBB142_1739:
	s_mov_b64 s[18:19], -1
	s_mov_b64 s[16:17], 0
                                        ; implicit-def: $sgpr20
.LBB142_1740:
	s_andn2_b64 vcc, exec, s[18:19]
	s_cbranch_vccnz .LBB142_1742
; %bb.1741:
	v_mov_b32_e32 v0, 0
	s_mov_b32 s20, 0
	v_cmp_ne_u16_sdwa s[16:17], s11, v0 src0_sel:BYTE_0 src1_sel:DWORD
.LBB142_1742:
	s_andn2_b64 vcc, exec, s[16:17]
	v_mov_b32_e32 v0, s20
	s_cbranch_vccnz .LBB142_1744
; %bb.1743:
	s_and_b32 s17, s11, 7
	s_flbit_i32_b32 s19, s17
	s_min_u32 s19, s19, 32
	v_lshrrev_b16_e64 v0, 3, s11
	s_sub_i32 s20, s19, 28
	v_readfirstlane_b32 s18, v0
	s_lshl_b32 s20, s11, s20
	s_lshl_b32 s16, s11, 24
	s_and_b32 s18, s18, 15
	s_sub_i32 s19, 29, s19
	s_and_b32 s20, s20, 7
	s_cmp_eq_u32 s18, 0
	s_cselect_b32 s18, s19, s18
	s_cselect_b32 s17, s20, s17
	s_lshl_b32 s18, s18, 23
	s_and_b32 s16, s16, 0x80000000
	s_add_i32 s18, s18, 0x3b800000
	s_lshl_b32 s17, s17, 20
	s_or_b32 s16, s16, s18
	s_or_b32 s16, s16, s17
	v_cvt_u32_f32_e32 v0, s16
.LBB142_1744:
	global_store_short v[4:5], v0, off
.LBB142_1745:
	s_mov_b64 s[16:17], 0
.LBB142_1746:
	s_andn2_b64 vcc, exec, s[16:17]
	s_cbranch_vccnz .LBB142_1748
; %bb.1747:
	v_mov_b32_e32 v0, s11
	global_store_byte v[4:5], v0, off
.LBB142_1748:
	s_mov_b64 s[16:17], -1
.LBB142_1749:
	s_mov_b64 s[18:19], 0
.LBB142_1750:
	s_and_b64 vcc, exec, s[18:19]
	s_cbranch_vccz .LBB142_1836
; %bb.1751:
	v_cmp_lt_i16_e32 vcc, 22, v12
	s_mov_b64 s[14:15], -1
	s_cbranch_vccz .LBB142_1819
; %bb.1752:
	v_cmp_gt_i16_e32 vcc, 24, v12
	s_cbranch_vccnz .LBB142_1796
; %bb.1753:
	v_cmp_lt_i16_e32 vcc, 24, v12
	s_cbranch_vccz .LBB142_1773
; %bb.1754:
	v_mov_b32_e32 v0, 0x80
	v_cmp_lt_i16_sdwa s[14:15], s11, v0 src0_sel:BYTE_0 src1_sel:DWORD
	s_and_b64 vcc, exec, s[14:15]
	s_cbranch_vccnz .LBB142_1757
; %bb.1755:
	v_cmp_eq_u16_sdwa s[14:15], s11, v0 src0_sel:BYTE_0 src1_sel:DWORD
	s_and_b64 vcc, exec, s[14:15]
	s_cbranch_vccz .LBB142_1758
; %bb.1756:
	s_mov_b64 s[14:15], 0
	s_mov_b32 s18, 0x7f800001
	s_branch .LBB142_1759
.LBB142_1757:
	s_mov_b64 s[16:17], -1
	s_mov_b64 s[14:15], 0
                                        ; implicit-def: $sgpr18
	s_branch .LBB142_1760
.LBB142_1758:
	s_mov_b64 s[14:15], -1
                                        ; implicit-def: $sgpr18
.LBB142_1759:
	s_mov_b64 s[16:17], 0
.LBB142_1760:
	s_and_b64 vcc, exec, s[16:17]
	s_cbranch_vccz .LBB142_1763
; %bb.1761:
	v_mov_b32_e32 v0, 0
	s_mov_b32 s18, 0
	v_cmp_ne_u16_sdwa s[14:15], s11, v0 src0_sel:BYTE_0 src1_sel:DWORD
	s_andn2_b64 vcc, exec, s[14:15]
	s_cbranch_vccz .LBB142_1764
.LBB142_1762:
	s_and_b32 s14, s18, 0x7fffffff
	s_cmp_gt_u32 s14, 0x477fffff
	v_mov_b32_e32 v1, 0x80
	s_cbranch_scc0 .LBB142_1765
	s_branch .LBB142_1772
.LBB142_1763:
	s_andn2_b64 vcc, exec, s[14:15]
	s_cbranch_vccnz .LBB142_1762
.LBB142_1764:
	s_and_b32 s15, s11, 7
	s_flbit_i32_b32 s17, s15
	s_min_u32 s17, s17, 32
	v_lshrrev_b16_e64 v0, 3, s11
	s_sub_i32 s18, s17, 28
	v_readfirstlane_b32 s16, v0
	s_lshl_b32 s18, s11, s18
	s_lshl_b32 s14, s11, 24
	s_and_b32 s16, s16, 15
	s_sub_i32 s17, 29, s17
	s_and_b32 s18, s18, 7
	s_cmp_eq_u32 s16, 0
	s_cselect_b32 s16, s17, s16
	s_cselect_b32 s15, s18, s15
	s_lshl_b32 s16, s16, 23
	s_and_b32 s14, s14, 0x80000000
	s_add_i32 s16, s16, 0x3b800000
	s_lshl_b32 s15, s15, 20
	s_or_b32 s14, s14, s16
	s_or_b32 s18, s14, s15
	s_and_b32 s14, s18, 0x7fffffff
	s_cmp_gt_u32 s14, 0x477fffff
	v_mov_b32_e32 v1, 0x80
	s_cbranch_scc1 .LBB142_1772
.LBB142_1765:
	s_cmp_gt_u32 s14, 0x37ffffff
	s_cbranch_scc0 .LBB142_1767
; %bb.1766:
	s_bfe_u32 s14, s18, 0x10015
	s_add_i32 s14, s18, s14
	s_add_i32 s14, s14, 0x88fffff
	s_lshr_b32 s19, s14, 21
	s_mov_b64 s[16:17], 0
	s_mov_b64 s[14:15], -1
	s_branch .LBB142_1768
.LBB142_1767:
	s_mov_b64 s[16:17], -1
	s_mov_b64 s[14:15], 0
                                        ; implicit-def: $sgpr19
.LBB142_1768:
	s_andn2_b64 vcc, exec, s[16:17]
	v_mov_b32_e32 v0, s19
                                        ; implicit-def: $sgpr16
	s_cbranch_vccnz .LBB142_1770
; %bb.1769:
	v_mov_b32_e32 v0, 0x42800000
	v_add_f32_e64 v0, |s18|, v0
	v_and_b32_e32 v0, 0xff, v0
	s_mov_b32 s16, 0
	v_cmp_ne_u32_e64 s[14:15], 0, v0
.LBB142_1770:
	s_andn2_b64 vcc, exec, s[14:15]
	v_mov_b32_e32 v1, s16
	s_cbranch_vccnz .LBB142_1772
; %bb.1771:
	s_lshr_b32 s14, s18, 24
	s_and_b32 s14, s14, 0x80
	v_or_b32_e32 v1, s14, v0
.LBB142_1772:
	global_store_byte v[4:5], v1, off
	s_mov_b64 s[14:15], 0
.LBB142_1773:
	s_and_b64 vcc, exec, s[14:15]
	s_cbranch_vccz .LBB142_1795
; %bb.1774:
	v_mov_b32_e32 v0, 0x80
	v_cmp_lt_i16_sdwa s[14:15], s11, v0 src0_sel:BYTE_0 src1_sel:DWORD
	s_and_b64 vcc, exec, s[14:15]
	s_cbranch_vccnz .LBB142_1777
; %bb.1775:
	v_cmp_eq_u16_sdwa s[14:15], s11, v0 src0_sel:BYTE_0 src1_sel:DWORD
	s_and_b64 vcc, exec, s[14:15]
	s_cbranch_vccz .LBB142_1778
; %bb.1776:
	s_mov_b64 s[14:15], 0
	s_mov_b32 s18, 0x7f800001
	s_branch .LBB142_1779
.LBB142_1777:
	s_mov_b64 s[16:17], -1
	s_mov_b64 s[14:15], 0
                                        ; implicit-def: $sgpr18
	s_branch .LBB142_1780
.LBB142_1778:
	s_mov_b64 s[14:15], -1
                                        ; implicit-def: $sgpr18
.LBB142_1779:
	s_mov_b64 s[16:17], 0
.LBB142_1780:
	s_and_b64 vcc, exec, s[16:17]
	s_cbranch_vccz .LBB142_1785
; %bb.1781:
	v_mov_b32_e32 v0, 0
	s_mov_b32 s18, 0
	v_cmp_ne_u16_sdwa s[14:15], s11, v0 src0_sel:BYTE_0 src1_sel:DWORD
	s_andn2_b64 vcc, exec, s[14:15]
	s_cbranch_vccz .LBB142_1786
.LBB142_1782:
	s_and_b32 s16, s18, 0x7fffffff
	s_cmp_lt_u32 s16, 0x43f00000
	s_cbranch_scc0 .LBB142_1787
.LBB142_1783:
	s_cmp_gt_u32 s16, 0x3c7fffff
	s_cbranch_scc0 .LBB142_1788
; %bb.1784:
	s_bfe_u32 s14, s18, 0x10014
	s_add_i32 s14, s18, s14
	s_add_i32 s14, s14, 0x407ffff
	s_lshr_b32 s15, s14, 20
	s_and_b32 s14, s14, 0xff00000
	s_cmp_lg_u32 s14, 0x7f00000
	s_cselect_b32 s17, s15, 0x7e
	s_mov_b64 s[14:15], 0
	s_branch .LBB142_1789
.LBB142_1785:
	s_andn2_b64 vcc, exec, s[14:15]
	s_cbranch_vccnz .LBB142_1782
.LBB142_1786:
	s_and_b32 s15, s11, 7
	s_flbit_i32_b32 s17, s15
	s_min_u32 s17, s17, 32
	v_lshrrev_b16_e64 v0, 3, s11
	s_sub_i32 s18, s17, 28
	v_readfirstlane_b32 s16, v0
	s_lshl_b32 s18, s11, s18
	s_lshl_b32 s14, s11, 24
	s_and_b32 s16, s16, 15
	s_sub_i32 s17, 29, s17
	s_and_b32 s18, s18, 7
	s_cmp_eq_u32 s16, 0
	s_cselect_b32 s16, s17, s16
	s_cselect_b32 s15, s18, s15
	s_lshl_b32 s16, s16, 23
	s_and_b32 s14, s14, 0x80000000
	s_add_i32 s16, s16, 0x3b800000
	s_lshl_b32 s15, s15, 20
	s_or_b32 s14, s14, s16
	s_or_b32 s18, s14, s15
	s_and_b32 s16, s18, 0x7fffffff
	s_cmp_lt_u32 s16, 0x43f00000
	s_cbranch_scc1 .LBB142_1783
.LBB142_1787:
	s_mov_b64 s[14:15], -1
                                        ; implicit-def: $vgpr0
	s_branch .LBB142_1792
.LBB142_1788:
	s_mov_b64 s[14:15], -1
                                        ; implicit-def: $sgpr17
.LBB142_1789:
	s_andn2_b64 vcc, exec, s[14:15]
	v_mov_b32_e32 v0, s17
	s_cbranch_vccnz .LBB142_1791
; %bb.1790:
	v_mov_b32_e32 v0, 0x46800000
	v_add_f32_e64 v0, |s18|, v0
.LBB142_1791:
	s_mov_b64 s[14:15], 0
.LBB142_1792:
	s_andn2_b64 vcc, exec, s[14:15]
	s_cbranch_vccnz .LBB142_1794
; %bb.1793:
	s_cmp_gt_u32 s16, 0x7f800000
	s_movk_i32 s14, 0x7f
	s_cselect_b32 s14, s14, 0x7e
	v_mov_b32_e32 v0, s14
.LBB142_1794:
	s_lshr_b32 s14, s18, 24
	s_and_b32 s14, s14, 0x80
	v_or_b32_e32 v0, s14, v0
	global_store_byte v[4:5], v0, off
.LBB142_1795:
	s_mov_b64 s[14:15], 0
.LBB142_1796:
	s_andn2_b64 vcc, exec, s[14:15]
	s_cbranch_vccnz .LBB142_1818
; %bb.1797:
	v_mov_b32_e32 v0, 0x80
	v_cmp_lt_i16_sdwa s[14:15], s11, v0 src0_sel:BYTE_0 src1_sel:DWORD
	s_and_b64 vcc, exec, s[14:15]
	s_cbranch_vccnz .LBB142_1800
; %bb.1798:
	v_cmp_eq_u16_sdwa s[14:15], s11, v0 src0_sel:BYTE_0 src1_sel:DWORD
	s_and_b64 vcc, exec, s[14:15]
	s_cbranch_vccz .LBB142_1801
; %bb.1799:
	s_mov_b64 s[14:15], 0
	s_mov_b32 s18, 0x7f800001
	s_branch .LBB142_1802
.LBB142_1800:
	s_mov_b64 s[16:17], -1
	s_mov_b64 s[14:15], 0
                                        ; implicit-def: $sgpr18
	s_branch .LBB142_1803
.LBB142_1801:
	s_mov_b64 s[14:15], -1
                                        ; implicit-def: $sgpr18
.LBB142_1802:
	s_mov_b64 s[16:17], 0
.LBB142_1803:
	s_and_b64 vcc, exec, s[16:17]
	s_cbranch_vccz .LBB142_1808
; %bb.1804:
	v_mov_b32_e32 v0, 0
	s_mov_b32 s18, 0
	v_cmp_ne_u16_sdwa s[14:15], s11, v0 src0_sel:BYTE_0 src1_sel:DWORD
	s_andn2_b64 vcc, exec, s[14:15]
	s_cbranch_vccz .LBB142_1809
.LBB142_1805:
	s_and_b32 s16, s18, 0x7fffffff
	s_cmp_lt_u32 s16, 0x47800000
	s_cbranch_scc0 .LBB142_1810
.LBB142_1806:
	s_cmp_gt_u32 s16, 0x387fffff
	s_cbranch_scc0 .LBB142_1811
; %bb.1807:
	s_bfe_u32 s14, s18, 0x10015
	s_add_i32 s14, s18, s14
	s_add_i32 s14, s14, 0x80fffff
	s_lshr_b32 s17, s14, 21
	s_mov_b64 s[14:15], 0
	s_branch .LBB142_1812
.LBB142_1808:
	s_andn2_b64 vcc, exec, s[14:15]
	s_cbranch_vccnz .LBB142_1805
.LBB142_1809:
	s_and_b32 s15, s11, 7
	s_flbit_i32_b32 s17, s15
	s_min_u32 s17, s17, 32
	v_lshrrev_b16_e64 v0, 3, s11
	s_sub_i32 s18, s17, 28
	v_readfirstlane_b32 s16, v0
	s_lshl_b32 s18, s11, s18
	s_lshl_b32 s14, s11, 24
	s_and_b32 s16, s16, 15
	s_sub_i32 s17, 29, s17
	s_and_b32 s18, s18, 7
	s_cmp_eq_u32 s16, 0
	s_cselect_b32 s16, s17, s16
	s_cselect_b32 s15, s18, s15
	s_lshl_b32 s16, s16, 23
	s_and_b32 s14, s14, 0x80000000
	s_add_i32 s16, s16, 0x3b800000
	s_lshl_b32 s15, s15, 20
	s_or_b32 s14, s14, s16
	s_or_b32 s18, s14, s15
	s_and_b32 s16, s18, 0x7fffffff
	s_cmp_lt_u32 s16, 0x47800000
	s_cbranch_scc1 .LBB142_1806
.LBB142_1810:
	s_mov_b64 s[14:15], -1
                                        ; implicit-def: $vgpr0
	s_branch .LBB142_1815
.LBB142_1811:
	s_mov_b64 s[14:15], -1
                                        ; implicit-def: $sgpr17
.LBB142_1812:
	s_andn2_b64 vcc, exec, s[14:15]
	v_mov_b32_e32 v0, s17
	s_cbranch_vccnz .LBB142_1814
; %bb.1813:
	v_mov_b32_e32 v0, 0x43000000
	v_add_f32_e64 v0, |s18|, v0
.LBB142_1814:
	s_mov_b64 s[14:15], 0
.LBB142_1815:
	s_andn2_b64 vcc, exec, s[14:15]
	s_cbranch_vccnz .LBB142_1817
; %bb.1816:
	s_cmp_gt_u32 s16, 0x7f800000
	s_movk_i32 s14, 0x7f
	s_cselect_b32 s14, s14, 0x7c
	v_mov_b32_e32 v0, s14
.LBB142_1817:
	s_lshr_b32 s14, s18, 24
	s_and_b32 s14, s14, 0x80
	v_or_b32_e32 v0, s14, v0
	global_store_byte v[4:5], v0, off
.LBB142_1818:
	s_mov_b64 s[14:15], 0
	s_mov_b64 s[16:17], -1
.LBB142_1819:
	s_andn2_b64 vcc, exec, s[14:15]
	s_mov_b64 s[14:15], 0
	s_cbranch_vccnz .LBB142_1836
; %bb.1820:
	v_cmp_lt_i16_e32 vcc, 14, v12
	s_mov_b64 s[18:19], -1
	s_cbranch_vccz .LBB142_1834
; %bb.1821:
	v_cmp_eq_u16_e32 vcc, 15, v12
	s_mov_b64 s[12:13], -1
	s_cbranch_vccz .LBB142_1833
; %bb.1822:
	v_mov_b32_e32 v0, 0x80
	v_cmp_lt_i16_sdwa s[12:13], s11, v0 src0_sel:BYTE_0 src1_sel:DWORD
	s_and_b64 vcc, exec, s[12:13]
	s_cbranch_vccnz .LBB142_1825
; %bb.1823:
	v_cmp_eq_u16_sdwa s[12:13], s11, v0 src0_sel:BYTE_0 src1_sel:DWORD
	s_and_b64 vcc, exec, s[12:13]
	s_cbranch_vccz .LBB142_1826
; %bb.1824:
	s_mov_b64 s[12:13], 0
	s_mov_b32 s16, 0x7f800001
	s_branch .LBB142_1828
.LBB142_1825:
	s_mov_b64 s[14:15], -1
	s_mov_b64 s[12:13], 0
	s_branch .LBB142_1827
.LBB142_1826:
	s_mov_b64 s[12:13], -1
.LBB142_1827:
                                        ; implicit-def: $sgpr16
.LBB142_1828:
	s_and_b64 vcc, exec, s[14:15]
	s_cbranch_vccz .LBB142_1830
; %bb.1829:
	v_mov_b32_e32 v0, 0
	s_mov_b32 s16, 0
	v_cmp_ne_u16_sdwa s[12:13], s11, v0 src0_sel:BYTE_0 src1_sel:DWORD
.LBB142_1830:
	s_andn2_b64 vcc, exec, s[12:13]
	s_cbranch_vccnz .LBB142_1832
; %bb.1831:
	s_and_b32 s13, s11, 7
	s_flbit_i32_b32 s15, s13
	s_min_u32 s15, s15, 32
	v_lshrrev_b16_e64 v0, 3, s11
	s_sub_i32 s16, s15, 28
	v_readfirstlane_b32 s14, v0
	s_lshl_b32 s16, s11, s16
	s_lshl_b32 s12, s11, 24
	s_and_b32 s14, s14, 15
	s_sub_i32 s15, 29, s15
	s_and_b32 s16, s16, 7
	s_cmp_eq_u32 s14, 0
	s_cselect_b32 s14, s15, s14
	s_cselect_b32 s13, s16, s13
	s_lshl_b32 s14, s14, 23
	s_and_b32 s12, s12, 0x80000000
	s_add_i32 s14, s14, 0x3b800000
	s_lshl_b32 s13, s13, 20
	s_or_b32 s12, s12, s14
	s_or_b32 s16, s12, s13
.LBB142_1832:
	s_bfe_u32 s12, s16, 0x10010
	s_add_i32 s12, s16, s12
	s_addk_i32 s12, 0x7fff
	s_lshr_b32 s14, s12, 16
	v_cmp_o_f32_e64 s[12:13], s16, s16
	s_and_b64 s[12:13], s[12:13], exec
	s_cselect_b32 s12, s14, 0x7fc0
	v_mov_b32_e32 v0, s12
	global_store_short v[4:5], v0, off
	s_mov_b64 s[12:13], 0
	s_mov_b64 s[16:17], -1
.LBB142_1833:
	s_mov_b64 s[18:19], 0
.LBB142_1834:
	s_mov_b64 s[14:15], 0
	s_and_b64 vcc, exec, s[18:19]
	s_cbranch_vccz .LBB142_1836
; %bb.1835:
	v_cmp_ne_u16_e64 s[12:13], 11, v12
	s_mov_b64 s[14:15], -1
.LBB142_1836:
	s_and_b64 vcc, exec, s[12:13]
	s_cbranch_vccnz .LBB142_1849
; %bb.1837:
	s_andn2_b64 vcc, exec, s[14:15]
	s_cbranch_vccnz .LBB142_1850
.LBB142_1838:
	v_mov_b32_e32 v0, 0x80
	v_cmp_lt_i16_sdwa s[12:13], s11, v0 src0_sel:BYTE_0 src1_sel:DWORD
	s_and_b64 vcc, exec, s[12:13]
	s_cbranch_vccnz .LBB142_1841
; %bb.1839:
	v_cmp_eq_u16_sdwa s[12:13], s11, v0 src0_sel:BYTE_0 src1_sel:DWORD
	s_and_b64 vcc, exec, s[12:13]
	s_cbranch_vccz .LBB142_1842
; %bb.1840:
	s_mov_b64 s[14:15], 0
	s_mov_b64 s[12:13], -1
	s_branch .LBB142_1843
.LBB142_1841:
	s_mov_b64 s[16:17], -1
	s_mov_b64 s[14:15], 0
                                        ; implicit-def: $sgpr12_sgpr13
	s_branch .LBB142_1844
.LBB142_1842:
	s_mov_b64 s[14:15], -1
                                        ; implicit-def: $sgpr12_sgpr13
.LBB142_1843:
	s_mov_b64 s[16:17], 0
.LBB142_1844:
	s_and_b64 vcc, exec, s[16:17]
	s_cbranch_vccz .LBB142_1846
; %bb.1845:
	v_mov_b32_e32 v0, 0
	v_cmp_ne_u16_sdwa s[14:15], s11, v0 src0_sel:BYTE_0 src1_sel:DWORD
	s_mov_b64 s[12:13], 0
.LBB142_1846:
	s_andn2_b64 vcc, exec, s[14:15]
	s_cbranch_vccnz .LBB142_1848
; %bb.1847:
	s_and_b32 s12, s11, 7
	s_flbit_i32_b32 s14, s12
	s_min_u32 s14, s14, 32
	v_lshrrev_b16_e64 v0, 3, s11
	s_sub_i32 s15, s14, 28
	v_readfirstlane_b32 s13, v0
	s_lshl_b32 s15, s11, s15
	s_and_b32 s13, s13, 15
	s_sub_i32 s14, 29, s14
	s_and_b32 s15, s15, 7
	s_cmp_eq_u32 s13, 0
	s_cselect_b32 s13, s14, s13
	s_cselect_b32 s12, s15, s12
	s_lshl_b32 s13, s13, 23
	s_add_i32 s13, s13, 0x3b800000
	s_lshl_b32 s12, s12, 20
	s_and_b32 s13, s13, 0x7f800000
	s_or_b32 s12, s13, s12
	s_cmp_lg_u32 s12, 0
	s_cselect_b64 s[12:13], -1, 0
.LBB142_1848:
	v_cndmask_b32_e64 v0, 0, 1, s[12:13]
	global_store_byte v[4:5], v0, off
	s_mov_b64 s[16:17], -1
	s_branch .LBB142_1851
.LBB142_1849:
	s_trap 2
	s_or_b64 s[6:7], s[6:7], exec
	s_cbranch_execz .LBB142_1838
.LBB142_1850:
.LBB142_1851:
	s_andn2_b64 vcc, exec, s[16:17]
	s_cbranch_vccnz .LBB142_2168
.LBB142_1852:
	v_add_u32_e32 v6, s10, v6
	v_ashrrev_i32_e32 v0, 31, v6
	v_mov_b32_e32 v1, s9
	v_add_co_u32_e32 v4, vcc, s8, v6
	v_addc_co_u32_e32 v5, vcc, v1, v0, vcc
	s_and_b64 vcc, exec, s[0:1]
	s_cbranch_vccnz .LBB142_1861
; %bb.1853:
	v_cmp_lt_i16_e32 vcc, 25, v12
	s_mov_b64 s[18:19], -1
	s_mov_b64 s[14:15], 0
	s_mov_b64 s[16:17], 0
	;; [unrolled: 1-line block ×3, first 2 shown]
	s_cbranch_vccz .LBB142_1934
; %bb.1854:
	v_cmp_lt_i16_e32 vcc, 28, v12
	s_cbranch_vccz .LBB142_1909
; %bb.1855:
	v_cmp_lt_i16_e32 vcc, 43, v12
	;; [unrolled: 3-line block ×3, first 2 shown]
	s_cbranch_vccz .LBB142_1881
; %bb.1857:
	v_cmp_eq_u16_e32 vcc, 46, v12
	s_mov_b64 s[12:13], -1
	s_mov_b64 s[18:19], 0
	s_cbranch_vccz .LBB142_1881
; %bb.1858:
	v_mov_b32_e32 v0, 0x80
	v_cmp_lt_i16_sdwa s[12:13], s11, v0 src0_sel:BYTE_0 src1_sel:DWORD
	s_and_b64 vcc, exec, s[12:13]
	s_cbranch_vccnz .LBB142_1873
; %bb.1859:
	v_cmp_eq_u16_sdwa s[12:13], s11, v0 src0_sel:BYTE_0 src1_sel:DWORD
	s_and_b64 vcc, exec, s[12:13]
	s_cbranch_vccz .LBB142_1874
; %bb.1860:
	s_mov_b64 s[12:13], 0
	s_mov_b32 s20, 0x7f800001
	s_branch .LBB142_1876
.LBB142_1861:
	s_mov_b64 s[16:17], 0
	s_cbranch_execnz .LBB142_2034
.LBB142_1862:
	s_andn2_b64 vcc, exec, s[16:17]
	s_cbranch_vccnz .LBB142_2168
.LBB142_1863:
	v_add_u32_e32 v0, s10, v6
	v_ashrrev_i32_e32 v1, 31, v0
	v_mov_b32_e32 v2, s9
	v_add_co_u32_e32 v4, vcc, s8, v0
	v_addc_co_u32_e32 v5, vcc, v2, v1, vcc
	s_and_b64 vcc, exec, s[0:1]
	s_cbranch_vccnz .LBB142_1872
; %bb.1864:
	v_cmp_lt_i16_e32 vcc, 25, v12
	s_mov_b64 s[12:13], -1
	s_mov_b64 s[8:9], 0
	s_mov_b64 s[0:1], 0
	s_cbranch_vccz .LBB142_2374
; %bb.1865:
	v_cmp_lt_i16_e32 vcc, 28, v12
	s_cbranch_vccz .LBB142_2350
; %bb.1866:
	v_cmp_lt_i16_e32 vcc, 43, v12
	;; [unrolled: 3-line block ×3, first 2 shown]
	s_cbranch_vccz .LBB142_2323
; %bb.1868:
	v_cmp_eq_u16_e32 vcc, 46, v12
	s_mov_b64 s[0:1], -1
	s_cbranch_vccz .LBB142_2322
; %bb.1869:
	v_mov_b32_e32 v0, 0x80
	v_cmp_lt_i16_sdwa s[0:1], s11, v0 src0_sel:BYTE_0 src1_sel:DWORD
	s_and_b64 vcc, exec, s[0:1]
	s_cbranch_vccnz .LBB142_1887
; %bb.1870:
	v_cmp_eq_u16_sdwa s[0:1], s11, v0 src0_sel:BYTE_0 src1_sel:DWORD
	s_and_b64 vcc, exec, s[0:1]
	s_cbranch_vccz .LBB142_2315
; %bb.1871:
	s_mov_b64 s[0:1], 0
	s_mov_b32 s10, 0x7f800001
	s_branch .LBB142_2316
.LBB142_1872:
	s_mov_b64 s[8:9], 0
	s_mov_b64 s[0:1], -1
	s_branch .LBB142_2169
.LBB142_1873:
	s_mov_b64 s[16:17], -1
	s_mov_b64 s[12:13], 0
	s_branch .LBB142_1875
.LBB142_1874:
	s_mov_b64 s[12:13], -1
.LBB142_1875:
                                        ; implicit-def: $sgpr20
.LBB142_1876:
	s_and_b64 vcc, exec, s[16:17]
	s_cbranch_vccz .LBB142_1878
; %bb.1877:
	v_mov_b32_e32 v0, 0
	s_mov_b32 s20, 0
	v_cmp_ne_u16_sdwa s[12:13], s11, v0 src0_sel:BYTE_0 src1_sel:DWORD
.LBB142_1878:
	s_andn2_b64 vcc, exec, s[12:13]
	s_cbranch_vccnz .LBB142_1880
; %bb.1879:
	s_and_b32 s13, s11, 7
	s_flbit_i32_b32 s17, s13
	s_min_u32 s17, s17, 32
	v_lshrrev_b16_e64 v0, 3, s11
	s_sub_i32 s20, s17, 28
	v_readfirstlane_b32 s16, v0
	s_lshl_b32 s20, s11, s20
	s_lshl_b32 s12, s11, 24
	s_and_b32 s16, s16, 15
	s_sub_i32 s17, 29, s17
	s_and_b32 s20, s20, 7
	s_cmp_eq_u32 s16, 0
	s_cselect_b32 s16, s17, s16
	s_cselect_b32 s13, s20, s13
	s_lshl_b32 s16, s16, 23
	s_and_b32 s12, s12, 0x80000000
	s_add_i32 s16, s16, 0x3b800000
	s_lshl_b32 s13, s13, 20
	s_or_b32 s12, s12, s16
	s_or_b32 s20, s12, s13
.LBB142_1880:
	s_bfe_u32 s12, s20, 0x10010
	s_add_i32 s12, s20, s12
	s_addk_i32 s12, 0x7fff
	s_lshr_b32 s16, s12, 16
	v_cmp_o_f32_e64 s[12:13], s20, s20
	s_and_b64 s[12:13], s[12:13], exec
	s_cselect_b32 s12, s16, 0x7fc0
	v_mov_b32_e32 v0, s12
	s_mov_b64 s[12:13], 0
	s_mov_b64 s[16:17], -1
	global_store_dword v[4:5], v0, off
.LBB142_1881:
	s_and_b64 vcc, exec, s[18:19]
	s_cbranch_vccz .LBB142_1895
; %bb.1882:
	v_cmp_eq_u16_e32 vcc, 44, v12
	s_mov_b64 s[12:13], -1
	s_cbranch_vccz .LBB142_1895
; %bb.1883:
	v_mov_b32_e32 v0, 0xff
	v_and_b32_e32 v0, s11, v0
	s_movk_i32 s12, 0x80
	v_cmp_gt_i16_e32 vcc, s12, v0
	v_readfirstlane_b32 s19, v0
	s_cbranch_vccnz .LBB142_1886
; %bb.1884:
	v_mov_b32_e32 v0, 0x80
	v_cmp_eq_u16_e32 vcc, s19, v0
	s_cbranch_vccz .LBB142_1888
; %bb.1885:
	s_mov_b64 s[12:13], 0
	s_mov_b32 s18, 0x7f800001
	s_branch .LBB142_1889
.LBB142_1886:
	s_mov_b64 s[16:17], -1
	s_mov_b64 s[12:13], 0
                                        ; implicit-def: $sgpr18
	s_branch .LBB142_1890
.LBB142_1887:
	s_mov_b64 s[0:1], 0
                                        ; implicit-def: $sgpr10
	s_branch .LBB142_2317
.LBB142_1888:
	s_mov_b64 s[12:13], -1
                                        ; implicit-def: $sgpr18
.LBB142_1889:
	s_mov_b64 s[16:17], 0
.LBB142_1890:
	s_and_b64 vcc, exec, s[16:17]
	s_cbranch_vccz .LBB142_1900
; %bb.1891:
	s_and_b32 s18, 0xffff, s19
	v_cmp_ne_u16_e64 s[12:13], s19, 0
	s_andn2_b64 vcc, exec, s[12:13]
	s_cbranch_vccz .LBB142_1901
.LBB142_1892:
	s_bfe_u32 s12, s18, 0x80017
	s_cmpk_eq_i32 s12, 0xff
	v_mov_b32_e32 v0, 0xff
	s_cbranch_scc1 .LBB142_1894
.LBB142_1893:
	s_lshr_b32 s19, s18, 23
	s_bitcmp1_b32 s18, 22
	s_cselect_b64 s[16:17], -1, 0
	s_and_b32 s13, s18, 0x3fffff
	s_or_b32 s12, s12, s13
	s_cmp_lg_u32 s12, 0
	s_cselect_b64 s[12:13], -1, 0
	s_and_b64 s[12:13], s[16:17], s[12:13]
	v_cndmask_b32_e64 v0, 0, 1, s[12:13]
	v_add_u32_e32 v0, s19, v0
.LBB142_1894:
	s_mov_b64 s[12:13], 0
	s_mov_b64 s[16:17], -1
	global_store_byte v[4:5], v0, off
.LBB142_1895:
	s_mov_b64 s[18:19], 0
.LBB142_1896:
	s_and_b64 vcc, exec, s[18:19]
	s_cbranch_vccz .LBB142_1908
; %bb.1897:
	v_cmp_eq_u16_e32 vcc, 29, v12
	s_mov_b64 s[12:13], -1
	s_cbranch_vccz .LBB142_1908
; %bb.1898:
	v_mov_b32_e32 v0, 0x80
	v_cmp_lt_i16_sdwa s[12:13], s11, v0 src0_sel:BYTE_0 src1_sel:DWORD
	s_and_b64 vcc, exec, s[12:13]
	s_cbranch_vccnz .LBB142_1902
; %bb.1899:
	v_cmp_ne_u16_sdwa s[12:13], s11, v0 src0_sel:BYTE_0 src1_sel:DWORD
	s_mov_b64 s[18:19], 0
	s_mov_b64 s[16:17], 0
	s_branch .LBB142_1903
.LBB142_1900:
	s_andn2_b64 vcc, exec, s[12:13]
	s_cbranch_vccnz .LBB142_1892
.LBB142_1901:
	s_and_b32 s12, s11, 7
	s_flbit_i32_b32 s16, s12
	s_min_u32 s16, s16, 32
	v_lshrrev_b16_e64 v0, 3, s11
	s_sub_i32 s17, s16, 28
	v_readfirstlane_b32 s13, v0
	s_lshl_b32 s17, s11, s17
	s_and_b32 s13, s13, 15
	s_sub_i32 s16, 29, s16
	s_and_b32 s17, s17, 7
	s_cmp_eq_u32 s13, 0
	s_cselect_b32 s13, s16, s13
	s_cselect_b32 s12, s17, s12
	s_lshl_b32 s12, s12, 20
	s_lshl_b32 s13, s13, 23
	s_or_b32 s12, s13, s12
	s_add_i32 s18, s12, 0x3b800000
	s_bfe_u32 s12, s18, 0x80017
	s_cmpk_eq_i32 s12, 0xff
	v_mov_b32_e32 v0, 0xff
	s_cbranch_scc0 .LBB142_1893
	s_branch .LBB142_1894
.LBB142_1902:
	s_mov_b64 s[18:19], -1
	s_mov_b64 s[12:13], 0
                                        ; implicit-def: $sgpr16_sgpr17
.LBB142_1903:
	s_andn2_b64 vcc, exec, s[18:19]
	s_cbranch_vccnz .LBB142_1905
; %bb.1904:
	v_mov_b32_e32 v0, 0
	v_cmp_ne_u16_sdwa s[12:13], s11, v0 src0_sel:BYTE_0 src1_sel:DWORD
	s_mov_b64 s[16:17], 0
.LBB142_1905:
	s_andn2_b64 vcc, exec, s[12:13]
	v_pk_mov_b32 v[0:1], s[16:17], s[16:17] op_sel:[0,1]
	s_cbranch_vccnz .LBB142_1907
; %bb.1906:
	s_and_b32 s13, s11, 7
	s_flbit_i32_b32 s17, s13
	s_min_u32 s17, s17, 32
	v_lshrrev_b16_e64 v0, 3, s11
	s_sub_i32 s18, s17, 28
	v_readfirstlane_b32 s16, v0
	s_lshl_b32 s18, s11, s18
	s_lshl_b32 s12, s11, 24
	s_and_b32 s16, s16, 15
	s_sub_i32 s17, 29, s17
	s_and_b32 s18, s18, 7
	s_cmp_eq_u32 s16, 0
	s_cselect_b32 s16, s17, s16
	s_cselect_b32 s13, s18, s13
	s_lshl_b32 s16, s16, 23
	s_and_b32 s12, s12, 0x80000000
	s_add_i32 s16, s16, 0x3b800000
	s_lshl_b32 s13, s13, 20
	s_or_b32 s12, s12, s16
	s_or_b32 s12, s12, s13
	v_trunc_f32_e32 v0, s12
	v_mul_f32_e32 v1, 0x2f800000, v0
	v_floor_f32_e32 v1, v1
	v_fmac_f32_e32 v0, 0xcf800000, v1
	v_cvt_u32_f32_e32 v0, v0
	v_cvt_u32_f32_e32 v1, v1
.LBB142_1907:
	global_store_dwordx2 v[4:5], v[0:1], off
	s_mov_b64 s[12:13], 0
	s_mov_b64 s[16:17], -1
.LBB142_1908:
	s_mov_b64 s[18:19], 0
.LBB142_1909:
	s_and_b64 vcc, exec, s[18:19]
	s_cbranch_vccz .LBB142_1933
; %bb.1910:
	v_cmp_gt_i16_e32 vcc, 27, v12
	s_mov_b64 s[16:17], -1
	s_cbranch_vccnz .LBB142_1930
; %bb.1911:
	v_cmp_lt_i16_e32 vcc, 27, v12
	s_cbranch_vccz .LBB142_1920
; %bb.1912:
	v_mov_b32_e32 v0, 0x80
	v_cmp_lt_i16_sdwa s[16:17], s11, v0 src0_sel:BYTE_0 src1_sel:DWORD
	s_and_b64 vcc, exec, s[16:17]
	s_cbranch_vccnz .LBB142_1914
; %bb.1913:
	v_cmp_ne_u16_sdwa s[16:17], s11, v0 src0_sel:BYTE_0 src1_sel:DWORD
	s_mov_b64 s[18:19], 0
	s_mov_b32 s20, 0
	s_branch .LBB142_1915
.LBB142_1914:
	s_mov_b64 s[18:19], -1
	s_mov_b64 s[16:17], 0
                                        ; implicit-def: $sgpr20
.LBB142_1915:
	s_andn2_b64 vcc, exec, s[18:19]
	s_cbranch_vccnz .LBB142_1917
; %bb.1916:
	v_mov_b32_e32 v0, 0
	s_mov_b32 s20, 0
	v_cmp_ne_u16_sdwa s[16:17], s11, v0 src0_sel:BYTE_0 src1_sel:DWORD
.LBB142_1917:
	s_andn2_b64 vcc, exec, s[16:17]
	v_mov_b32_e32 v0, s20
	s_cbranch_vccnz .LBB142_1919
; %bb.1918:
	s_and_b32 s17, s11, 7
	s_flbit_i32_b32 s19, s17
	s_min_u32 s19, s19, 32
	v_lshrrev_b16_e64 v0, 3, s11
	s_sub_i32 s20, s19, 28
	v_readfirstlane_b32 s18, v0
	s_lshl_b32 s20, s11, s20
	s_lshl_b32 s16, s11, 24
	s_and_b32 s18, s18, 15
	s_sub_i32 s19, 29, s19
	s_and_b32 s20, s20, 7
	s_cmp_eq_u32 s18, 0
	s_cselect_b32 s18, s19, s18
	s_cselect_b32 s17, s20, s17
	s_lshl_b32 s18, s18, 23
	s_and_b32 s16, s16, 0x80000000
	s_add_i32 s18, s18, 0x3b800000
	s_lshl_b32 s17, s17, 20
	s_or_b32 s16, s16, s18
	s_or_b32 s16, s16, s17
	v_cvt_u32_f32_e32 v0, s16
.LBB142_1919:
	global_store_dword v[4:5], v0, off
	s_mov_b64 s[16:17], 0
.LBB142_1920:
	s_and_b64 vcc, exec, s[16:17]
	s_cbranch_vccz .LBB142_1929
; %bb.1921:
	v_mov_b32_e32 v0, 0x80
	v_cmp_lt_i16_sdwa s[16:17], s11, v0 src0_sel:BYTE_0 src1_sel:DWORD
	s_and_b64 vcc, exec, s[16:17]
	s_cbranch_vccnz .LBB142_1923
; %bb.1922:
	v_cmp_ne_u16_sdwa s[16:17], s11, v0 src0_sel:BYTE_0 src1_sel:DWORD
	s_mov_b64 s[18:19], 0
	s_mov_b32 s20, 0
	s_branch .LBB142_1924
.LBB142_1923:
	s_mov_b64 s[18:19], -1
	s_mov_b64 s[16:17], 0
                                        ; implicit-def: $sgpr20
.LBB142_1924:
	s_andn2_b64 vcc, exec, s[18:19]
	s_cbranch_vccnz .LBB142_1926
; %bb.1925:
	v_mov_b32_e32 v0, 0
	s_mov_b32 s20, 0
	v_cmp_ne_u16_sdwa s[16:17], s11, v0 src0_sel:BYTE_0 src1_sel:DWORD
.LBB142_1926:
	s_andn2_b64 vcc, exec, s[16:17]
	v_mov_b32_e32 v0, s20
	s_cbranch_vccnz .LBB142_1928
; %bb.1927:
	s_and_b32 s17, s11, 7
	s_flbit_i32_b32 s19, s17
	s_min_u32 s19, s19, 32
	v_lshrrev_b16_e64 v0, 3, s11
	s_sub_i32 s20, s19, 28
	v_readfirstlane_b32 s18, v0
	s_lshl_b32 s20, s11, s20
	s_lshl_b32 s16, s11, 24
	s_and_b32 s18, s18, 15
	s_sub_i32 s19, 29, s19
	s_and_b32 s20, s20, 7
	s_cmp_eq_u32 s18, 0
	s_cselect_b32 s18, s19, s18
	s_cselect_b32 s17, s20, s17
	s_lshl_b32 s18, s18, 23
	s_and_b32 s16, s16, 0x80000000
	s_add_i32 s18, s18, 0x3b800000
	s_lshl_b32 s17, s17, 20
	s_or_b32 s16, s16, s18
	s_or_b32 s16, s16, s17
	v_cvt_u32_f32_e32 v0, s16
.LBB142_1928:
	global_store_short v[4:5], v0, off
.LBB142_1929:
	s_mov_b64 s[16:17], 0
.LBB142_1930:
	s_andn2_b64 vcc, exec, s[16:17]
	s_cbranch_vccnz .LBB142_1932
; %bb.1931:
	v_mov_b32_e32 v0, s11
	global_store_byte v[4:5], v0, off
.LBB142_1932:
	s_mov_b64 s[16:17], -1
.LBB142_1933:
	s_mov_b64 s[18:19], 0
.LBB142_1934:
	s_and_b64 vcc, exec, s[18:19]
	s_cbranch_vccz .LBB142_2020
; %bb.1935:
	v_cmp_lt_i16_e32 vcc, 22, v12
	s_mov_b64 s[14:15], -1
	s_cbranch_vccz .LBB142_2003
; %bb.1936:
	v_cmp_gt_i16_e32 vcc, 24, v12
	s_cbranch_vccnz .LBB142_1980
; %bb.1937:
	v_cmp_lt_i16_e32 vcc, 24, v12
	s_cbranch_vccz .LBB142_1957
; %bb.1938:
	v_mov_b32_e32 v0, 0x80
	v_cmp_lt_i16_sdwa s[14:15], s11, v0 src0_sel:BYTE_0 src1_sel:DWORD
	s_and_b64 vcc, exec, s[14:15]
	s_cbranch_vccnz .LBB142_1941
; %bb.1939:
	v_cmp_eq_u16_sdwa s[14:15], s11, v0 src0_sel:BYTE_0 src1_sel:DWORD
	s_and_b64 vcc, exec, s[14:15]
	s_cbranch_vccz .LBB142_1942
; %bb.1940:
	s_mov_b64 s[14:15], 0
	s_mov_b32 s18, 0x7f800001
	s_branch .LBB142_1943
.LBB142_1941:
	s_mov_b64 s[16:17], -1
	s_mov_b64 s[14:15], 0
                                        ; implicit-def: $sgpr18
	s_branch .LBB142_1944
.LBB142_1942:
	s_mov_b64 s[14:15], -1
                                        ; implicit-def: $sgpr18
.LBB142_1943:
	s_mov_b64 s[16:17], 0
.LBB142_1944:
	s_and_b64 vcc, exec, s[16:17]
	s_cbranch_vccz .LBB142_1947
; %bb.1945:
	v_mov_b32_e32 v0, 0
	s_mov_b32 s18, 0
	v_cmp_ne_u16_sdwa s[14:15], s11, v0 src0_sel:BYTE_0 src1_sel:DWORD
	s_andn2_b64 vcc, exec, s[14:15]
	s_cbranch_vccz .LBB142_1948
.LBB142_1946:
	s_and_b32 s14, s18, 0x7fffffff
	s_cmp_gt_u32 s14, 0x477fffff
	v_mov_b32_e32 v1, 0x80
	s_cbranch_scc0 .LBB142_1949
	s_branch .LBB142_1956
.LBB142_1947:
	s_andn2_b64 vcc, exec, s[14:15]
	s_cbranch_vccnz .LBB142_1946
.LBB142_1948:
	s_and_b32 s15, s11, 7
	s_flbit_i32_b32 s17, s15
	s_min_u32 s17, s17, 32
	v_lshrrev_b16_e64 v0, 3, s11
	s_sub_i32 s18, s17, 28
	v_readfirstlane_b32 s16, v0
	s_lshl_b32 s18, s11, s18
	s_lshl_b32 s14, s11, 24
	s_and_b32 s16, s16, 15
	s_sub_i32 s17, 29, s17
	s_and_b32 s18, s18, 7
	s_cmp_eq_u32 s16, 0
	s_cselect_b32 s16, s17, s16
	s_cselect_b32 s15, s18, s15
	s_lshl_b32 s16, s16, 23
	s_and_b32 s14, s14, 0x80000000
	s_add_i32 s16, s16, 0x3b800000
	s_lshl_b32 s15, s15, 20
	s_or_b32 s14, s14, s16
	s_or_b32 s18, s14, s15
	s_and_b32 s14, s18, 0x7fffffff
	s_cmp_gt_u32 s14, 0x477fffff
	v_mov_b32_e32 v1, 0x80
	s_cbranch_scc1 .LBB142_1956
.LBB142_1949:
	s_cmp_gt_u32 s14, 0x37ffffff
	s_cbranch_scc0 .LBB142_1951
; %bb.1950:
	s_bfe_u32 s14, s18, 0x10015
	s_add_i32 s14, s18, s14
	s_add_i32 s14, s14, 0x88fffff
	s_lshr_b32 s19, s14, 21
	s_mov_b64 s[16:17], 0
	s_mov_b64 s[14:15], -1
	s_branch .LBB142_1952
.LBB142_1951:
	s_mov_b64 s[16:17], -1
	s_mov_b64 s[14:15], 0
                                        ; implicit-def: $sgpr19
.LBB142_1952:
	s_andn2_b64 vcc, exec, s[16:17]
	v_mov_b32_e32 v0, s19
                                        ; implicit-def: $sgpr16
	s_cbranch_vccnz .LBB142_1954
; %bb.1953:
	v_mov_b32_e32 v0, 0x42800000
	v_add_f32_e64 v0, |s18|, v0
	v_and_b32_e32 v0, 0xff, v0
	s_mov_b32 s16, 0
	v_cmp_ne_u32_e64 s[14:15], 0, v0
.LBB142_1954:
	s_andn2_b64 vcc, exec, s[14:15]
	v_mov_b32_e32 v1, s16
	s_cbranch_vccnz .LBB142_1956
; %bb.1955:
	s_lshr_b32 s14, s18, 24
	s_and_b32 s14, s14, 0x80
	v_or_b32_e32 v1, s14, v0
.LBB142_1956:
	global_store_byte v[4:5], v1, off
	s_mov_b64 s[14:15], 0
.LBB142_1957:
	s_and_b64 vcc, exec, s[14:15]
	s_cbranch_vccz .LBB142_1979
; %bb.1958:
	v_mov_b32_e32 v0, 0x80
	v_cmp_lt_i16_sdwa s[14:15], s11, v0 src0_sel:BYTE_0 src1_sel:DWORD
	s_and_b64 vcc, exec, s[14:15]
	s_cbranch_vccnz .LBB142_1961
; %bb.1959:
	v_cmp_eq_u16_sdwa s[14:15], s11, v0 src0_sel:BYTE_0 src1_sel:DWORD
	s_and_b64 vcc, exec, s[14:15]
	s_cbranch_vccz .LBB142_1962
; %bb.1960:
	s_mov_b64 s[14:15], 0
	s_mov_b32 s18, 0x7f800001
	s_branch .LBB142_1963
.LBB142_1961:
	s_mov_b64 s[16:17], -1
	s_mov_b64 s[14:15], 0
                                        ; implicit-def: $sgpr18
	s_branch .LBB142_1964
.LBB142_1962:
	s_mov_b64 s[14:15], -1
                                        ; implicit-def: $sgpr18
.LBB142_1963:
	s_mov_b64 s[16:17], 0
.LBB142_1964:
	s_and_b64 vcc, exec, s[16:17]
	s_cbranch_vccz .LBB142_1969
; %bb.1965:
	v_mov_b32_e32 v0, 0
	s_mov_b32 s18, 0
	v_cmp_ne_u16_sdwa s[14:15], s11, v0 src0_sel:BYTE_0 src1_sel:DWORD
	s_andn2_b64 vcc, exec, s[14:15]
	s_cbranch_vccz .LBB142_1970
.LBB142_1966:
	s_and_b32 s16, s18, 0x7fffffff
	s_cmp_lt_u32 s16, 0x43f00000
	s_cbranch_scc0 .LBB142_1971
.LBB142_1967:
	s_cmp_gt_u32 s16, 0x3c7fffff
	s_cbranch_scc0 .LBB142_1972
; %bb.1968:
	s_bfe_u32 s14, s18, 0x10014
	s_add_i32 s14, s18, s14
	s_add_i32 s14, s14, 0x407ffff
	s_lshr_b32 s15, s14, 20
	s_and_b32 s14, s14, 0xff00000
	s_cmp_lg_u32 s14, 0x7f00000
	s_cselect_b32 s17, s15, 0x7e
	s_mov_b64 s[14:15], 0
	s_branch .LBB142_1973
.LBB142_1969:
	s_andn2_b64 vcc, exec, s[14:15]
	s_cbranch_vccnz .LBB142_1966
.LBB142_1970:
	s_and_b32 s15, s11, 7
	s_flbit_i32_b32 s17, s15
	s_min_u32 s17, s17, 32
	v_lshrrev_b16_e64 v0, 3, s11
	s_sub_i32 s18, s17, 28
	v_readfirstlane_b32 s16, v0
	s_lshl_b32 s18, s11, s18
	s_lshl_b32 s14, s11, 24
	s_and_b32 s16, s16, 15
	s_sub_i32 s17, 29, s17
	s_and_b32 s18, s18, 7
	s_cmp_eq_u32 s16, 0
	s_cselect_b32 s16, s17, s16
	s_cselect_b32 s15, s18, s15
	s_lshl_b32 s16, s16, 23
	s_and_b32 s14, s14, 0x80000000
	s_add_i32 s16, s16, 0x3b800000
	s_lshl_b32 s15, s15, 20
	s_or_b32 s14, s14, s16
	s_or_b32 s18, s14, s15
	s_and_b32 s16, s18, 0x7fffffff
	s_cmp_lt_u32 s16, 0x43f00000
	s_cbranch_scc1 .LBB142_1967
.LBB142_1971:
	s_mov_b64 s[14:15], -1
                                        ; implicit-def: $vgpr0
	s_branch .LBB142_1976
.LBB142_1972:
	s_mov_b64 s[14:15], -1
                                        ; implicit-def: $sgpr17
.LBB142_1973:
	s_andn2_b64 vcc, exec, s[14:15]
	v_mov_b32_e32 v0, s17
	s_cbranch_vccnz .LBB142_1975
; %bb.1974:
	v_mov_b32_e32 v0, 0x46800000
	v_add_f32_e64 v0, |s18|, v0
.LBB142_1975:
	s_mov_b64 s[14:15], 0
.LBB142_1976:
	s_andn2_b64 vcc, exec, s[14:15]
	s_cbranch_vccnz .LBB142_1978
; %bb.1977:
	s_cmp_gt_u32 s16, 0x7f800000
	s_movk_i32 s14, 0x7f
	s_cselect_b32 s14, s14, 0x7e
	v_mov_b32_e32 v0, s14
.LBB142_1978:
	s_lshr_b32 s14, s18, 24
	s_and_b32 s14, s14, 0x80
	v_or_b32_e32 v0, s14, v0
	global_store_byte v[4:5], v0, off
.LBB142_1979:
	s_mov_b64 s[14:15], 0
.LBB142_1980:
	s_andn2_b64 vcc, exec, s[14:15]
	s_cbranch_vccnz .LBB142_2002
; %bb.1981:
	v_mov_b32_e32 v0, 0x80
	v_cmp_lt_i16_sdwa s[14:15], s11, v0 src0_sel:BYTE_0 src1_sel:DWORD
	s_and_b64 vcc, exec, s[14:15]
	s_cbranch_vccnz .LBB142_1984
; %bb.1982:
	v_cmp_eq_u16_sdwa s[14:15], s11, v0 src0_sel:BYTE_0 src1_sel:DWORD
	s_and_b64 vcc, exec, s[14:15]
	s_cbranch_vccz .LBB142_1985
; %bb.1983:
	s_mov_b64 s[14:15], 0
	s_mov_b32 s18, 0x7f800001
	s_branch .LBB142_1986
.LBB142_1984:
	s_mov_b64 s[16:17], -1
	s_mov_b64 s[14:15], 0
                                        ; implicit-def: $sgpr18
	s_branch .LBB142_1987
.LBB142_1985:
	s_mov_b64 s[14:15], -1
                                        ; implicit-def: $sgpr18
.LBB142_1986:
	s_mov_b64 s[16:17], 0
.LBB142_1987:
	s_and_b64 vcc, exec, s[16:17]
	s_cbranch_vccz .LBB142_1992
; %bb.1988:
	v_mov_b32_e32 v0, 0
	s_mov_b32 s18, 0
	v_cmp_ne_u16_sdwa s[14:15], s11, v0 src0_sel:BYTE_0 src1_sel:DWORD
	s_andn2_b64 vcc, exec, s[14:15]
	s_cbranch_vccz .LBB142_1993
.LBB142_1989:
	s_and_b32 s16, s18, 0x7fffffff
	s_cmp_lt_u32 s16, 0x47800000
	s_cbranch_scc0 .LBB142_1994
.LBB142_1990:
	s_cmp_gt_u32 s16, 0x387fffff
	s_cbranch_scc0 .LBB142_1995
; %bb.1991:
	s_bfe_u32 s14, s18, 0x10015
	s_add_i32 s14, s18, s14
	s_add_i32 s14, s14, 0x80fffff
	s_lshr_b32 s17, s14, 21
	s_mov_b64 s[14:15], 0
	s_branch .LBB142_1996
.LBB142_1992:
	s_andn2_b64 vcc, exec, s[14:15]
	s_cbranch_vccnz .LBB142_1989
.LBB142_1993:
	s_and_b32 s15, s11, 7
	s_flbit_i32_b32 s17, s15
	s_min_u32 s17, s17, 32
	v_lshrrev_b16_e64 v0, 3, s11
	s_sub_i32 s18, s17, 28
	v_readfirstlane_b32 s16, v0
	s_lshl_b32 s18, s11, s18
	s_lshl_b32 s14, s11, 24
	s_and_b32 s16, s16, 15
	s_sub_i32 s17, 29, s17
	s_and_b32 s18, s18, 7
	s_cmp_eq_u32 s16, 0
	s_cselect_b32 s16, s17, s16
	s_cselect_b32 s15, s18, s15
	s_lshl_b32 s16, s16, 23
	s_and_b32 s14, s14, 0x80000000
	s_add_i32 s16, s16, 0x3b800000
	s_lshl_b32 s15, s15, 20
	s_or_b32 s14, s14, s16
	s_or_b32 s18, s14, s15
	s_and_b32 s16, s18, 0x7fffffff
	s_cmp_lt_u32 s16, 0x47800000
	s_cbranch_scc1 .LBB142_1990
.LBB142_1994:
	s_mov_b64 s[14:15], -1
                                        ; implicit-def: $vgpr0
	s_branch .LBB142_1999
.LBB142_1995:
	s_mov_b64 s[14:15], -1
                                        ; implicit-def: $sgpr17
.LBB142_1996:
	s_andn2_b64 vcc, exec, s[14:15]
	v_mov_b32_e32 v0, s17
	s_cbranch_vccnz .LBB142_1998
; %bb.1997:
	v_mov_b32_e32 v0, 0x43000000
	v_add_f32_e64 v0, |s18|, v0
.LBB142_1998:
	s_mov_b64 s[14:15], 0
.LBB142_1999:
	s_andn2_b64 vcc, exec, s[14:15]
	s_cbranch_vccnz .LBB142_2001
; %bb.2000:
	s_cmp_gt_u32 s16, 0x7f800000
	s_movk_i32 s14, 0x7f
	s_cselect_b32 s14, s14, 0x7c
	v_mov_b32_e32 v0, s14
.LBB142_2001:
	s_lshr_b32 s14, s18, 24
	s_and_b32 s14, s14, 0x80
	v_or_b32_e32 v0, s14, v0
	global_store_byte v[4:5], v0, off
.LBB142_2002:
	s_mov_b64 s[14:15], 0
	s_mov_b64 s[16:17], -1
.LBB142_2003:
	s_andn2_b64 vcc, exec, s[14:15]
	s_mov_b64 s[14:15], 0
	s_cbranch_vccnz .LBB142_2020
; %bb.2004:
	v_cmp_lt_i16_e32 vcc, 14, v12
	s_mov_b64 s[18:19], -1
	s_cbranch_vccz .LBB142_2018
; %bb.2005:
	v_cmp_eq_u16_e32 vcc, 15, v12
	s_mov_b64 s[12:13], -1
	s_cbranch_vccz .LBB142_2017
; %bb.2006:
	v_mov_b32_e32 v0, 0x80
	v_cmp_lt_i16_sdwa s[12:13], s11, v0 src0_sel:BYTE_0 src1_sel:DWORD
	s_and_b64 vcc, exec, s[12:13]
	s_cbranch_vccnz .LBB142_2009
; %bb.2007:
	v_cmp_eq_u16_sdwa s[12:13], s11, v0 src0_sel:BYTE_0 src1_sel:DWORD
	s_and_b64 vcc, exec, s[12:13]
	s_cbranch_vccz .LBB142_2010
; %bb.2008:
	s_mov_b64 s[12:13], 0
	s_mov_b32 s16, 0x7f800001
	s_branch .LBB142_2012
.LBB142_2009:
	s_mov_b64 s[14:15], -1
	s_mov_b64 s[12:13], 0
	s_branch .LBB142_2011
.LBB142_2010:
	s_mov_b64 s[12:13], -1
.LBB142_2011:
                                        ; implicit-def: $sgpr16
.LBB142_2012:
	s_and_b64 vcc, exec, s[14:15]
	s_cbranch_vccz .LBB142_2014
; %bb.2013:
	v_mov_b32_e32 v0, 0
	s_mov_b32 s16, 0
	v_cmp_ne_u16_sdwa s[12:13], s11, v0 src0_sel:BYTE_0 src1_sel:DWORD
.LBB142_2014:
	s_andn2_b64 vcc, exec, s[12:13]
	s_cbranch_vccnz .LBB142_2016
; %bb.2015:
	s_and_b32 s13, s11, 7
	s_flbit_i32_b32 s15, s13
	s_min_u32 s15, s15, 32
	v_lshrrev_b16_e64 v0, 3, s11
	s_sub_i32 s16, s15, 28
	v_readfirstlane_b32 s14, v0
	s_lshl_b32 s16, s11, s16
	s_lshl_b32 s12, s11, 24
	s_and_b32 s14, s14, 15
	s_sub_i32 s15, 29, s15
	s_and_b32 s16, s16, 7
	s_cmp_eq_u32 s14, 0
	s_cselect_b32 s14, s15, s14
	s_cselect_b32 s13, s16, s13
	s_lshl_b32 s14, s14, 23
	s_and_b32 s12, s12, 0x80000000
	s_add_i32 s14, s14, 0x3b800000
	s_lshl_b32 s13, s13, 20
	s_or_b32 s12, s12, s14
	s_or_b32 s16, s12, s13
.LBB142_2016:
	s_bfe_u32 s12, s16, 0x10010
	s_add_i32 s12, s16, s12
	s_addk_i32 s12, 0x7fff
	s_lshr_b32 s14, s12, 16
	v_cmp_o_f32_e64 s[12:13], s16, s16
	s_and_b64 s[12:13], s[12:13], exec
	s_cselect_b32 s12, s14, 0x7fc0
	v_mov_b32_e32 v0, s12
	global_store_short v[4:5], v0, off
	s_mov_b64 s[12:13], 0
	s_mov_b64 s[16:17], -1
.LBB142_2017:
	s_mov_b64 s[18:19], 0
.LBB142_2018:
	s_mov_b64 s[14:15], 0
	s_and_b64 vcc, exec, s[18:19]
	s_cbranch_vccz .LBB142_2020
; %bb.2019:
	v_cmp_ne_u16_e64 s[12:13], 11, v12
	s_mov_b64 s[14:15], -1
.LBB142_2020:
	s_and_b64 vcc, exec, s[12:13]
	s_cbranch_vccnz .LBB142_2041
; %bb.2021:
	s_andn2_b64 vcc, exec, s[14:15]
	s_cbranch_vccnz .LBB142_2033
.LBB142_2022:
	v_mov_b32_e32 v0, 0x80
	v_cmp_lt_i16_sdwa s[12:13], s11, v0 src0_sel:BYTE_0 src1_sel:DWORD
	s_and_b64 vcc, exec, s[12:13]
	s_cbranch_vccnz .LBB142_2025
; %bb.2023:
	v_cmp_eq_u16_sdwa s[12:13], s11, v0 src0_sel:BYTE_0 src1_sel:DWORD
	s_and_b64 vcc, exec, s[12:13]
	s_cbranch_vccz .LBB142_2026
; %bb.2024:
	s_mov_b64 s[14:15], 0
	s_mov_b64 s[12:13], -1
	s_branch .LBB142_2027
.LBB142_2025:
	s_mov_b64 s[16:17], -1
	s_mov_b64 s[14:15], 0
                                        ; implicit-def: $sgpr12_sgpr13
	s_branch .LBB142_2028
.LBB142_2026:
	s_mov_b64 s[14:15], -1
                                        ; implicit-def: $sgpr12_sgpr13
.LBB142_2027:
	s_mov_b64 s[16:17], 0
.LBB142_2028:
	s_and_b64 vcc, exec, s[16:17]
	s_cbranch_vccz .LBB142_2030
; %bb.2029:
	v_mov_b32_e32 v0, 0
	v_cmp_ne_u16_sdwa s[14:15], s11, v0 src0_sel:BYTE_0 src1_sel:DWORD
	s_mov_b64 s[12:13], 0
.LBB142_2030:
	s_andn2_b64 vcc, exec, s[14:15]
	s_cbranch_vccnz .LBB142_2032
; %bb.2031:
	s_and_b32 s12, s11, 7
	s_flbit_i32_b32 s14, s12
	s_min_u32 s14, s14, 32
	v_lshrrev_b16_e64 v0, 3, s11
	s_sub_i32 s15, s14, 28
	v_readfirstlane_b32 s13, v0
	s_lshl_b32 s15, s11, s15
	s_and_b32 s13, s13, 15
	s_sub_i32 s14, 29, s14
	s_and_b32 s15, s15, 7
	s_cmp_eq_u32 s13, 0
	s_cselect_b32 s13, s14, s13
	s_cselect_b32 s12, s15, s12
	s_lshl_b32 s13, s13, 23
	s_add_i32 s13, s13, 0x3b800000
	s_lshl_b32 s12, s12, 20
	s_and_b32 s13, s13, 0x7f800000
	s_or_b32 s12, s13, s12
	s_cmp_lg_u32 s12, 0
	s_cselect_b64 s[12:13], -1, 0
.LBB142_2032:
	v_cndmask_b32_e64 v0, 0, 1, s[12:13]
	global_store_byte v[4:5], v0, off
	s_mov_b64 s[16:17], -1
.LBB142_2033:
	s_branch .LBB142_1862
.LBB142_2034:
	v_cmp_gt_i16_e32 vcc, 5, v12
	s_mov_b64 s[12:13], -1
	s_cbranch_vccnz .LBB142_2116
; %bb.2035:
	v_cmp_gt_i16_e32 vcc, 8, v12
	s_cbranch_vccnz .LBB142_2076
; %bb.2036:
	v_cmp_gt_i16_e32 vcc, 9, v12
	s_cbranch_vccnz .LBB142_2063
; %bb.2037:
	v_cmp_lt_i16_e32 vcc, 9, v12
	s_cbranch_vccz .LBB142_2050
; %bb.2038:
	v_mov_b32_e32 v0, 0x80
	v_cmp_lt_i16_sdwa s[12:13], s11, v0 src0_sel:BYTE_0 src1_sel:DWORD
	s_and_b64 vcc, exec, s[12:13]
	s_cbranch_vccnz .LBB142_2042
; %bb.2039:
	v_cmp_eq_u16_sdwa s[12:13], s11, v0 src0_sel:BYTE_0 src1_sel:DWORD
	s_and_b64 vcc, exec, s[12:13]
	s_cbranch_vccz .LBB142_2043
; %bb.2040:
	s_mov_b64 s[12:13], 0
	s_mov_b32 s15, 0x7ff80000
	s_brev_b32 s14, 4
	s_branch .LBB142_2044
.LBB142_2041:
	s_trap 2
	s_or_b64 s[6:7], s[6:7], exec
	s_cbranch_execz .LBB142_2022
	s_branch .LBB142_2033
.LBB142_2042:
	s_mov_b64 s[16:17], -1
	s_mov_b64 s[12:13], 0
                                        ; implicit-def: $sgpr14_sgpr15
	s_branch .LBB142_2045
.LBB142_2043:
	s_mov_b64 s[12:13], -1
                                        ; implicit-def: $sgpr14_sgpr15
.LBB142_2044:
	s_mov_b64 s[16:17], 0
.LBB142_2045:
	s_and_b64 vcc, exec, s[16:17]
	s_cbranch_vccz .LBB142_2047
; %bb.2046:
	v_mov_b32_e32 v0, 0
	v_cmp_ne_u16_sdwa s[12:13], s11, v0 src0_sel:BYTE_0 src1_sel:DWORD
	s_mov_b64 s[14:15], 0
.LBB142_2047:
	s_andn2_b64 vcc, exec, s[12:13]
	v_pk_mov_b32 v[0:1], s[14:15], s[14:15] op_sel:[0,1]
	s_cbranch_vccnz .LBB142_2049
; %bb.2048:
	s_and_b32 s13, s11, 7
	s_flbit_i32_b32 s15, s13
	s_min_u32 s15, s15, 32
	v_lshrrev_b16_e64 v0, 3, s11
	s_sub_i32 s16, s15, 28
	v_readfirstlane_b32 s14, v0
	s_lshl_b32 s16, s11, s16
	s_lshl_b32 s12, s11, 24
	s_and_b32 s14, s14, 15
	s_sub_i32 s15, 29, s15
	s_and_b32 s16, s16, 7
	s_cmp_eq_u32 s14, 0
	s_cselect_b32 s14, s15, s14
	s_cselect_b32 s13, s16, s13
	s_lshl_b32 s14, s14, 23
	s_and_b32 s12, s12, 0x80000000
	s_add_i32 s14, s14, 0x3b800000
	s_lshl_b32 s13, s13, 20
	s_or_b32 s12, s12, s14
	s_or_b32 s12, s12, s13
	v_cvt_f64_f32_e32 v[0:1], s12
.LBB142_2049:
	v_mov_b32_e32 v2, 0
	v_mov_b32_e32 v3, v2
	global_store_dwordx4 v[4:5], v[0:3], off
	s_mov_b64 s[12:13], 0
.LBB142_2050:
	s_and_b64 vcc, exec, s[12:13]
	s_cbranch_vccz .LBB142_2062
; %bb.2051:
	v_mov_b32_e32 v0, 0x80
	v_cmp_lt_i16_sdwa s[12:13], s11, v0 src0_sel:BYTE_0 src1_sel:DWORD
	s_and_b64 vcc, exec, s[12:13]
	s_cbranch_vccnz .LBB142_2054
; %bb.2052:
	v_cmp_eq_u16_sdwa s[12:13], s11, v0 src0_sel:BYTE_0 src1_sel:DWORD
	s_and_b64 vcc, exec, s[12:13]
	s_cbranch_vccz .LBB142_2055
; %bb.2053:
	s_mov_b64 s[12:13], 0
	s_mov_b32 s16, 0x7f800001
	s_branch .LBB142_2056
.LBB142_2054:
	s_mov_b64 s[14:15], -1
	s_mov_b64 s[12:13], 0
                                        ; implicit-def: $sgpr16
	s_branch .LBB142_2057
.LBB142_2055:
	s_mov_b64 s[12:13], -1
                                        ; implicit-def: $sgpr16
.LBB142_2056:
	s_mov_b64 s[14:15], 0
.LBB142_2057:
	s_and_b64 vcc, exec, s[14:15]
	v_mov_b32_e32 v0, s16
	s_cbranch_vccz .LBB142_2059
; %bb.2058:
	s_mov_b32 s12, 0xffff
	v_mov_b32_e32 v0, s11
	v_mov_b32_e32 v1, 0
	v_and_b32_sdwa v0, s12, v0 dst_sel:DWORD dst_unused:UNUSED_PAD src0_sel:DWORD src1_sel:BYTE_0
	v_cmp_ne_u16_sdwa s[12:13], s11, v1 src0_sel:BYTE_0 src1_sel:DWORD
.LBB142_2059:
	s_andn2_b64 vcc, exec, s[12:13]
	s_cbranch_vccnz .LBB142_2061
; %bb.2060:
	s_and_b32 s13, s11, 7
	s_flbit_i32_b32 s15, s13
	s_min_u32 s15, s15, 32
	v_lshrrev_b16_e64 v0, 3, s11
	s_sub_i32 s16, s15, 28
	v_readfirstlane_b32 s14, v0
	s_lshl_b32 s16, s11, s16
	s_lshl_b32 s12, s11, 24
	s_and_b32 s14, s14, 15
	s_sub_i32 s15, 29, s15
	s_and_b32 s16, s16, 7
	s_cmp_eq_u32 s14, 0
	s_cselect_b32 s14, s15, s14
	s_cselect_b32 s13, s16, s13
	s_lshl_b32 s14, s14, 23
	s_and_b32 s12, s12, 0x80000000
	s_add_i32 s14, s14, 0x3b800000
	s_lshl_b32 s13, s13, 20
	s_or_b32 s12, s12, s14
	s_or_b32 s12, s12, s13
	v_mov_b32_e32 v0, s12
.LBB142_2061:
	v_mov_b32_e32 v1, 0
	global_store_dwordx2 v[4:5], v[0:1], off
.LBB142_2062:
	s_mov_b64 s[12:13], 0
.LBB142_2063:
	s_andn2_b64 vcc, exec, s[12:13]
	s_cbranch_vccnz .LBB142_2075
; %bb.2064:
	v_mov_b32_e32 v0, 0x80
	v_cmp_lt_i16_sdwa s[12:13], s11, v0 src0_sel:BYTE_0 src1_sel:DWORD
	s_and_b64 vcc, exec, s[12:13]
	s_cbranch_vccnz .LBB142_2067
; %bb.2065:
	v_cmp_eq_u16_sdwa s[12:13], s11, v0 src0_sel:BYTE_0 src1_sel:DWORD
	s_and_b64 vcc, exec, s[12:13]
	s_cbranch_vccz .LBB142_2068
; %bb.2066:
	s_mov_b64 s[12:13], 0
	s_movk_i32 s16, 0x7e00
	s_branch .LBB142_2069
.LBB142_2067:
	s_mov_b64 s[14:15], -1
	s_mov_b64 s[12:13], 0
                                        ; implicit-def: $sgpr16
	s_branch .LBB142_2070
.LBB142_2068:
	s_mov_b64 s[12:13], -1
                                        ; implicit-def: $sgpr16
.LBB142_2069:
	s_mov_b64 s[14:15], 0
.LBB142_2070:
	s_and_b64 vcc, exec, s[14:15]
	v_mov_b32_e32 v0, s16
	s_cbranch_vccz .LBB142_2072
; %bb.2071:
	s_mov_b32 s12, 0xffff
	v_mov_b32_e32 v0, s11
	v_mov_b32_e32 v1, 0
	v_and_b32_sdwa v0, s12, v0 dst_sel:DWORD dst_unused:UNUSED_PAD src0_sel:DWORD src1_sel:BYTE_0
	v_cmp_ne_u16_sdwa s[12:13], s11, v1 src0_sel:BYTE_0 src1_sel:DWORD
.LBB142_2072:
	s_andn2_b64 vcc, exec, s[12:13]
	s_cbranch_vccnz .LBB142_2074
; %bb.2073:
	s_and_b32 s13, s11, 7
	s_flbit_i32_b32 s15, s13
	s_min_u32 s15, s15, 32
	v_lshrrev_b16_e64 v0, 3, s11
	s_sub_i32 s16, s15, 28
	v_readfirstlane_b32 s14, v0
	s_lshl_b32 s16, s11, s16
	s_lshl_b32 s12, s11, 24
	s_and_b32 s14, s14, 15
	s_sub_i32 s15, 29, s15
	s_and_b32 s16, s16, 7
	s_cmp_eq_u32 s14, 0
	s_cselect_b32 s14, s15, s14
	s_cselect_b32 s13, s16, s13
	s_lshl_b32 s14, s14, 23
	s_and_b32 s12, s12, 0x80000000
	s_add_i32 s14, s14, 0x3b800000
	s_lshl_b32 s13, s13, 20
	s_or_b32 s12, s12, s14
	s_or_b32 s12, s12, s13
	v_cvt_f16_f32_e32 v0, s12
.LBB142_2074:
	global_store_dword v[4:5], v0, off
.LBB142_2075:
	s_mov_b64 s[12:13], 0
.LBB142_2076:
	s_andn2_b64 vcc, exec, s[12:13]
	s_cbranch_vccnz .LBB142_2115
; %bb.2077:
	v_cmp_gt_i16_e32 vcc, 6, v12
	s_mov_b64 s[12:13], -1
	s_cbranch_vccnz .LBB142_2103
; %bb.2078:
	v_cmp_lt_i16_e32 vcc, 6, v12
	s_cbranch_vccz .LBB142_2090
; %bb.2079:
	v_mov_b32_e32 v0, 0x80
	v_cmp_lt_i16_sdwa s[12:13], s11, v0 src0_sel:BYTE_0 src1_sel:DWORD
	s_and_b64 vcc, exec, s[12:13]
	s_cbranch_vccnz .LBB142_2082
; %bb.2080:
	v_cmp_eq_u16_sdwa s[12:13], s11, v0 src0_sel:BYTE_0 src1_sel:DWORD
	s_and_b64 vcc, exec, s[12:13]
	s_cbranch_vccz .LBB142_2083
; %bb.2081:
	s_mov_b64 s[12:13], 0
	s_mov_b32 s15, 0x7ff80000
	s_brev_b32 s14, 4
	s_branch .LBB142_2084
.LBB142_2082:
	s_mov_b64 s[16:17], -1
	s_mov_b64 s[12:13], 0
                                        ; implicit-def: $sgpr14_sgpr15
	s_branch .LBB142_2085
.LBB142_2083:
	s_mov_b64 s[12:13], -1
                                        ; implicit-def: $sgpr14_sgpr15
.LBB142_2084:
	s_mov_b64 s[16:17], 0
.LBB142_2085:
	s_and_b64 vcc, exec, s[16:17]
	s_cbranch_vccz .LBB142_2087
; %bb.2086:
	v_mov_b32_e32 v0, 0
	v_cmp_ne_u16_sdwa s[12:13], s11, v0 src0_sel:BYTE_0 src1_sel:DWORD
	s_mov_b64 s[14:15], 0
.LBB142_2087:
	s_andn2_b64 vcc, exec, s[12:13]
	v_pk_mov_b32 v[0:1], s[14:15], s[14:15] op_sel:[0,1]
	s_cbranch_vccnz .LBB142_2089
; %bb.2088:
	s_and_b32 s13, s11, 7
	s_flbit_i32_b32 s15, s13
	s_min_u32 s15, s15, 32
	v_lshrrev_b16_e64 v0, 3, s11
	s_sub_i32 s16, s15, 28
	v_readfirstlane_b32 s14, v0
	s_lshl_b32 s16, s11, s16
	s_lshl_b32 s12, s11, 24
	s_and_b32 s14, s14, 15
	s_sub_i32 s15, 29, s15
	s_and_b32 s16, s16, 7
	s_cmp_eq_u32 s14, 0
	s_cselect_b32 s14, s15, s14
	s_cselect_b32 s13, s16, s13
	s_lshl_b32 s14, s14, 23
	s_and_b32 s12, s12, 0x80000000
	s_add_i32 s14, s14, 0x3b800000
	s_lshl_b32 s13, s13, 20
	s_or_b32 s12, s12, s14
	s_or_b32 s12, s12, s13
	v_cvt_f64_f32_e32 v[0:1], s12
.LBB142_2089:
	global_store_dwordx2 v[4:5], v[0:1], off
	s_mov_b64 s[12:13], 0
.LBB142_2090:
	s_and_b64 vcc, exec, s[12:13]
	s_cbranch_vccz .LBB142_2102
; %bb.2091:
	v_mov_b32_e32 v0, 0x80
	v_cmp_lt_i16_sdwa s[12:13], s11, v0 src0_sel:BYTE_0 src1_sel:DWORD
	s_and_b64 vcc, exec, s[12:13]
	s_cbranch_vccnz .LBB142_2094
; %bb.2092:
	v_cmp_eq_u16_sdwa s[12:13], s11, v0 src0_sel:BYTE_0 src1_sel:DWORD
	s_and_b64 vcc, exec, s[12:13]
	s_cbranch_vccz .LBB142_2095
; %bb.2093:
	s_mov_b64 s[12:13], 0
	s_mov_b32 s16, 0x7f800001
	s_branch .LBB142_2096
.LBB142_2094:
	s_mov_b64 s[14:15], -1
	s_mov_b64 s[12:13], 0
                                        ; implicit-def: $sgpr16
	s_branch .LBB142_2097
.LBB142_2095:
	s_mov_b64 s[12:13], -1
                                        ; implicit-def: $sgpr16
.LBB142_2096:
	s_mov_b64 s[14:15], 0
.LBB142_2097:
	s_and_b64 vcc, exec, s[14:15]
	v_mov_b32_e32 v0, s16
	s_cbranch_vccz .LBB142_2099
; %bb.2098:
	s_mov_b32 s12, 0xffff
	v_mov_b32_e32 v0, s11
	v_mov_b32_e32 v1, 0
	v_and_b32_sdwa v0, s12, v0 dst_sel:DWORD dst_unused:UNUSED_PAD src0_sel:DWORD src1_sel:BYTE_0
	v_cmp_ne_u16_sdwa s[12:13], s11, v1 src0_sel:BYTE_0 src1_sel:DWORD
.LBB142_2099:
	s_andn2_b64 vcc, exec, s[12:13]
	s_cbranch_vccnz .LBB142_2101
; %bb.2100:
	s_and_b32 s13, s11, 7
	s_flbit_i32_b32 s15, s13
	s_min_u32 s15, s15, 32
	v_lshrrev_b16_e64 v0, 3, s11
	s_sub_i32 s16, s15, 28
	v_readfirstlane_b32 s14, v0
	s_lshl_b32 s16, s11, s16
	s_lshl_b32 s12, s11, 24
	s_and_b32 s14, s14, 15
	s_sub_i32 s15, 29, s15
	s_and_b32 s16, s16, 7
	s_cmp_eq_u32 s14, 0
	s_cselect_b32 s14, s15, s14
	s_cselect_b32 s13, s16, s13
	s_lshl_b32 s14, s14, 23
	s_and_b32 s12, s12, 0x80000000
	s_add_i32 s14, s14, 0x3b800000
	s_lshl_b32 s13, s13, 20
	s_or_b32 s12, s12, s14
	s_or_b32 s12, s12, s13
	v_mov_b32_e32 v0, s12
.LBB142_2101:
	global_store_dword v[4:5], v0, off
.LBB142_2102:
	s_mov_b64 s[12:13], 0
.LBB142_2103:
	s_andn2_b64 vcc, exec, s[12:13]
	s_cbranch_vccnz .LBB142_2115
; %bb.2104:
	v_mov_b32_e32 v0, 0xff
	v_and_b32_e32 v0, s11, v0
	s_movk_i32 s12, 0x80
	v_cmp_gt_i16_e32 vcc, s12, v0
	s_cbranch_vccnz .LBB142_2107
; %bb.2105:
	v_cmp_eq_u16_e32 vcc, s12, v0
	s_cbranch_vccz .LBB142_2108
; %bb.2106:
	s_mov_b64 s[12:13], 0
	s_movk_i32 s16, 0x7e00
	s_branch .LBB142_2109
.LBB142_2107:
	s_mov_b64 s[14:15], -1
	s_mov_b64 s[12:13], 0
                                        ; implicit-def: $sgpr16
	s_branch .LBB142_2110
.LBB142_2108:
	s_mov_b64 s[12:13], -1
                                        ; implicit-def: $sgpr16
.LBB142_2109:
	s_mov_b64 s[14:15], 0
.LBB142_2110:
	s_and_b64 vcc, exec, s[14:15]
	v_mov_b32_e32 v1, s16
	s_cbranch_vccz .LBB142_2112
; %bb.2111:
	v_cmp_ne_u16_e64 s[12:13], 0, v0
	v_mov_b32_e32 v1, v0
.LBB142_2112:
	s_andn2_b64 vcc, exec, s[12:13]
	s_cbranch_vccnz .LBB142_2114
; %bb.2113:
	s_and_b32 s13, s11, 7
	s_flbit_i32_b32 s15, s13
	s_min_u32 s15, s15, 32
	v_lshrrev_b16_e64 v0, 3, s11
	s_sub_i32 s16, s15, 28
	v_readfirstlane_b32 s14, v0
	s_lshl_b32 s16, s11, s16
	s_lshl_b32 s12, s11, 24
	s_and_b32 s14, s14, 15
	s_sub_i32 s15, 29, s15
	s_and_b32 s16, s16, 7
	s_cmp_eq_u32 s14, 0
	s_cselect_b32 s14, s15, s14
	s_cselect_b32 s13, s16, s13
	s_lshl_b32 s14, s14, 23
	s_and_b32 s12, s12, 0x80000000
	s_add_i32 s14, s14, 0x3b800000
	s_lshl_b32 s13, s13, 20
	s_or_b32 s12, s12, s14
	s_or_b32 s12, s12, s13
	v_cvt_f16_f32_e32 v1, s12
.LBB142_2114:
	global_store_short v[4:5], v1, off
.LBB142_2115:
	s_mov_b64 s[12:13], 0
.LBB142_2116:
	s_andn2_b64 vcc, exec, s[12:13]
	s_cbranch_vccnz .LBB142_2167
; %bb.2117:
	v_cmp_gt_i16_e32 vcc, 2, v12
	s_mov_b64 s[12:13], -1
	s_cbranch_vccnz .LBB142_2148
; %bb.2118:
	v_cmp_gt_i16_e32 vcc, 3, v12
	s_cbranch_vccnz .LBB142_2138
; %bb.2119:
	v_cmp_lt_i16_e32 vcc, 3, v12
	s_cbranch_vccz .LBB142_2128
; %bb.2120:
	v_mov_b32_e32 v0, 0x80
	v_cmp_lt_i16_sdwa s[12:13], s11, v0 src0_sel:BYTE_0 src1_sel:DWORD
	s_and_b64 vcc, exec, s[12:13]
	s_cbranch_vccnz .LBB142_2122
; %bb.2121:
	v_cmp_ne_u16_sdwa s[12:13], s11, v0 src0_sel:BYTE_0 src1_sel:DWORD
	s_mov_b64 s[16:17], 0
	s_mov_b64 s[14:15], 0
	s_branch .LBB142_2123
.LBB142_2122:
	s_mov_b64 s[16:17], -1
	s_mov_b64 s[12:13], 0
                                        ; implicit-def: $sgpr14_sgpr15
.LBB142_2123:
	s_andn2_b64 vcc, exec, s[16:17]
	s_cbranch_vccnz .LBB142_2125
; %bb.2124:
	v_mov_b32_e32 v0, 0
	v_cmp_ne_u16_sdwa s[12:13], s11, v0 src0_sel:BYTE_0 src1_sel:DWORD
	s_mov_b64 s[14:15], 0
.LBB142_2125:
	s_andn2_b64 vcc, exec, s[12:13]
	v_pk_mov_b32 v[0:1], s[14:15], s[14:15] op_sel:[0,1]
	s_cbranch_vccnz .LBB142_2127
; %bb.2126:
	s_and_b32 s13, s11, 7
	s_flbit_i32_b32 s15, s13
	s_min_u32 s15, s15, 32
	v_lshrrev_b16_e64 v0, 3, s11
	s_sub_i32 s16, s15, 28
	v_readfirstlane_b32 s14, v0
	s_lshl_b32 s16, s11, s16
	s_lshl_b32 s12, s11, 24
	s_and_b32 s14, s14, 15
	s_sub_i32 s15, 29, s15
	s_and_b32 s16, s16, 7
	s_cmp_eq_u32 s14, 0
	s_cselect_b32 s14, s15, s14
	s_cselect_b32 s13, s16, s13
	s_lshl_b32 s14, s14, 23
	s_and_b32 s12, s12, 0x80000000
	s_add_i32 s14, s14, 0x3b800000
	s_lshl_b32 s13, s13, 20
	s_or_b32 s12, s12, s14
	s_or_b32 s12, s12, s13
	v_trunc_f32_e32 v0, s12
	s_mov_b32 s12, 0x2f800000
	v_mul_f32_e64 v1, |v0|, s12
	v_floor_f32_e32 v1, v1
	s_mov_b32 s12, 0xcf800000
	v_fma_f32 v2, v1, s12, |v0|
	v_cvt_u32_f32_e32 v2, v2
	v_cvt_u32_f32_e32 v1, v1
	v_ashrrev_i32_e32 v3, 31, v0
	v_xor_b32_e32 v0, v2, v3
	v_xor_b32_e32 v1, v1, v3
	v_sub_co_u32_e32 v0, vcc, v0, v3
	v_subb_co_u32_e32 v1, vcc, v1, v3, vcc
.LBB142_2127:
	global_store_dwordx2 v[4:5], v[0:1], off
	s_mov_b64 s[12:13], 0
.LBB142_2128:
	s_and_b64 vcc, exec, s[12:13]
	s_cbranch_vccz .LBB142_2137
; %bb.2129:
	v_mov_b32_e32 v0, 0x80
	v_cmp_lt_i16_sdwa s[12:13], s11, v0 src0_sel:BYTE_0 src1_sel:DWORD
	s_and_b64 vcc, exec, s[12:13]
	s_cbranch_vccnz .LBB142_2131
; %bb.2130:
	v_cmp_ne_u16_sdwa s[12:13], s11, v0 src0_sel:BYTE_0 src1_sel:DWORD
	s_mov_b64 s[14:15], 0
	s_mov_b32 s16, 0
	s_branch .LBB142_2132
.LBB142_2131:
	s_mov_b64 s[14:15], -1
	s_mov_b64 s[12:13], 0
                                        ; implicit-def: $sgpr16
.LBB142_2132:
	s_andn2_b64 vcc, exec, s[14:15]
	s_cbranch_vccnz .LBB142_2134
; %bb.2133:
	v_mov_b32_e32 v0, 0
	s_mov_b32 s16, 0
	v_cmp_ne_u16_sdwa s[12:13], s11, v0 src0_sel:BYTE_0 src1_sel:DWORD
.LBB142_2134:
	s_andn2_b64 vcc, exec, s[12:13]
	v_mov_b32_e32 v0, s16
	s_cbranch_vccnz .LBB142_2136
; %bb.2135:
	s_and_b32 s13, s11, 7
	s_flbit_i32_b32 s15, s13
	s_min_u32 s15, s15, 32
	v_lshrrev_b16_e64 v0, 3, s11
	s_sub_i32 s16, s15, 28
	v_readfirstlane_b32 s14, v0
	s_lshl_b32 s16, s11, s16
	s_lshl_b32 s12, s11, 24
	s_and_b32 s14, s14, 15
	s_sub_i32 s15, 29, s15
	s_and_b32 s16, s16, 7
	s_cmp_eq_u32 s14, 0
	s_cselect_b32 s14, s15, s14
	s_cselect_b32 s13, s16, s13
	s_lshl_b32 s14, s14, 23
	s_and_b32 s12, s12, 0x80000000
	s_add_i32 s14, s14, 0x3b800000
	s_lshl_b32 s13, s13, 20
	s_or_b32 s12, s12, s14
	s_or_b32 s12, s12, s13
	v_cvt_i32_f32_e32 v0, s12
.LBB142_2136:
	global_store_dword v[4:5], v0, off
.LBB142_2137:
	s_mov_b64 s[12:13], 0
.LBB142_2138:
	s_andn2_b64 vcc, exec, s[12:13]
	s_cbranch_vccnz .LBB142_2147
; %bb.2139:
	v_mov_b32_e32 v0, 0x80
	v_cmp_lt_i16_sdwa s[12:13], s11, v0 src0_sel:BYTE_0 src1_sel:DWORD
	s_and_b64 vcc, exec, s[12:13]
	s_cbranch_vccnz .LBB142_2141
; %bb.2140:
	v_cmp_ne_u16_sdwa s[12:13], s11, v0 src0_sel:BYTE_0 src1_sel:DWORD
	s_mov_b64 s[14:15], 0
	s_mov_b32 s16, 0
	s_branch .LBB142_2142
.LBB142_2141:
	s_mov_b64 s[14:15], -1
	s_mov_b64 s[12:13], 0
                                        ; implicit-def: $sgpr16
.LBB142_2142:
	s_andn2_b64 vcc, exec, s[14:15]
	s_cbranch_vccnz .LBB142_2144
; %bb.2143:
	v_mov_b32_e32 v0, 0
	s_mov_b32 s16, 0
	v_cmp_ne_u16_sdwa s[12:13], s11, v0 src0_sel:BYTE_0 src1_sel:DWORD
.LBB142_2144:
	s_andn2_b64 vcc, exec, s[12:13]
	v_mov_b32_e32 v0, s16
	s_cbranch_vccnz .LBB142_2146
; %bb.2145:
	s_and_b32 s13, s11, 7
	s_flbit_i32_b32 s15, s13
	s_min_u32 s15, s15, 32
	v_lshrrev_b16_e64 v0, 3, s11
	s_sub_i32 s16, s15, 28
	v_readfirstlane_b32 s14, v0
	s_lshl_b32 s16, s11, s16
	s_lshl_b32 s12, s11, 24
	s_and_b32 s14, s14, 15
	s_sub_i32 s15, 29, s15
	s_and_b32 s16, s16, 7
	s_cmp_eq_u32 s14, 0
	s_cselect_b32 s14, s15, s14
	s_cselect_b32 s13, s16, s13
	s_lshl_b32 s14, s14, 23
	s_and_b32 s12, s12, 0x80000000
	s_add_i32 s14, s14, 0x3b800000
	s_lshl_b32 s13, s13, 20
	s_or_b32 s12, s12, s14
	s_or_b32 s12, s12, s13
	v_cvt_i32_f32_e32 v0, s12
.LBB142_2146:
	global_store_short v[4:5], v0, off
.LBB142_2147:
	s_mov_b64 s[12:13], 0
.LBB142_2148:
	s_andn2_b64 vcc, exec, s[12:13]
	s_cbranch_vccnz .LBB142_2167
; %bb.2149:
	v_cmp_lt_i16_e32 vcc, 0, v12
	s_mov_b64 s[12:13], -1
	s_cbranch_vccz .LBB142_2158
; %bb.2150:
	v_mov_b32_e32 v0, 0x80
	v_cmp_lt_i16_sdwa s[12:13], s11, v0 src0_sel:BYTE_0 src1_sel:DWORD
	s_and_b64 vcc, exec, s[12:13]
	s_cbranch_vccnz .LBB142_2152
; %bb.2151:
	v_cmp_ne_u16_sdwa s[12:13], s11, v0 src0_sel:BYTE_0 src1_sel:DWORD
	s_mov_b64 s[14:15], 0
	s_mov_b32 s16, 0
	s_branch .LBB142_2153
.LBB142_2152:
	s_mov_b64 s[14:15], -1
	s_mov_b64 s[12:13], 0
                                        ; implicit-def: $sgpr16
.LBB142_2153:
	s_andn2_b64 vcc, exec, s[14:15]
	s_cbranch_vccnz .LBB142_2155
; %bb.2154:
	v_mov_b32_e32 v0, 0
	s_mov_b32 s16, 0
	v_cmp_ne_u16_sdwa s[12:13], s11, v0 src0_sel:BYTE_0 src1_sel:DWORD
.LBB142_2155:
	s_andn2_b64 vcc, exec, s[12:13]
	v_mov_b32_e32 v0, s16
	s_cbranch_vccnz .LBB142_2157
; %bb.2156:
	s_and_b32 s13, s11, 7
	s_flbit_i32_b32 s15, s13
	s_min_u32 s15, s15, 32
	v_lshrrev_b16_e64 v0, 3, s11
	s_sub_i32 s16, s15, 28
	v_readfirstlane_b32 s14, v0
	s_lshl_b32 s16, s11, s16
	s_lshl_b32 s12, s11, 24
	s_and_b32 s14, s14, 15
	s_sub_i32 s15, 29, s15
	s_and_b32 s16, s16, 7
	s_cmp_eq_u32 s14, 0
	s_cselect_b32 s14, s15, s14
	s_cselect_b32 s13, s16, s13
	s_lshl_b32 s14, s14, 23
	s_and_b32 s12, s12, 0x80000000
	s_add_i32 s14, s14, 0x3b800000
	s_lshl_b32 s13, s13, 20
	s_or_b32 s12, s12, s14
	s_or_b32 s12, s12, s13
	v_cvt_i32_f32_e32 v0, s12
.LBB142_2157:
	global_store_byte v[4:5], v0, off
	s_mov_b64 s[12:13], 0
.LBB142_2158:
	s_and_b64 vcc, exec, s[12:13]
	s_cbranch_vccz .LBB142_2167
; %bb.2159:
	v_mov_b32_e32 v0, 0x80
	v_cmp_lt_i16_sdwa s[12:13], s11, v0 src0_sel:BYTE_0 src1_sel:DWORD
	s_and_b64 vcc, exec, s[12:13]
	s_cbranch_vccnz .LBB142_2161
; %bb.2160:
	v_cmp_ne_u16_sdwa s[12:13], s11, v0 src0_sel:BYTE_0 src1_sel:DWORD
	s_mov_b64 s[14:15], 0
	s_mov_b32 s16, 0
	s_branch .LBB142_2162
.LBB142_2161:
	s_mov_b64 s[14:15], -1
	s_mov_b64 s[12:13], 0
                                        ; implicit-def: $sgpr16
.LBB142_2162:
	s_andn2_b64 vcc, exec, s[14:15]
	s_cbranch_vccnz .LBB142_2164
; %bb.2163:
	v_mov_b32_e32 v0, 0
	s_mov_b32 s16, 0
	v_cmp_ne_u16_sdwa s[12:13], s11, v0 src0_sel:BYTE_0 src1_sel:DWORD
.LBB142_2164:
	s_andn2_b64 vcc, exec, s[12:13]
	v_mov_b32_e32 v0, s16
	s_cbranch_vccnz .LBB142_2166
; %bb.2165:
	s_and_b32 s13, s11, 7
	s_flbit_i32_b32 s15, s13
	s_min_u32 s15, s15, 32
	v_lshrrev_b16_e64 v0, 3, s11
	s_sub_i32 s16, s15, 28
	v_readfirstlane_b32 s14, v0
	s_lshl_b32 s16, s11, s16
	s_lshl_b32 s12, s11, 24
	s_and_b32 s14, s14, 15
	s_sub_i32 s15, 29, s15
	s_and_b32 s16, s16, 7
	s_cmp_eq_u32 s14, 0
	s_cselect_b32 s14, s15, s14
	s_cselect_b32 s13, s16, s13
	s_lshl_b32 s14, s14, 23
	s_and_b32 s12, s12, 0x80000000
	s_add_i32 s14, s14, 0x3b800000
	s_lshl_b32 s13, s13, 20
	s_or_b32 s12, s12, s14
	s_or_b32 s12, s12, s13
	v_trunc_f32_e32 v0, s12
	s_mov_b32 s12, 0x2f800000
	v_mul_f32_e64 v1, |v0|, s12
	v_floor_f32_e32 v1, v1
	s_mov_b32 s12, 0xcf800000
	v_fma_f32 v1, v1, s12, |v0|
	v_cvt_u32_f32_e32 v1, v1
	v_ashrrev_i32_e32 v0, 31, v0
	v_xor_b32_e32 v1, v1, v0
	v_sub_u32_e32 v0, v1, v0
.LBB142_2166:
	global_store_byte v[4:5], v0, off
.LBB142_2167:
	s_branch .LBB142_1863
.LBB142_2168:
	s_mov_b64 s[0:1], 0
	s_mov_b64 s[8:9], 0
                                        ; implicit-def: $vgpr12
                                        ; implicit-def: $vgpr4_vgpr5
.LBB142_2169:
	s_andn2_b64 s[2:3], s[2:3], exec
	s_and_b64 s[6:7], s[6:7], exec
	s_and_b64 s[12:13], s[0:1], exec
	s_and_b64 s[0:1], s[8:9], exec
	s_or_b64 s[2:3], s[2:3], s[6:7]
.LBB142_2170:
	s_or_b64 exec, exec, s[4:5]
	s_and_saveexec_b64 s[4:5], s[2:3]
	s_cbranch_execz .LBB142_2173
; %bb.2171:
	; divergent unreachable
	s_or_b64 exec, exec, s[4:5]
	s_and_saveexec_b64 s[2:3], s[0:1]
	s_cbranch_execnz .LBB142_2174
.LBB142_2172:
	s_or_b64 exec, exec, s[2:3]
	s_and_saveexec_b64 s[0:1], s[12:13]
	s_cbranch_execnz .LBB142_2182
	s_branch .LBB142_2311
.LBB142_2173:
	s_or_b64 exec, exec, s[4:5]
	s_and_saveexec_b64 s[2:3], s[0:1]
	s_cbranch_execz .LBB142_2172
.LBB142_2174:
	v_mov_b32_e32 v0, 0x80
	v_cmp_lt_i16_sdwa s[0:1], s11, v0 src0_sel:BYTE_0 src1_sel:DWORD
	s_and_b64 vcc, exec, s[0:1]
	s_cbranch_vccnz .LBB142_2177
; %bb.2175:
	v_cmp_eq_u16_sdwa s[0:1], s11, v0 src0_sel:BYTE_0 src1_sel:DWORD
	s_and_b64 vcc, exec, s[0:1]
	s_cbranch_vccz .LBB142_2189
; %bb.2176:
	s_mov_b64 s[4:5], 0
	s_mov_b64 s[0:1], -1
	s_branch .LBB142_2179
.LBB142_2177:
	s_mov_b64 s[4:5], 0
                                        ; implicit-def: $sgpr0_sgpr1
	s_cbranch_execz .LBB142_2179
; %bb.2178:
	v_mov_b32_e32 v0, 0
	v_cmp_ne_u16_sdwa s[4:5], s11, v0 src0_sel:BYTE_0 src1_sel:DWORD
	s_mov_b64 s[0:1], 0
.LBB142_2179:
	s_andn2_b64 vcc, exec, s[4:5]
	s_cbranch_vccnz .LBB142_2181
; %bb.2180:
	s_and_b32 s0, s11, 7
	s_flbit_i32_b32 s4, s0
	s_min_u32 s4, s4, 32
	v_lshrrev_b16_e64 v0, 3, s11
	s_sub_i32 s5, s4, 28
	v_readfirstlane_b32 s1, v0
	s_lshl_b32 s5, s11, s5
	s_and_b32 s1, s1, 15
	s_sub_i32 s4, 29, s4
	s_and_b32 s5, s5, 7
	s_cmp_eq_u32 s1, 0
	s_cselect_b32 s1, s4, s1
	s_cselect_b32 s0, s5, s0
	s_lshl_b32 s1, s1, 23
	s_add_i32 s1, s1, 0x3b800000
	s_lshl_b32 s0, s0, 20
	s_and_b32 s1, s1, 0x7f800000
	s_or_b32 s0, s1, s0
	s_cmp_lg_u32 s0, 0
	s_cselect_b64 s[0:1], -1, 0
.LBB142_2181:
	v_cndmask_b32_e64 v0, 0, 1, s[0:1]
	global_store_byte v[4:5], v0, off
	s_or_b64 exec, exec, s[2:3]
	s_and_saveexec_b64 s[0:1], s[12:13]
	s_cbranch_execz .LBB142_2311
.LBB142_2182:
	v_cmp_gt_i16_e32 vcc, 5, v12
	s_mov_b64 s[0:1], -1
	s_cbranch_vccnz .LBB142_2264
; %bb.2183:
	v_cmp_gt_i16_e32 vcc, 8, v12
	s_cbranch_vccnz .LBB142_2216
; %bb.2184:
	v_cmp_gt_i16_e32 vcc, 9, v12
	s_cbranch_vccnz .LBB142_2211
; %bb.2185:
	v_cmp_lt_i16_e32 vcc, 9, v12
	s_cbranch_vccz .LBB142_2198
; %bb.2186:
	v_mov_b32_e32 v0, 0x80
	v_cmp_lt_i16_sdwa s[0:1], s11, v0 src0_sel:BYTE_0 src1_sel:DWORD
	s_and_b64 vcc, exec, s[0:1]
	s_cbranch_vccnz .LBB142_2190
; %bb.2187:
	v_cmp_eq_u16_sdwa s[0:1], s11, v0 src0_sel:BYTE_0 src1_sel:DWORD
	s_and_b64 vcc, exec, s[0:1]
	s_cbranch_vccz .LBB142_2191
; %bb.2188:
	s_mov_b64 s[0:1], 0
	s_mov_b32 s3, 0x7ff80000
	s_brev_b32 s2, 4
	s_branch .LBB142_2192
.LBB142_2189:
	s_mov_b64 s[4:5], -1
                                        ; implicit-def: $sgpr0_sgpr1
	s_branch .LBB142_2179
.LBB142_2190:
	s_mov_b64 s[4:5], -1
	s_mov_b64 s[0:1], 0
                                        ; implicit-def: $sgpr2_sgpr3
	s_branch .LBB142_2193
.LBB142_2191:
	s_mov_b64 s[0:1], -1
                                        ; implicit-def: $sgpr2_sgpr3
.LBB142_2192:
	s_mov_b64 s[4:5], 0
.LBB142_2193:
	s_and_b64 vcc, exec, s[4:5]
	s_cbranch_vccz .LBB142_2195
; %bb.2194:
	v_mov_b32_e32 v0, 0
	v_cmp_ne_u16_sdwa s[0:1], s11, v0 src0_sel:BYTE_0 src1_sel:DWORD
	s_mov_b64 s[2:3], 0
.LBB142_2195:
	s_andn2_b64 vcc, exec, s[0:1]
	v_pk_mov_b32 v[0:1], s[2:3], s[2:3] op_sel:[0,1]
	s_cbranch_vccnz .LBB142_2197
; %bb.2196:
	s_and_b32 s1, s11, 7
	s_flbit_i32_b32 s3, s1
	s_min_u32 s3, s3, 32
	v_lshrrev_b16_e64 v0, 3, s11
	s_sub_i32 s4, s3, 28
	v_readfirstlane_b32 s2, v0
	s_lshl_b32 s4, s11, s4
	s_lshl_b32 s0, s11, 24
	s_and_b32 s2, s2, 15
	s_sub_i32 s3, 29, s3
	s_and_b32 s4, s4, 7
	s_cmp_eq_u32 s2, 0
	s_cselect_b32 s2, s3, s2
	s_cselect_b32 s1, s4, s1
	s_lshl_b32 s2, s2, 23
	s_and_b32 s0, s0, 0x80000000
	s_add_i32 s2, s2, 0x3b800000
	s_lshl_b32 s1, s1, 20
	s_or_b32 s0, s0, s2
	s_or_b32 s0, s0, s1
	v_cvt_f64_f32_e32 v[0:1], s0
.LBB142_2197:
	v_mov_b32_e32 v2, 0
	v_mov_b32_e32 v3, v2
	global_store_dwordx4 v[4:5], v[0:3], off
	s_mov_b64 s[0:1], 0
.LBB142_2198:
	s_and_b64 vcc, exec, s[0:1]
	s_cbranch_vccz .LBB142_2210
; %bb.2199:
	v_mov_b32_e32 v0, 0x80
	v_cmp_lt_i16_sdwa s[0:1], s11, v0 src0_sel:BYTE_0 src1_sel:DWORD
	s_and_b64 vcc, exec, s[0:1]
	s_cbranch_vccnz .LBB142_2202
; %bb.2200:
	v_cmp_eq_u16_sdwa s[0:1], s11, v0 src0_sel:BYTE_0 src1_sel:DWORD
	s_and_b64 vcc, exec, s[0:1]
	s_cbranch_vccz .LBB142_2203
; %bb.2201:
	s_mov_b64 s[0:1], 0
	s_mov_b32 s4, 0x7f800001
	s_branch .LBB142_2204
.LBB142_2202:
	s_mov_b64 s[2:3], -1
	s_mov_b64 s[0:1], 0
                                        ; implicit-def: $sgpr4
	s_branch .LBB142_2205
.LBB142_2203:
	s_mov_b64 s[0:1], -1
                                        ; implicit-def: $sgpr4
.LBB142_2204:
	s_mov_b64 s[2:3], 0
.LBB142_2205:
	s_and_b64 vcc, exec, s[2:3]
	v_mov_b32_e32 v0, s4
	s_cbranch_vccz .LBB142_2207
; %bb.2206:
	s_mov_b32 s0, 0xffff
	v_mov_b32_e32 v0, s11
	v_mov_b32_e32 v1, 0
	v_and_b32_sdwa v0, s0, v0 dst_sel:DWORD dst_unused:UNUSED_PAD src0_sel:DWORD src1_sel:BYTE_0
	v_cmp_ne_u16_sdwa s[0:1], s11, v1 src0_sel:BYTE_0 src1_sel:DWORD
.LBB142_2207:
	s_andn2_b64 vcc, exec, s[0:1]
	s_cbranch_vccnz .LBB142_2209
; %bb.2208:
	s_and_b32 s1, s11, 7
	s_flbit_i32_b32 s3, s1
	s_min_u32 s3, s3, 32
	v_lshrrev_b16_e64 v0, 3, s11
	s_sub_i32 s4, s3, 28
	v_readfirstlane_b32 s2, v0
	s_lshl_b32 s4, s11, s4
	s_lshl_b32 s0, s11, 24
	s_and_b32 s2, s2, 15
	s_sub_i32 s3, 29, s3
	s_and_b32 s4, s4, 7
	s_cmp_eq_u32 s2, 0
	s_cselect_b32 s2, s3, s2
	s_cselect_b32 s1, s4, s1
	s_lshl_b32 s2, s2, 23
	s_and_b32 s0, s0, 0x80000000
	s_add_i32 s2, s2, 0x3b800000
	s_lshl_b32 s1, s1, 20
	s_or_b32 s0, s0, s2
	s_or_b32 s0, s0, s1
	v_mov_b32_e32 v0, s0
.LBB142_2209:
	v_mov_b32_e32 v1, 0
	global_store_dwordx2 v[4:5], v[0:1], off
.LBB142_2210:
	s_mov_b64 s[0:1], 0
.LBB142_2211:
	s_andn2_b64 vcc, exec, s[0:1]
	s_cbranch_vccnz .LBB142_2215
; %bb.2212:
	v_mov_b32_e32 v0, 0x80
	v_cmp_lt_i16_sdwa s[0:1], s11, v0 src0_sel:BYTE_0 src1_sel:DWORD
	s_and_b64 vcc, exec, s[0:1]
	s_cbranch_vccnz .LBB142_2222
; %bb.2213:
	v_cmp_eq_u16_sdwa s[0:1], s11, v0 src0_sel:BYTE_0 src1_sel:DWORD
	s_and_b64 vcc, exec, s[0:1]
	s_cbranch_vccz .LBB142_2223
; %bb.2214:
	s_mov_b64 s[0:1], 0
	s_movk_i32 s4, 0x7e00
	s_branch .LBB142_2224
.LBB142_2215:
	s_mov_b64 s[0:1], 0
.LBB142_2216:
	s_andn2_b64 vcc, exec, s[0:1]
	s_cbranch_vccnz .LBB142_2263
.LBB142_2217:
	v_cmp_gt_i16_e32 vcc, 6, v12
	s_mov_b64 s[0:1], -1
	s_cbranch_vccnz .LBB142_2251
; %bb.2218:
	v_cmp_lt_i16_e32 vcc, 6, v12
	s_cbranch_vccz .LBB142_2238
; %bb.2219:
	v_mov_b32_e32 v0, 0x80
	v_cmp_lt_i16_sdwa s[0:1], s11, v0 src0_sel:BYTE_0 src1_sel:DWORD
	s_and_b64 vcc, exec, s[0:1]
	s_cbranch_vccnz .LBB142_2230
; %bb.2220:
	v_cmp_eq_u16_sdwa s[0:1], s11, v0 src0_sel:BYTE_0 src1_sel:DWORD
	s_and_b64 vcc, exec, s[0:1]
	s_cbranch_vccz .LBB142_2231
; %bb.2221:
	s_mov_b64 s[0:1], 0
	s_mov_b32 s3, 0x7ff80000
	s_brev_b32 s2, 4
	s_branch .LBB142_2232
.LBB142_2222:
	s_mov_b64 s[2:3], -1
	s_mov_b64 s[0:1], 0
                                        ; implicit-def: $sgpr4
	s_branch .LBB142_2225
.LBB142_2223:
	s_mov_b64 s[0:1], -1
                                        ; implicit-def: $sgpr4
.LBB142_2224:
	s_mov_b64 s[2:3], 0
.LBB142_2225:
	s_and_b64 vcc, exec, s[2:3]
	v_mov_b32_e32 v0, s4
	s_cbranch_vccz .LBB142_2227
; %bb.2226:
	s_mov_b32 s0, 0xffff
	v_mov_b32_e32 v0, s11
	v_mov_b32_e32 v1, 0
	v_and_b32_sdwa v0, s0, v0 dst_sel:DWORD dst_unused:UNUSED_PAD src0_sel:DWORD src1_sel:BYTE_0
	v_cmp_ne_u16_sdwa s[0:1], s11, v1 src0_sel:BYTE_0 src1_sel:DWORD
.LBB142_2227:
	s_andn2_b64 vcc, exec, s[0:1]
	s_cbranch_vccnz .LBB142_2229
; %bb.2228:
	s_and_b32 s1, s11, 7
	s_flbit_i32_b32 s3, s1
	s_min_u32 s3, s3, 32
	v_lshrrev_b16_e64 v0, 3, s11
	s_sub_i32 s4, s3, 28
	v_readfirstlane_b32 s2, v0
	s_lshl_b32 s4, s11, s4
	s_lshl_b32 s0, s11, 24
	s_and_b32 s2, s2, 15
	s_sub_i32 s3, 29, s3
	s_and_b32 s4, s4, 7
	s_cmp_eq_u32 s2, 0
	s_cselect_b32 s2, s3, s2
	s_cselect_b32 s1, s4, s1
	s_lshl_b32 s2, s2, 23
	s_and_b32 s0, s0, 0x80000000
	s_add_i32 s2, s2, 0x3b800000
	s_lshl_b32 s1, s1, 20
	s_or_b32 s0, s0, s2
	s_or_b32 s0, s0, s1
	v_cvt_f16_f32_e32 v0, s0
.LBB142_2229:
	global_store_dword v[4:5], v0, off
	s_cbranch_execz .LBB142_2217
	s_branch .LBB142_2263
.LBB142_2230:
	s_mov_b64 s[4:5], -1
	s_mov_b64 s[0:1], 0
                                        ; implicit-def: $sgpr2_sgpr3
	s_branch .LBB142_2233
.LBB142_2231:
	s_mov_b64 s[0:1], -1
                                        ; implicit-def: $sgpr2_sgpr3
.LBB142_2232:
	s_mov_b64 s[4:5], 0
.LBB142_2233:
	s_and_b64 vcc, exec, s[4:5]
	s_cbranch_vccz .LBB142_2235
; %bb.2234:
	v_mov_b32_e32 v0, 0
	v_cmp_ne_u16_sdwa s[0:1], s11, v0 src0_sel:BYTE_0 src1_sel:DWORD
	s_mov_b64 s[2:3], 0
.LBB142_2235:
	s_andn2_b64 vcc, exec, s[0:1]
	v_pk_mov_b32 v[0:1], s[2:3], s[2:3] op_sel:[0,1]
	s_cbranch_vccnz .LBB142_2237
; %bb.2236:
	s_and_b32 s1, s11, 7
	s_flbit_i32_b32 s3, s1
	s_min_u32 s3, s3, 32
	v_lshrrev_b16_e64 v0, 3, s11
	s_sub_i32 s4, s3, 28
	v_readfirstlane_b32 s2, v0
	s_lshl_b32 s4, s11, s4
	s_lshl_b32 s0, s11, 24
	s_and_b32 s2, s2, 15
	s_sub_i32 s3, 29, s3
	s_and_b32 s4, s4, 7
	s_cmp_eq_u32 s2, 0
	s_cselect_b32 s2, s3, s2
	s_cselect_b32 s1, s4, s1
	s_lshl_b32 s2, s2, 23
	s_and_b32 s0, s0, 0x80000000
	s_add_i32 s2, s2, 0x3b800000
	s_lshl_b32 s1, s1, 20
	s_or_b32 s0, s0, s2
	s_or_b32 s0, s0, s1
	v_cvt_f64_f32_e32 v[0:1], s0
.LBB142_2237:
	global_store_dwordx2 v[4:5], v[0:1], off
	s_mov_b64 s[0:1], 0
.LBB142_2238:
	s_and_b64 vcc, exec, s[0:1]
	s_cbranch_vccz .LBB142_2250
; %bb.2239:
	v_mov_b32_e32 v0, 0x80
	v_cmp_lt_i16_sdwa s[0:1], s11, v0 src0_sel:BYTE_0 src1_sel:DWORD
	s_and_b64 vcc, exec, s[0:1]
	s_cbranch_vccnz .LBB142_2242
; %bb.2240:
	v_cmp_eq_u16_sdwa s[0:1], s11, v0 src0_sel:BYTE_0 src1_sel:DWORD
	s_and_b64 vcc, exec, s[0:1]
	s_cbranch_vccz .LBB142_2243
; %bb.2241:
	s_mov_b64 s[0:1], 0
	s_mov_b32 s4, 0x7f800001
	s_branch .LBB142_2244
.LBB142_2242:
	s_mov_b64 s[2:3], -1
	s_mov_b64 s[0:1], 0
                                        ; implicit-def: $sgpr4
	s_branch .LBB142_2245
.LBB142_2243:
	s_mov_b64 s[0:1], -1
                                        ; implicit-def: $sgpr4
.LBB142_2244:
	s_mov_b64 s[2:3], 0
.LBB142_2245:
	s_and_b64 vcc, exec, s[2:3]
	v_mov_b32_e32 v0, s4
	s_cbranch_vccz .LBB142_2247
; %bb.2246:
	s_mov_b32 s0, 0xffff
	v_mov_b32_e32 v0, s11
	v_mov_b32_e32 v1, 0
	v_and_b32_sdwa v0, s0, v0 dst_sel:DWORD dst_unused:UNUSED_PAD src0_sel:DWORD src1_sel:BYTE_0
	v_cmp_ne_u16_sdwa s[0:1], s11, v1 src0_sel:BYTE_0 src1_sel:DWORD
.LBB142_2247:
	s_andn2_b64 vcc, exec, s[0:1]
	s_cbranch_vccnz .LBB142_2249
; %bb.2248:
	s_and_b32 s1, s11, 7
	s_flbit_i32_b32 s3, s1
	s_min_u32 s3, s3, 32
	v_lshrrev_b16_e64 v0, 3, s11
	s_sub_i32 s4, s3, 28
	v_readfirstlane_b32 s2, v0
	s_lshl_b32 s4, s11, s4
	s_lshl_b32 s0, s11, 24
	s_and_b32 s2, s2, 15
	s_sub_i32 s3, 29, s3
	s_and_b32 s4, s4, 7
	s_cmp_eq_u32 s2, 0
	s_cselect_b32 s2, s3, s2
	s_cselect_b32 s1, s4, s1
	s_lshl_b32 s2, s2, 23
	s_and_b32 s0, s0, 0x80000000
	s_add_i32 s2, s2, 0x3b800000
	s_lshl_b32 s1, s1, 20
	s_or_b32 s0, s0, s2
	s_or_b32 s0, s0, s1
	v_mov_b32_e32 v0, s0
.LBB142_2249:
	global_store_dword v[4:5], v0, off
.LBB142_2250:
	s_mov_b64 s[0:1], 0
.LBB142_2251:
	s_andn2_b64 vcc, exec, s[0:1]
	s_cbranch_vccnz .LBB142_2263
; %bb.2252:
	v_mov_b32_e32 v0, 0xff
	v_and_b32_e32 v0, s11, v0
	s_movk_i32 s0, 0x80
	v_cmp_gt_i16_e32 vcc, s0, v0
	s_cbranch_vccnz .LBB142_2255
; %bb.2253:
	v_cmp_eq_u16_e32 vcc, s0, v0
	s_cbranch_vccz .LBB142_2256
; %bb.2254:
	s_mov_b64 s[0:1], 0
	s_movk_i32 s4, 0x7e00
	s_branch .LBB142_2257
.LBB142_2255:
	s_mov_b64 s[2:3], -1
	s_mov_b64 s[0:1], 0
                                        ; implicit-def: $sgpr4
	s_branch .LBB142_2258
.LBB142_2256:
	s_mov_b64 s[0:1], -1
                                        ; implicit-def: $sgpr4
.LBB142_2257:
	s_mov_b64 s[2:3], 0
.LBB142_2258:
	s_and_b64 vcc, exec, s[2:3]
	v_mov_b32_e32 v1, s4
	s_cbranch_vccz .LBB142_2260
; %bb.2259:
	v_cmp_ne_u16_e64 s[0:1], 0, v0
	v_mov_b32_e32 v1, v0
.LBB142_2260:
	s_andn2_b64 vcc, exec, s[0:1]
	s_cbranch_vccnz .LBB142_2262
; %bb.2261:
	s_and_b32 s1, s11, 7
	s_flbit_i32_b32 s3, s1
	s_min_u32 s3, s3, 32
	v_lshrrev_b16_e64 v0, 3, s11
	s_sub_i32 s4, s3, 28
	v_readfirstlane_b32 s2, v0
	s_lshl_b32 s4, s11, s4
	s_lshl_b32 s0, s11, 24
	s_and_b32 s2, s2, 15
	s_sub_i32 s3, 29, s3
	s_and_b32 s4, s4, 7
	s_cmp_eq_u32 s2, 0
	s_cselect_b32 s2, s3, s2
	s_cselect_b32 s1, s4, s1
	s_lshl_b32 s2, s2, 23
	s_and_b32 s0, s0, 0x80000000
	s_add_i32 s2, s2, 0x3b800000
	s_lshl_b32 s1, s1, 20
	s_or_b32 s0, s0, s2
	s_or_b32 s0, s0, s1
	v_cvt_f16_f32_e32 v1, s0
.LBB142_2262:
	global_store_short v[4:5], v1, off
.LBB142_2263:
	s_mov_b64 s[0:1], 0
.LBB142_2264:
	s_andn2_b64 vcc, exec, s[0:1]
	s_cbranch_vccnz .LBB142_2311
; %bb.2265:
	v_cmp_gt_i16_e32 vcc, 2, v12
	s_mov_b64 s[0:1], -1
	s_cbranch_vccnz .LBB142_2290
; %bb.2266:
	v_cmp_gt_i16_e32 vcc, 3, v12
	s_cbranch_vccnz .LBB142_2286
; %bb.2267:
	v_cmp_lt_i16_e32 vcc, 3, v12
	s_cbranch_vccz .LBB142_2276
; %bb.2268:
	v_mov_b32_e32 v0, 0x80
	v_cmp_lt_i16_sdwa s[0:1], s11, v0 src0_sel:BYTE_0 src1_sel:DWORD
	s_and_b64 vcc, exec, s[0:1]
	s_cbranch_vccnz .LBB142_2270
; %bb.2269:
	v_cmp_ne_u16_sdwa s[0:1], s11, v0 src0_sel:BYTE_0 src1_sel:DWORD
	s_mov_b64 s[4:5], 0
	s_mov_b64 s[2:3], 0
	s_branch .LBB142_2271
.LBB142_2270:
	s_mov_b64 s[4:5], -1
	s_mov_b64 s[0:1], 0
                                        ; implicit-def: $sgpr2_sgpr3
.LBB142_2271:
	s_andn2_b64 vcc, exec, s[4:5]
	s_cbranch_vccnz .LBB142_2273
; %bb.2272:
	v_mov_b32_e32 v0, 0
	v_cmp_ne_u16_sdwa s[0:1], s11, v0 src0_sel:BYTE_0 src1_sel:DWORD
	s_mov_b64 s[2:3], 0
.LBB142_2273:
	s_andn2_b64 vcc, exec, s[0:1]
	v_pk_mov_b32 v[0:1], s[2:3], s[2:3] op_sel:[0,1]
	s_cbranch_vccnz .LBB142_2275
; %bb.2274:
	s_and_b32 s1, s11, 7
	s_flbit_i32_b32 s3, s1
	s_min_u32 s3, s3, 32
	v_lshrrev_b16_e64 v0, 3, s11
	s_sub_i32 s4, s3, 28
	v_readfirstlane_b32 s2, v0
	s_lshl_b32 s4, s11, s4
	s_lshl_b32 s0, s11, 24
	s_and_b32 s2, s2, 15
	s_sub_i32 s3, 29, s3
	s_and_b32 s4, s4, 7
	s_cmp_eq_u32 s2, 0
	s_cselect_b32 s2, s3, s2
	s_cselect_b32 s1, s4, s1
	s_lshl_b32 s2, s2, 23
	s_and_b32 s0, s0, 0x80000000
	s_add_i32 s2, s2, 0x3b800000
	s_lshl_b32 s1, s1, 20
	s_or_b32 s0, s0, s2
	s_or_b32 s0, s0, s1
	v_trunc_f32_e32 v0, s0
	s_mov_b32 s0, 0x2f800000
	v_mul_f32_e64 v1, |v0|, s0
	v_floor_f32_e32 v1, v1
	s_mov_b32 s0, 0xcf800000
	v_fma_f32 v2, v1, s0, |v0|
	v_cvt_u32_f32_e32 v2, v2
	v_cvt_u32_f32_e32 v1, v1
	v_ashrrev_i32_e32 v3, 31, v0
	v_xor_b32_e32 v0, v2, v3
	v_xor_b32_e32 v1, v1, v3
	v_sub_co_u32_e32 v0, vcc, v0, v3
	v_subb_co_u32_e32 v1, vcc, v1, v3, vcc
.LBB142_2275:
	global_store_dwordx2 v[4:5], v[0:1], off
	s_mov_b64 s[0:1], 0
.LBB142_2276:
	s_and_b64 vcc, exec, s[0:1]
	s_cbranch_vccz .LBB142_2285
; %bb.2277:
	v_mov_b32_e32 v0, 0x80
	v_cmp_lt_i16_sdwa s[0:1], s11, v0 src0_sel:BYTE_0 src1_sel:DWORD
	s_and_b64 vcc, exec, s[0:1]
	s_cbranch_vccnz .LBB142_2279
; %bb.2278:
	v_cmp_ne_u16_sdwa s[0:1], s11, v0 src0_sel:BYTE_0 src1_sel:DWORD
	s_mov_b64 s[2:3], 0
	s_mov_b32 s4, 0
	s_branch .LBB142_2280
.LBB142_2279:
	s_mov_b64 s[2:3], -1
	s_mov_b64 s[0:1], 0
                                        ; implicit-def: $sgpr4
.LBB142_2280:
	s_andn2_b64 vcc, exec, s[2:3]
	s_cbranch_vccnz .LBB142_2282
; %bb.2281:
	v_mov_b32_e32 v0, 0
	s_mov_b32 s4, 0
	v_cmp_ne_u16_sdwa s[0:1], s11, v0 src0_sel:BYTE_0 src1_sel:DWORD
.LBB142_2282:
	s_andn2_b64 vcc, exec, s[0:1]
	v_mov_b32_e32 v0, s4
	s_cbranch_vccnz .LBB142_2284
; %bb.2283:
	s_and_b32 s1, s11, 7
	s_flbit_i32_b32 s3, s1
	s_min_u32 s3, s3, 32
	v_lshrrev_b16_e64 v0, 3, s11
	s_sub_i32 s4, s3, 28
	v_readfirstlane_b32 s2, v0
	s_lshl_b32 s4, s11, s4
	s_lshl_b32 s0, s11, 24
	s_and_b32 s2, s2, 15
	s_sub_i32 s3, 29, s3
	s_and_b32 s4, s4, 7
	s_cmp_eq_u32 s2, 0
	s_cselect_b32 s2, s3, s2
	s_cselect_b32 s1, s4, s1
	s_lshl_b32 s2, s2, 23
	s_and_b32 s0, s0, 0x80000000
	s_add_i32 s2, s2, 0x3b800000
	s_lshl_b32 s1, s1, 20
	s_or_b32 s0, s0, s2
	s_or_b32 s0, s0, s1
	v_cvt_i32_f32_e32 v0, s0
.LBB142_2284:
	global_store_dword v[4:5], v0, off
.LBB142_2285:
	s_mov_b64 s[0:1], 0
.LBB142_2286:
	s_andn2_b64 vcc, exec, s[0:1]
	s_cbranch_vccnz .LBB142_2289
; %bb.2287:
	v_mov_b32_e32 v0, 0x80
	v_cmp_lt_i16_sdwa s[0:1], s11, v0 src0_sel:BYTE_0 src1_sel:DWORD
	s_and_b64 vcc, exec, s[0:1]
	s_cbranch_vccnz .LBB142_2294
; %bb.2288:
	v_cmp_ne_u16_sdwa s[0:1], s11, v0 src0_sel:BYTE_0 src1_sel:DWORD
	s_mov_b64 s[2:3], 0
	s_mov_b32 s4, 0
	s_branch .LBB142_2295
.LBB142_2289:
	s_mov_b64 s[0:1], 0
.LBB142_2290:
	s_andn2_b64 vcc, exec, s[0:1]
	s_cbranch_vccnz .LBB142_2311
.LBB142_2291:
	v_cmp_lt_i16_e32 vcc, 0, v12
	s_mov_b64 s[0:1], -1
	s_cbranch_vccz .LBB142_2306
; %bb.2292:
	v_mov_b32_e32 v0, 0x80
	v_cmp_lt_i16_sdwa s[0:1], s11, v0 src0_sel:BYTE_0 src1_sel:DWORD
	s_and_b64 vcc, exec, s[0:1]
	s_cbranch_vccnz .LBB142_2300
; %bb.2293:
	v_cmp_ne_u16_sdwa s[0:1], s11, v0 src0_sel:BYTE_0 src1_sel:DWORD
	s_mov_b64 s[2:3], 0
	s_mov_b32 s4, 0
	s_branch .LBB142_2301
.LBB142_2294:
	s_mov_b64 s[2:3], -1
	s_mov_b64 s[0:1], 0
                                        ; implicit-def: $sgpr4
.LBB142_2295:
	s_andn2_b64 vcc, exec, s[2:3]
	s_cbranch_vccnz .LBB142_2297
; %bb.2296:
	v_mov_b32_e32 v0, 0
	s_mov_b32 s4, 0
	v_cmp_ne_u16_sdwa s[0:1], s11, v0 src0_sel:BYTE_0 src1_sel:DWORD
.LBB142_2297:
	s_andn2_b64 vcc, exec, s[0:1]
	v_mov_b32_e32 v0, s4
	s_cbranch_vccnz .LBB142_2299
; %bb.2298:
	s_and_b32 s1, s11, 7
	s_flbit_i32_b32 s3, s1
	s_min_u32 s3, s3, 32
	v_lshrrev_b16_e64 v0, 3, s11
	s_sub_i32 s4, s3, 28
	v_readfirstlane_b32 s2, v0
	s_lshl_b32 s4, s11, s4
	s_lshl_b32 s0, s11, 24
	s_and_b32 s2, s2, 15
	s_sub_i32 s3, 29, s3
	s_and_b32 s4, s4, 7
	s_cmp_eq_u32 s2, 0
	s_cselect_b32 s2, s3, s2
	s_cselect_b32 s1, s4, s1
	s_lshl_b32 s2, s2, 23
	s_and_b32 s0, s0, 0x80000000
	s_add_i32 s2, s2, 0x3b800000
	s_lshl_b32 s1, s1, 20
	s_or_b32 s0, s0, s2
	s_or_b32 s0, s0, s1
	v_cvt_i32_f32_e32 v0, s0
.LBB142_2299:
	global_store_short v[4:5], v0, off
	s_cbranch_execnz .LBB142_2311
	s_branch .LBB142_2291
.LBB142_2300:
	s_mov_b64 s[2:3], -1
	s_mov_b64 s[0:1], 0
                                        ; implicit-def: $sgpr4
.LBB142_2301:
	s_andn2_b64 vcc, exec, s[2:3]
	s_cbranch_vccnz .LBB142_2303
; %bb.2302:
	v_mov_b32_e32 v0, 0
	s_mov_b32 s4, 0
	v_cmp_ne_u16_sdwa s[0:1], s11, v0 src0_sel:BYTE_0 src1_sel:DWORD
.LBB142_2303:
	s_andn2_b64 vcc, exec, s[0:1]
	v_mov_b32_e32 v0, s4
	s_cbranch_vccnz .LBB142_2305
; %bb.2304:
	s_and_b32 s1, s11, 7
	s_flbit_i32_b32 s3, s1
	s_min_u32 s3, s3, 32
	v_lshrrev_b16_e64 v0, 3, s11
	s_sub_i32 s4, s3, 28
	v_readfirstlane_b32 s2, v0
	s_lshl_b32 s4, s11, s4
	s_lshl_b32 s0, s11, 24
	s_and_b32 s2, s2, 15
	s_sub_i32 s3, 29, s3
	s_and_b32 s4, s4, 7
	s_cmp_eq_u32 s2, 0
	s_cselect_b32 s2, s3, s2
	s_cselect_b32 s1, s4, s1
	s_lshl_b32 s2, s2, 23
	s_and_b32 s0, s0, 0x80000000
	s_add_i32 s2, s2, 0x3b800000
	s_lshl_b32 s1, s1, 20
	s_or_b32 s0, s0, s2
	s_or_b32 s0, s0, s1
	v_cvt_i32_f32_e32 v0, s0
.LBB142_2305:
	global_store_byte v[4:5], v0, off
	s_mov_b64 s[0:1], 0
.LBB142_2306:
	s_and_b64 vcc, exec, s[0:1]
	s_cbranch_vccz .LBB142_2311
; %bb.2307:
	v_mov_b32_e32 v0, 0x80
	v_cmp_lt_i16_sdwa s[0:1], s11, v0 src0_sel:BYTE_0 src1_sel:DWORD
	s_and_b64 vcc, exec, s[0:1]
	s_cbranch_vccnz .LBB142_2312
; %bb.2308:
	v_cmp_ne_u16_sdwa s[0:1], s11, v0 src0_sel:BYTE_0 src1_sel:DWORD
	s_mov_b32 s4, 0
	s_cbranch_execz .LBB142_2313
; %bb.2309:
	s_andn2_b64 vcc, exec, s[0:1]
	v_mov_b32_e32 v0, s4
	s_cbranch_vccnz .LBB142_2314
.LBB142_2310:
	s_and_b32 s1, s11, 7
	s_flbit_i32_b32 s3, s1
	s_min_u32 s3, s3, 32
	v_lshrrev_b16_e64 v0, 3, s11
	s_sub_i32 s4, s3, 28
	v_readfirstlane_b32 s2, v0
	s_lshl_b32 s4, s11, s4
	s_lshl_b32 s0, s11, 24
	s_and_b32 s2, s2, 15
	s_sub_i32 s3, 29, s3
	s_and_b32 s4, s4, 7
	s_cmp_eq_u32 s2, 0
	s_cselect_b32 s2, s3, s2
	s_cselect_b32 s1, s4, s1
	s_lshl_b32 s2, s2, 23
	s_and_b32 s0, s0, 0x80000000
	s_add_i32 s2, s2, 0x3b800000
	s_lshl_b32 s1, s1, 20
	s_or_b32 s0, s0, s2
	s_or_b32 s0, s0, s1
	v_trunc_f32_e32 v0, s0
	s_mov_b32 s0, 0x2f800000
	v_mul_f32_e64 v1, |v0|, s0
	v_floor_f32_e32 v1, v1
	s_mov_b32 s0, 0xcf800000
	v_fma_f32 v1, v1, s0, |v0|
	v_cvt_u32_f32_e32 v1, v1
	v_ashrrev_i32_e32 v0, 31, v0
	v_xor_b32_e32 v1, v1, v0
	v_sub_u32_e32 v0, v1, v0
	global_store_byte v[4:5], v0, off
	s_endpgm
.LBB142_2311:
	s_endpgm
.LBB142_2312:
	s_mov_b64 s[0:1], 0
                                        ; implicit-def: $sgpr4
.LBB142_2313:
	v_mov_b32_e32 v0, 0
	s_mov_b32 s4, 0
	v_cmp_ne_u16_sdwa s[0:1], s11, v0 src0_sel:BYTE_0 src1_sel:DWORD
	s_andn2_b64 vcc, exec, s[0:1]
	v_mov_b32_e32 v0, s4
	s_cbranch_vccz .LBB142_2310
.LBB142_2314:
	global_store_byte v[4:5], v0, off
	s_endpgm
.LBB142_2315:
	s_mov_b64 s[0:1], -1
                                        ; implicit-def: $sgpr10
.LBB142_2316:
	s_mov_b64 s[12:13], 0
.LBB142_2317:
	s_and_b64 vcc, exec, s[12:13]
	s_cbranch_vccz .LBB142_2319
; %bb.2318:
	v_mov_b32_e32 v0, 0
	s_mov_b32 s10, 0
	v_cmp_ne_u16_sdwa s[0:1], s11, v0 src0_sel:BYTE_0 src1_sel:DWORD
.LBB142_2319:
	s_andn2_b64 vcc, exec, s[0:1]
	s_cbranch_vccnz .LBB142_2321
; %bb.2320:
	s_and_b32 s1, s11, 7
	s_flbit_i32_b32 s12, s1
	s_min_u32 s12, s12, 32
	v_lshrrev_b16_e64 v0, 3, s11
	s_sub_i32 s13, s12, 28
	v_readfirstlane_b32 s10, v0
	s_lshl_b32 s13, s11, s13
	s_lshl_b32 s0, s11, 24
	s_and_b32 s10, s10, 15
	s_sub_i32 s12, 29, s12
	s_and_b32 s13, s13, 7
	s_cmp_eq_u32 s10, 0
	s_cselect_b32 s10, s12, s10
	s_cselect_b32 s1, s13, s1
	s_lshl_b32 s10, s10, 23
	s_and_b32 s0, s0, 0x80000000
	s_add_i32 s10, s10, 0x3b800000
	s_lshl_b32 s1, s1, 20
	s_or_b32 s0, s0, s10
	s_or_b32 s10, s0, s1
.LBB142_2321:
	s_bfe_u32 s0, s10, 0x10010
	s_add_i32 s0, s10, s0
	s_addk_i32 s0, 0x7fff
	s_lshr_b32 s12, s0, 16
	v_cmp_o_f32_e64 s[0:1], s10, s10
	s_and_b64 s[0:1], s[0:1], exec
	s_cselect_b32 s0, s12, 0x7fc0
	v_mov_b32_e32 v0, s0
	global_store_dword v[4:5], v0, off
	s_mov_b64 s[0:1], 0
.LBB142_2322:
	s_mov_b64 s[12:13], 0
.LBB142_2323:
	s_and_b64 vcc, exec, s[12:13]
	s_cbranch_vccz .LBB142_2336
; %bb.2324:
	v_cmp_eq_u16_e32 vcc, 44, v12
	s_mov_b64 s[0:1], -1
	s_cbranch_vccz .LBB142_2336
; %bb.2325:
	v_mov_b32_e32 v0, 0xff
	v_and_b32_e32 v0, s11, v0
	s_movk_i32 s0, 0x80
	v_cmp_gt_i16_e32 vcc, s0, v0
	v_readfirstlane_b32 s14, v0
	s_cbranch_vccnz .LBB142_2328
; %bb.2326:
	v_mov_b32_e32 v0, 0x80
	v_cmp_eq_u16_e32 vcc, s14, v0
	s_cbranch_vccz .LBB142_2329
; %bb.2327:
	s_mov_b64 s[0:1], 0
	s_mov_b32 s10, 0x7f800001
	s_branch .LBB142_2330
.LBB142_2328:
	s_mov_b64 s[12:13], -1
	s_mov_b64 s[0:1], 0
                                        ; implicit-def: $sgpr10
	s_branch .LBB142_2331
.LBB142_2329:
	s_mov_b64 s[0:1], -1
                                        ; implicit-def: $sgpr10
.LBB142_2330:
	s_mov_b64 s[12:13], 0
.LBB142_2331:
	s_and_b64 vcc, exec, s[12:13]
	s_cbranch_vccz .LBB142_2341
; %bb.2332:
	s_and_b32 s10, 0xffff, s14
	v_cmp_ne_u16_e64 s[0:1], s14, 0
	s_andn2_b64 vcc, exec, s[0:1]
	s_cbranch_vccz .LBB142_2342
.LBB142_2333:
	s_bfe_u32 s0, s10, 0x80017
	s_cmpk_eq_i32 s0, 0xff
	v_mov_b32_e32 v0, 0xff
	s_cbranch_scc1 .LBB142_2335
.LBB142_2334:
	s_lshr_b32 s14, s10, 23
	s_bitcmp1_b32 s10, 22
	s_cselect_b64 s[12:13], -1, 0
	s_and_b32 s1, s10, 0x3fffff
	s_or_b32 s0, s0, s1
	s_cmp_lg_u32 s0, 0
	s_cselect_b64 s[0:1], -1, 0
	s_and_b64 s[0:1], s[12:13], s[0:1]
	v_cndmask_b32_e64 v0, 0, 1, s[0:1]
	v_add_u32_e32 v0, s14, v0
.LBB142_2335:
	global_store_byte v[4:5], v0, off
	s_mov_b64 s[0:1], 0
.LBB142_2336:
	s_mov_b64 s[12:13], 0
.LBB142_2337:
	s_and_b64 vcc, exec, s[12:13]
	s_cbranch_vccz .LBB142_2349
; %bb.2338:
	v_cmp_eq_u16_e32 vcc, 29, v12
	s_mov_b64 s[0:1], -1
	s_cbranch_vccz .LBB142_2349
; %bb.2339:
	v_mov_b32_e32 v0, 0x80
	v_cmp_lt_i16_sdwa s[0:1], s11, v0 src0_sel:BYTE_0 src1_sel:DWORD
	s_and_b64 vcc, exec, s[0:1]
	s_cbranch_vccnz .LBB142_2343
; %bb.2340:
	v_cmp_ne_u16_sdwa s[0:1], s11, v0 src0_sel:BYTE_0 src1_sel:DWORD
	s_mov_b64 s[14:15], 0
	s_mov_b64 s[12:13], 0
	s_branch .LBB142_2344
.LBB142_2341:
	s_andn2_b64 vcc, exec, s[0:1]
	s_cbranch_vccnz .LBB142_2333
.LBB142_2342:
	s_and_b32 s0, s11, 7
	s_flbit_i32_b32 s10, s0
	s_min_u32 s10, s10, 32
	v_lshrrev_b16_e64 v0, 3, s11
	s_sub_i32 s12, s10, 28
	v_readfirstlane_b32 s1, v0
	s_lshl_b32 s12, s11, s12
	s_and_b32 s1, s1, 15
	s_sub_i32 s10, 29, s10
	s_and_b32 s12, s12, 7
	s_cmp_eq_u32 s1, 0
	s_cselect_b32 s1, s10, s1
	s_cselect_b32 s0, s12, s0
	s_lshl_b32 s0, s0, 20
	s_lshl_b32 s1, s1, 23
	s_or_b32 s0, s1, s0
	s_add_i32 s10, s0, 0x3b800000
	s_bfe_u32 s0, s10, 0x80017
	s_cmpk_eq_i32 s0, 0xff
	v_mov_b32_e32 v0, 0xff
	s_cbranch_scc0 .LBB142_2334
	s_branch .LBB142_2335
.LBB142_2343:
	s_mov_b64 s[14:15], -1
	s_mov_b64 s[0:1], 0
                                        ; implicit-def: $sgpr12_sgpr13
.LBB142_2344:
	s_andn2_b64 vcc, exec, s[14:15]
	s_cbranch_vccnz .LBB142_2346
; %bb.2345:
	v_mov_b32_e32 v0, 0
	v_cmp_ne_u16_sdwa s[0:1], s11, v0 src0_sel:BYTE_0 src1_sel:DWORD
	s_mov_b64 s[12:13], 0
.LBB142_2346:
	s_andn2_b64 vcc, exec, s[0:1]
	v_pk_mov_b32 v[0:1], s[12:13], s[12:13] op_sel:[0,1]
	s_cbranch_vccnz .LBB142_2348
; %bb.2347:
	s_and_b32 s1, s11, 7
	s_flbit_i32_b32 s12, s1
	s_min_u32 s12, s12, 32
	v_lshrrev_b16_e64 v0, 3, s11
	s_sub_i32 s13, s12, 28
	v_readfirstlane_b32 s10, v0
	s_lshl_b32 s13, s11, s13
	s_lshl_b32 s0, s11, 24
	s_and_b32 s10, s10, 15
	s_sub_i32 s12, 29, s12
	s_and_b32 s13, s13, 7
	s_cmp_eq_u32 s10, 0
	s_cselect_b32 s10, s12, s10
	s_cselect_b32 s1, s13, s1
	s_lshl_b32 s10, s10, 23
	s_and_b32 s0, s0, 0x80000000
	s_add_i32 s10, s10, 0x3b800000
	s_lshl_b32 s1, s1, 20
	s_or_b32 s0, s0, s10
	s_or_b32 s0, s0, s1
	v_trunc_f32_e32 v0, s0
	v_mul_f32_e32 v1, 0x2f800000, v0
	v_floor_f32_e32 v1, v1
	v_fmac_f32_e32 v0, 0xcf800000, v1
	v_cvt_u32_f32_e32 v0, v0
	v_cvt_u32_f32_e32 v1, v1
.LBB142_2348:
	global_store_dwordx2 v[4:5], v[0:1], off
	s_mov_b64 s[0:1], 0
.LBB142_2349:
	s_mov_b64 s[12:13], 0
.LBB142_2350:
	s_and_b64 vcc, exec, s[12:13]
	s_cbranch_vccz .LBB142_2373
; %bb.2351:
	v_cmp_gt_i16_e32 vcc, 27, v12
	s_mov_b64 s[12:13], -1
	s_cbranch_vccnz .LBB142_2371
; %bb.2352:
	v_cmp_lt_i16_e32 vcc, 27, v12
	s_cbranch_vccz .LBB142_2361
; %bb.2353:
	v_mov_b32_e32 v0, 0x80
	v_cmp_lt_i16_sdwa s[12:13], s11, v0 src0_sel:BYTE_0 src1_sel:DWORD
	s_and_b64 vcc, exec, s[12:13]
	s_cbranch_vccnz .LBB142_2355
; %bb.2354:
	v_cmp_ne_u16_sdwa s[12:13], s11, v0 src0_sel:BYTE_0 src1_sel:DWORD
	s_mov_b64 s[14:15], 0
	s_mov_b32 s10, 0
	s_branch .LBB142_2356
.LBB142_2355:
	s_mov_b64 s[14:15], -1
	s_mov_b64 s[12:13], 0
                                        ; implicit-def: $sgpr10
.LBB142_2356:
	s_andn2_b64 vcc, exec, s[14:15]
	s_cbranch_vccnz .LBB142_2358
; %bb.2357:
	v_mov_b32_e32 v0, 0
	s_mov_b32 s10, 0
	v_cmp_ne_u16_sdwa s[12:13], s11, v0 src0_sel:BYTE_0 src1_sel:DWORD
.LBB142_2358:
	s_andn2_b64 vcc, exec, s[12:13]
	v_mov_b32_e32 v0, s10
	s_cbranch_vccnz .LBB142_2360
; %bb.2359:
	s_and_b32 s12, s11, 7
	s_flbit_i32_b32 s14, s12
	s_min_u32 s14, s14, 32
	v_lshrrev_b16_e64 v0, 3, s11
	s_sub_i32 s15, s14, 28
	v_readfirstlane_b32 s13, v0
	s_lshl_b32 s15, s11, s15
	s_lshl_b32 s10, s11, 24
	s_and_b32 s13, s13, 15
	s_sub_i32 s14, 29, s14
	s_and_b32 s15, s15, 7
	s_cmp_eq_u32 s13, 0
	s_cselect_b32 s13, s14, s13
	s_cselect_b32 s12, s15, s12
	s_lshl_b32 s13, s13, 23
	s_and_b32 s10, s10, 0x80000000
	s_add_i32 s13, s13, 0x3b800000
	s_lshl_b32 s12, s12, 20
	s_or_b32 s10, s10, s13
	s_or_b32 s10, s10, s12
	v_cvt_u32_f32_e32 v0, s10
.LBB142_2360:
	global_store_dword v[4:5], v0, off
	s_mov_b64 s[12:13], 0
.LBB142_2361:
	s_and_b64 vcc, exec, s[12:13]
	s_cbranch_vccz .LBB142_2370
; %bb.2362:
	v_mov_b32_e32 v0, 0x80
	v_cmp_lt_i16_sdwa s[12:13], s11, v0 src0_sel:BYTE_0 src1_sel:DWORD
	s_and_b64 vcc, exec, s[12:13]
	s_cbranch_vccnz .LBB142_2364
; %bb.2363:
	v_cmp_ne_u16_sdwa s[12:13], s11, v0 src0_sel:BYTE_0 src1_sel:DWORD
	s_mov_b64 s[14:15], 0
	s_mov_b32 s10, 0
	s_branch .LBB142_2365
.LBB142_2364:
	s_mov_b64 s[14:15], -1
	s_mov_b64 s[12:13], 0
                                        ; implicit-def: $sgpr10
.LBB142_2365:
	s_andn2_b64 vcc, exec, s[14:15]
	s_cbranch_vccnz .LBB142_2367
; %bb.2366:
	v_mov_b32_e32 v0, 0
	s_mov_b32 s10, 0
	v_cmp_ne_u16_sdwa s[12:13], s11, v0 src0_sel:BYTE_0 src1_sel:DWORD
.LBB142_2367:
	s_andn2_b64 vcc, exec, s[12:13]
	v_mov_b32_e32 v0, s10
	s_cbranch_vccnz .LBB142_2369
; %bb.2368:
	s_and_b32 s12, s11, 7
	s_flbit_i32_b32 s14, s12
	s_min_u32 s14, s14, 32
	v_lshrrev_b16_e64 v0, 3, s11
	s_sub_i32 s15, s14, 28
	v_readfirstlane_b32 s13, v0
	s_lshl_b32 s15, s11, s15
	s_lshl_b32 s10, s11, 24
	s_and_b32 s13, s13, 15
	s_sub_i32 s14, 29, s14
	s_and_b32 s15, s15, 7
	s_cmp_eq_u32 s13, 0
	s_cselect_b32 s13, s14, s13
	s_cselect_b32 s12, s15, s12
	s_lshl_b32 s13, s13, 23
	s_and_b32 s10, s10, 0x80000000
	s_add_i32 s13, s13, 0x3b800000
	s_lshl_b32 s12, s12, 20
	s_or_b32 s10, s10, s13
	s_or_b32 s10, s10, s12
	v_cvt_u32_f32_e32 v0, s10
.LBB142_2369:
	global_store_short v[4:5], v0, off
.LBB142_2370:
	s_mov_b64 s[12:13], 0
.LBB142_2371:
	s_andn2_b64 vcc, exec, s[12:13]
	s_cbranch_vccnz .LBB142_2373
; %bb.2372:
	v_mov_b32_e32 v0, s11
	global_store_byte v[4:5], v0, off
.LBB142_2373:
	s_mov_b64 s[12:13], 0
.LBB142_2374:
	s_and_b64 vcc, exec, s[12:13]
	s_cbranch_vccz .LBB142_2460
; %bb.2375:
	v_cmp_lt_i16_e32 vcc, 22, v12
	s_mov_b64 s[8:9], -1
	s_cbranch_vccz .LBB142_2443
; %bb.2376:
	v_cmp_gt_i16_e32 vcc, 24, v12
	s_cbranch_vccnz .LBB142_2420
; %bb.2377:
	v_cmp_lt_i16_e32 vcc, 24, v12
	s_cbranch_vccz .LBB142_2397
; %bb.2378:
	v_mov_b32_e32 v0, 0x80
	v_cmp_lt_i16_sdwa s[8:9], s11, v0 src0_sel:BYTE_0 src1_sel:DWORD
	s_and_b64 vcc, exec, s[8:9]
	s_cbranch_vccnz .LBB142_2381
; %bb.2379:
	v_cmp_eq_u16_sdwa s[8:9], s11, v0 src0_sel:BYTE_0 src1_sel:DWORD
	s_and_b64 vcc, exec, s[8:9]
	s_cbranch_vccz .LBB142_2382
; %bb.2380:
	s_mov_b64 s[8:9], 0
	s_mov_b32 s10, 0x7f800001
	s_branch .LBB142_2383
.LBB142_2381:
	s_mov_b64 s[12:13], -1
	s_mov_b64 s[8:9], 0
                                        ; implicit-def: $sgpr10
	s_branch .LBB142_2384
.LBB142_2382:
	s_mov_b64 s[8:9], -1
                                        ; implicit-def: $sgpr10
.LBB142_2383:
	s_mov_b64 s[12:13], 0
.LBB142_2384:
	s_and_b64 vcc, exec, s[12:13]
	s_cbranch_vccz .LBB142_2387
; %bb.2385:
	v_mov_b32_e32 v0, 0
	s_mov_b32 s10, 0
	v_cmp_ne_u16_sdwa s[8:9], s11, v0 src0_sel:BYTE_0 src1_sel:DWORD
	s_andn2_b64 vcc, exec, s[8:9]
	s_cbranch_vccz .LBB142_2388
.LBB142_2386:
	s_and_b32 s8, s10, 0x7fffffff
	s_cmp_gt_u32 s8, 0x477fffff
	v_mov_b32_e32 v1, 0x80
	s_cbranch_scc0 .LBB142_2389
	s_branch .LBB142_2396
.LBB142_2387:
	s_andn2_b64 vcc, exec, s[8:9]
	s_cbranch_vccnz .LBB142_2386
.LBB142_2388:
	s_and_b32 s9, s11, 7
	s_flbit_i32_b32 s12, s9
	s_min_u32 s12, s12, 32
	v_lshrrev_b16_e64 v0, 3, s11
	s_sub_i32 s13, s12, 28
	v_readfirstlane_b32 s10, v0
	s_lshl_b32 s13, s11, s13
	s_lshl_b32 s8, s11, 24
	s_and_b32 s10, s10, 15
	s_sub_i32 s12, 29, s12
	s_and_b32 s13, s13, 7
	s_cmp_eq_u32 s10, 0
	s_cselect_b32 s10, s12, s10
	s_cselect_b32 s9, s13, s9
	s_lshl_b32 s10, s10, 23
	s_and_b32 s8, s8, 0x80000000
	s_add_i32 s10, s10, 0x3b800000
	s_lshl_b32 s9, s9, 20
	s_or_b32 s8, s8, s10
	s_or_b32 s10, s8, s9
	s_and_b32 s8, s10, 0x7fffffff
	s_cmp_gt_u32 s8, 0x477fffff
	v_mov_b32_e32 v1, 0x80
	s_cbranch_scc1 .LBB142_2396
.LBB142_2389:
	s_cmp_gt_u32 s8, 0x37ffffff
	s_cbranch_scc0 .LBB142_2391
; %bb.2390:
	s_bfe_u32 s8, s10, 0x10015
	s_add_i32 s8, s10, s8
	s_add_i32 s8, s8, 0x88fffff
	s_lshr_b32 s14, s8, 21
	s_mov_b64 s[12:13], 0
	s_mov_b64 s[8:9], -1
	s_branch .LBB142_2392
.LBB142_2391:
	s_mov_b64 s[12:13], -1
	s_mov_b64 s[8:9], 0
                                        ; implicit-def: $sgpr14
.LBB142_2392:
	s_andn2_b64 vcc, exec, s[12:13]
	v_mov_b32_e32 v0, s14
                                        ; implicit-def: $sgpr12
	s_cbranch_vccnz .LBB142_2394
; %bb.2393:
	v_mov_b32_e32 v0, 0x42800000
	v_add_f32_e64 v0, |s10|, v0
	v_and_b32_e32 v0, 0xff, v0
	s_mov_b32 s12, 0
	v_cmp_ne_u32_e64 s[8:9], 0, v0
.LBB142_2394:
	s_andn2_b64 vcc, exec, s[8:9]
	v_mov_b32_e32 v1, s12
	s_cbranch_vccnz .LBB142_2396
; %bb.2395:
	s_lshr_b32 s8, s10, 24
	s_and_b32 s8, s8, 0x80
	v_or_b32_e32 v1, s8, v0
.LBB142_2396:
	global_store_byte v[4:5], v1, off
	s_mov_b64 s[8:9], 0
.LBB142_2397:
	s_and_b64 vcc, exec, s[8:9]
	s_cbranch_vccz .LBB142_2419
; %bb.2398:
	v_mov_b32_e32 v0, 0x80
	v_cmp_lt_i16_sdwa s[8:9], s11, v0 src0_sel:BYTE_0 src1_sel:DWORD
	s_and_b64 vcc, exec, s[8:9]
	s_cbranch_vccnz .LBB142_2401
; %bb.2399:
	v_cmp_eq_u16_sdwa s[8:9], s11, v0 src0_sel:BYTE_0 src1_sel:DWORD
	s_and_b64 vcc, exec, s[8:9]
	s_cbranch_vccz .LBB142_2402
; %bb.2400:
	s_mov_b64 s[8:9], 0
	s_mov_b32 s10, 0x7f800001
	s_branch .LBB142_2403
.LBB142_2401:
	s_mov_b64 s[12:13], -1
	s_mov_b64 s[8:9], 0
                                        ; implicit-def: $sgpr10
	s_branch .LBB142_2404
.LBB142_2402:
	s_mov_b64 s[8:9], -1
                                        ; implicit-def: $sgpr10
.LBB142_2403:
	s_mov_b64 s[12:13], 0
.LBB142_2404:
	s_and_b64 vcc, exec, s[12:13]
	s_cbranch_vccz .LBB142_2409
; %bb.2405:
	v_mov_b32_e32 v0, 0
	s_mov_b32 s10, 0
	v_cmp_ne_u16_sdwa s[8:9], s11, v0 src0_sel:BYTE_0 src1_sel:DWORD
	s_andn2_b64 vcc, exec, s[8:9]
	s_cbranch_vccz .LBB142_2410
.LBB142_2406:
	s_and_b32 s12, s10, 0x7fffffff
	s_cmp_lt_u32 s12, 0x43f00000
	s_cbranch_scc0 .LBB142_2411
.LBB142_2407:
	s_cmp_gt_u32 s12, 0x3c7fffff
	s_cbranch_scc0 .LBB142_2412
; %bb.2408:
	s_bfe_u32 s8, s10, 0x10014
	s_add_i32 s8, s10, s8
	s_add_i32 s8, s8, 0x407ffff
	s_lshr_b32 s9, s8, 20
	s_and_b32 s8, s8, 0xff00000
	s_cmp_lg_u32 s8, 0x7f00000
	s_cselect_b32 s13, s9, 0x7e
	s_mov_b64 s[8:9], 0
	s_branch .LBB142_2413
.LBB142_2409:
	s_andn2_b64 vcc, exec, s[8:9]
	s_cbranch_vccnz .LBB142_2406
.LBB142_2410:
	s_and_b32 s9, s11, 7
	s_flbit_i32_b32 s12, s9
	s_min_u32 s12, s12, 32
	v_lshrrev_b16_e64 v0, 3, s11
	s_sub_i32 s13, s12, 28
	v_readfirstlane_b32 s10, v0
	s_lshl_b32 s13, s11, s13
	s_lshl_b32 s8, s11, 24
	s_and_b32 s10, s10, 15
	s_sub_i32 s12, 29, s12
	s_and_b32 s13, s13, 7
	s_cmp_eq_u32 s10, 0
	s_cselect_b32 s10, s12, s10
	s_cselect_b32 s9, s13, s9
	s_lshl_b32 s10, s10, 23
	s_and_b32 s8, s8, 0x80000000
	s_add_i32 s10, s10, 0x3b800000
	s_lshl_b32 s9, s9, 20
	s_or_b32 s8, s8, s10
	s_or_b32 s10, s8, s9
	s_and_b32 s12, s10, 0x7fffffff
	s_cmp_lt_u32 s12, 0x43f00000
	s_cbranch_scc1 .LBB142_2407
.LBB142_2411:
	s_mov_b64 s[8:9], -1
                                        ; implicit-def: $vgpr0
	s_branch .LBB142_2416
.LBB142_2412:
	s_mov_b64 s[8:9], -1
                                        ; implicit-def: $sgpr13
.LBB142_2413:
	s_andn2_b64 vcc, exec, s[8:9]
	v_mov_b32_e32 v0, s13
	s_cbranch_vccnz .LBB142_2415
; %bb.2414:
	v_mov_b32_e32 v0, 0x46800000
	v_add_f32_e64 v0, |s10|, v0
.LBB142_2415:
	s_mov_b64 s[8:9], 0
.LBB142_2416:
	s_andn2_b64 vcc, exec, s[8:9]
	s_cbranch_vccnz .LBB142_2418
; %bb.2417:
	s_cmp_gt_u32 s12, 0x7f800000
	s_movk_i32 s8, 0x7f
	s_cselect_b32 s8, s8, 0x7e
	v_mov_b32_e32 v0, s8
.LBB142_2418:
	s_lshr_b32 s8, s10, 24
	s_and_b32 s8, s8, 0x80
	v_or_b32_e32 v0, s8, v0
	global_store_byte v[4:5], v0, off
.LBB142_2419:
	s_mov_b64 s[8:9], 0
.LBB142_2420:
	s_andn2_b64 vcc, exec, s[8:9]
	s_cbranch_vccnz .LBB142_2442
; %bb.2421:
	v_mov_b32_e32 v0, 0x80
	v_cmp_lt_i16_sdwa s[8:9], s11, v0 src0_sel:BYTE_0 src1_sel:DWORD
	s_and_b64 vcc, exec, s[8:9]
	s_cbranch_vccnz .LBB142_2424
; %bb.2422:
	v_cmp_eq_u16_sdwa s[8:9], s11, v0 src0_sel:BYTE_0 src1_sel:DWORD
	s_and_b64 vcc, exec, s[8:9]
	s_cbranch_vccz .LBB142_2425
; %bb.2423:
	s_mov_b64 s[8:9], 0
	s_mov_b32 s10, 0x7f800001
	s_branch .LBB142_2426
.LBB142_2424:
	s_mov_b64 s[12:13], -1
	s_mov_b64 s[8:9], 0
                                        ; implicit-def: $sgpr10
	s_branch .LBB142_2427
.LBB142_2425:
	s_mov_b64 s[8:9], -1
                                        ; implicit-def: $sgpr10
.LBB142_2426:
	s_mov_b64 s[12:13], 0
.LBB142_2427:
	s_and_b64 vcc, exec, s[12:13]
	s_cbranch_vccz .LBB142_2432
; %bb.2428:
	v_mov_b32_e32 v0, 0
	s_mov_b32 s10, 0
	v_cmp_ne_u16_sdwa s[8:9], s11, v0 src0_sel:BYTE_0 src1_sel:DWORD
	s_andn2_b64 vcc, exec, s[8:9]
	s_cbranch_vccz .LBB142_2433
.LBB142_2429:
	s_and_b32 s12, s10, 0x7fffffff
	s_cmp_lt_u32 s12, 0x47800000
	s_cbranch_scc0 .LBB142_2434
.LBB142_2430:
	s_cmp_gt_u32 s12, 0x387fffff
	s_cbranch_scc0 .LBB142_2435
; %bb.2431:
	s_bfe_u32 s8, s10, 0x10015
	s_add_i32 s8, s10, s8
	s_add_i32 s8, s8, 0x80fffff
	s_lshr_b32 s13, s8, 21
	s_mov_b64 s[8:9], 0
	s_branch .LBB142_2436
.LBB142_2432:
	s_andn2_b64 vcc, exec, s[8:9]
	s_cbranch_vccnz .LBB142_2429
.LBB142_2433:
	s_and_b32 s9, s11, 7
	s_flbit_i32_b32 s12, s9
	s_min_u32 s12, s12, 32
	v_lshrrev_b16_e64 v0, 3, s11
	s_sub_i32 s13, s12, 28
	v_readfirstlane_b32 s10, v0
	s_lshl_b32 s13, s11, s13
	s_lshl_b32 s8, s11, 24
	s_and_b32 s10, s10, 15
	s_sub_i32 s12, 29, s12
	s_and_b32 s13, s13, 7
	s_cmp_eq_u32 s10, 0
	s_cselect_b32 s10, s12, s10
	s_cselect_b32 s9, s13, s9
	s_lshl_b32 s10, s10, 23
	s_and_b32 s8, s8, 0x80000000
	s_add_i32 s10, s10, 0x3b800000
	s_lshl_b32 s9, s9, 20
	s_or_b32 s8, s8, s10
	s_or_b32 s10, s8, s9
	s_and_b32 s12, s10, 0x7fffffff
	s_cmp_lt_u32 s12, 0x47800000
	s_cbranch_scc1 .LBB142_2430
.LBB142_2434:
	s_mov_b64 s[8:9], -1
                                        ; implicit-def: $vgpr0
	s_branch .LBB142_2439
.LBB142_2435:
	s_mov_b64 s[8:9], -1
                                        ; implicit-def: $sgpr13
.LBB142_2436:
	s_andn2_b64 vcc, exec, s[8:9]
	v_mov_b32_e32 v0, s13
	s_cbranch_vccnz .LBB142_2438
; %bb.2437:
	v_mov_b32_e32 v0, 0x43000000
	v_add_f32_e64 v0, |s10|, v0
.LBB142_2438:
	s_mov_b64 s[8:9], 0
.LBB142_2439:
	s_andn2_b64 vcc, exec, s[8:9]
	s_cbranch_vccnz .LBB142_2441
; %bb.2440:
	s_cmp_gt_u32 s12, 0x7f800000
	s_movk_i32 s8, 0x7f
	s_cselect_b32 s8, s8, 0x7c
	v_mov_b32_e32 v0, s8
.LBB142_2441:
	s_lshr_b32 s8, s10, 24
	s_and_b32 s8, s8, 0x80
	v_or_b32_e32 v0, s8, v0
	global_store_byte v[4:5], v0, off
.LBB142_2442:
	s_mov_b64 s[8:9], 0
.LBB142_2443:
	s_andn2_b64 vcc, exec, s[8:9]
	s_mov_b64 s[8:9], 0
	s_cbranch_vccnz .LBB142_2460
; %bb.2444:
	v_cmp_lt_i16_e32 vcc, 14, v12
	s_mov_b64 s[12:13], -1
	s_cbranch_vccz .LBB142_2458
; %bb.2445:
	v_cmp_eq_u16_e32 vcc, 15, v12
	s_mov_b64 s[0:1], -1
	s_cbranch_vccz .LBB142_2457
; %bb.2446:
	v_mov_b32_e32 v0, 0x80
	v_cmp_lt_i16_sdwa s[0:1], s11, v0 src0_sel:BYTE_0 src1_sel:DWORD
	s_and_b64 vcc, exec, s[0:1]
	s_cbranch_vccnz .LBB142_2449
; %bb.2447:
	v_cmp_eq_u16_sdwa s[0:1], s11, v0 src0_sel:BYTE_0 src1_sel:DWORD
	s_and_b64 vcc, exec, s[0:1]
	s_cbranch_vccz .LBB142_2450
; %bb.2448:
	s_mov_b64 s[0:1], 0
	s_mov_b32 s10, 0x7f800001
	s_branch .LBB142_2452
.LBB142_2449:
	s_mov_b64 s[8:9], -1
	s_mov_b64 s[0:1], 0
	s_branch .LBB142_2451
.LBB142_2450:
	s_mov_b64 s[0:1], -1
.LBB142_2451:
                                        ; implicit-def: $sgpr10
.LBB142_2452:
	s_and_b64 vcc, exec, s[8:9]
	s_cbranch_vccz .LBB142_2454
; %bb.2453:
	v_mov_b32_e32 v0, 0
	s_mov_b32 s10, 0
	v_cmp_ne_u16_sdwa s[0:1], s11, v0 src0_sel:BYTE_0 src1_sel:DWORD
.LBB142_2454:
	s_andn2_b64 vcc, exec, s[0:1]
	s_cbranch_vccnz .LBB142_2456
; %bb.2455:
	s_and_b32 s1, s11, 7
	s_flbit_i32_b32 s9, s1
	s_min_u32 s9, s9, 32
	v_lshrrev_b16_e64 v0, 3, s11
	s_sub_i32 s10, s9, 28
	v_readfirstlane_b32 s8, v0
	s_lshl_b32 s10, s11, s10
	s_lshl_b32 s0, s11, 24
	s_and_b32 s8, s8, 15
	s_sub_i32 s9, 29, s9
	s_and_b32 s10, s10, 7
	s_cmp_eq_u32 s8, 0
	s_cselect_b32 s8, s9, s8
	s_cselect_b32 s1, s10, s1
	s_lshl_b32 s8, s8, 23
	s_and_b32 s0, s0, 0x80000000
	s_add_i32 s8, s8, 0x3b800000
	s_lshl_b32 s1, s1, 20
	s_or_b32 s0, s0, s8
	s_or_b32 s10, s0, s1
.LBB142_2456:
	s_bfe_u32 s0, s10, 0x10010
	s_add_i32 s0, s10, s0
	s_addk_i32 s0, 0x7fff
	s_lshr_b32 s8, s0, 16
	v_cmp_o_f32_e64 s[0:1], s10, s10
	s_and_b64 s[0:1], s[0:1], exec
	s_cselect_b32 s0, s8, 0x7fc0
	v_mov_b32_e32 v0, s0
	global_store_short v[4:5], v0, off
	s_mov_b64 s[0:1], 0
.LBB142_2457:
	s_mov_b64 s[12:13], 0
.LBB142_2458:
	s_mov_b64 s[8:9], 0
	s_and_b64 vcc, exec, s[12:13]
	s_cbranch_vccz .LBB142_2460
; %bb.2459:
	v_cmp_ne_u16_e64 s[0:1], 11, v12
	s_mov_b64 s[8:9], -1
.LBB142_2460:
	s_and_b64 vcc, exec, s[0:1]
	s_cbranch_vccnz .LBB142_2462
.LBB142_2461:
	s_mov_b64 s[0:1], 0
	s_branch .LBB142_2169
.LBB142_2462:
	s_mov_b64 s[8:9], 0
	s_or_b64 s[6:7], s[6:7], exec
	s_trap 2
	s_branch .LBB142_2461
	.section	.rodata,"a",@progbits
	.p2align	6, 0x0
	.amdhsa_kernel _ZN2at6native32elementwise_kernel_manual_unrollILi128ELi4EZNS0_15gpu_kernel_implINS0_11FillFunctorIN3c1015Float8_e4m3fnuzEEEEEvRNS_18TensorIteratorBaseERKT_EUlibE_EEviT1_
		.amdhsa_group_segment_fixed_size 0
		.amdhsa_private_segment_fixed_size 0
		.amdhsa_kernarg_size 24
		.amdhsa_user_sgpr_count 6
		.amdhsa_user_sgpr_private_segment_buffer 1
		.amdhsa_user_sgpr_dispatch_ptr 0
		.amdhsa_user_sgpr_queue_ptr 0
		.amdhsa_user_sgpr_kernarg_segment_ptr 1
		.amdhsa_user_sgpr_dispatch_id 0
		.amdhsa_user_sgpr_flat_scratch_init 0
		.amdhsa_user_sgpr_kernarg_preload_length 0
		.amdhsa_user_sgpr_kernarg_preload_offset 0
		.amdhsa_user_sgpr_private_segment_size 0
		.amdhsa_uses_dynamic_stack 0
		.amdhsa_system_sgpr_private_segment_wavefront_offset 0
		.amdhsa_system_sgpr_workgroup_id_x 1
		.amdhsa_system_sgpr_workgroup_id_y 0
		.amdhsa_system_sgpr_workgroup_id_z 0
		.amdhsa_system_sgpr_workgroup_info 0
		.amdhsa_system_vgpr_workitem_id 0
		.amdhsa_next_free_vgpr 17
		.amdhsa_next_free_sgpr 36
		.amdhsa_accum_offset 20
		.amdhsa_reserve_vcc 1
		.amdhsa_reserve_flat_scratch 0
		.amdhsa_float_round_mode_32 0
		.amdhsa_float_round_mode_16_64 0
		.amdhsa_float_denorm_mode_32 3
		.amdhsa_float_denorm_mode_16_64 3
		.amdhsa_dx10_clamp 1
		.amdhsa_ieee_mode 1
		.amdhsa_fp16_overflow 0
		.amdhsa_tg_split 0
		.amdhsa_exception_fp_ieee_invalid_op 0
		.amdhsa_exception_fp_denorm_src 0
		.amdhsa_exception_fp_ieee_div_zero 0
		.amdhsa_exception_fp_ieee_overflow 0
		.amdhsa_exception_fp_ieee_underflow 0
		.amdhsa_exception_fp_ieee_inexact 0
		.amdhsa_exception_int_div_zero 0
	.end_amdhsa_kernel
	.section	.text._ZN2at6native32elementwise_kernel_manual_unrollILi128ELi4EZNS0_15gpu_kernel_implINS0_11FillFunctorIN3c1015Float8_e4m3fnuzEEEEEvRNS_18TensorIteratorBaseERKT_EUlibE_EEviT1_,"axG",@progbits,_ZN2at6native32elementwise_kernel_manual_unrollILi128ELi4EZNS0_15gpu_kernel_implINS0_11FillFunctorIN3c1015Float8_e4m3fnuzEEEEEvRNS_18TensorIteratorBaseERKT_EUlibE_EEviT1_,comdat
.Lfunc_end142:
	.size	_ZN2at6native32elementwise_kernel_manual_unrollILi128ELi4EZNS0_15gpu_kernel_implINS0_11FillFunctorIN3c1015Float8_e4m3fnuzEEEEEvRNS_18TensorIteratorBaseERKT_EUlibE_EEviT1_, .Lfunc_end142-_ZN2at6native32elementwise_kernel_manual_unrollILi128ELi4EZNS0_15gpu_kernel_implINS0_11FillFunctorIN3c1015Float8_e4m3fnuzEEEEEvRNS_18TensorIteratorBaseERKT_EUlibE_EEviT1_
                                        ; -- End function
	.section	.AMDGPU.csdata,"",@progbits
; Kernel info:
; codeLenInByte = 40004
; NumSgprs: 40
; NumVgprs: 17
; NumAgprs: 0
; TotalNumVgprs: 17
; ScratchSize: 0
; MemoryBound: 0
; FloatMode: 240
; IeeeMode: 1
; LDSByteSize: 0 bytes/workgroup (compile time only)
; SGPRBlocks: 4
; VGPRBlocks: 2
; NumSGPRsForWavesPerEU: 40
; NumVGPRsForWavesPerEU: 17
; AccumOffset: 20
; Occupancy: 8
; WaveLimiterHint : 0
; COMPUTE_PGM_RSRC2:SCRATCH_EN: 0
; COMPUTE_PGM_RSRC2:USER_SGPR: 6
; COMPUTE_PGM_RSRC2:TRAP_HANDLER: 0
; COMPUTE_PGM_RSRC2:TGID_X_EN: 1
; COMPUTE_PGM_RSRC2:TGID_Y_EN: 0
; COMPUTE_PGM_RSRC2:TGID_Z_EN: 0
; COMPUTE_PGM_RSRC2:TIDIG_COMP_CNT: 0
; COMPUTE_PGM_RSRC3_GFX90A:ACCUM_OFFSET: 4
; COMPUTE_PGM_RSRC3_GFX90A:TG_SPLIT: 0
	.section	.text._ZN2at6native32elementwise_kernel_manual_unrollILi128ELi4EZNS0_15gpu_kernel_implINS0_11FillFunctorIN3c1015Float8_e4m3fnuzEEEEEvRNS_18TensorIteratorBaseERKT_EUlibE0_EEviT1_,"axG",@progbits,_ZN2at6native32elementwise_kernel_manual_unrollILi128ELi4EZNS0_15gpu_kernel_implINS0_11FillFunctorIN3c1015Float8_e4m3fnuzEEEEEvRNS_18TensorIteratorBaseERKT_EUlibE0_EEviT1_,comdat
	.protected	_ZN2at6native32elementwise_kernel_manual_unrollILi128ELi4EZNS0_15gpu_kernel_implINS0_11FillFunctorIN3c1015Float8_e4m3fnuzEEEEEvRNS_18TensorIteratorBaseERKT_EUlibE0_EEviT1_ ; -- Begin function _ZN2at6native32elementwise_kernel_manual_unrollILi128ELi4EZNS0_15gpu_kernel_implINS0_11FillFunctorIN3c1015Float8_e4m3fnuzEEEEEvRNS_18TensorIteratorBaseERKT_EUlibE0_EEviT1_
	.globl	_ZN2at6native32elementwise_kernel_manual_unrollILi128ELi4EZNS0_15gpu_kernel_implINS0_11FillFunctorIN3c1015Float8_e4m3fnuzEEEEEvRNS_18TensorIteratorBaseERKT_EUlibE0_EEviT1_
	.p2align	8
	.type	_ZN2at6native32elementwise_kernel_manual_unrollILi128ELi4EZNS0_15gpu_kernel_implINS0_11FillFunctorIN3c1015Float8_e4m3fnuzEEEEEvRNS_18TensorIteratorBaseERKT_EUlibE0_EEviT1_,@function
_ZN2at6native32elementwise_kernel_manual_unrollILi128ELi4EZNS0_15gpu_kernel_implINS0_11FillFunctorIN3c1015Float8_e4m3fnuzEEEEEvRNS_18TensorIteratorBaseERKT_EUlibE0_EEviT1_: ; @_ZN2at6native32elementwise_kernel_manual_unrollILi128ELi4EZNS0_15gpu_kernel_implINS0_11FillFunctorIN3c1015Float8_e4m3fnuzEEEEEvRNS_18TensorIteratorBaseERKT_EUlibE0_EEviT1_
; %bb.0:
	s_load_dword s64, s[4:5], 0x0
	s_load_dword s33, s[4:5], 0x8
	s_or_b32 s24, s4, 8
	v_lshl_or_b32 v15, s6, 9, v0
	v_or_b32_e32 v2, 0x180, v15
	s_mov_b32 s25, s5
	s_waitcnt lgkmcnt(0)
	s_add_i32 s60, s33, -1
	s_cmp_gt_u32 s60, 1
	v_cmp_le_i32_e32 vcc, s64, v2
	s_cselect_b64 s[30:31], -1, 0
	s_mov_b64 s[28:29], 0
	s_mov_b64 s[6:7], 0
	s_and_saveexec_b64 s[0:1], vcc
	s_xor_b64 s[26:27], exec, s[0:1]
	s_cbranch_execz .LBB143_1300
; %bb.1:
	s_cmp_lg_u32 s33, 0
	s_cselect_b64 s[44:45], -1, 0
	s_add_u32 s42, s24, 0xc4
	s_load_dwordx2 s[36:37], s[24:25], 0xc4
	s_load_dwordx2 s[34:35], s[24:25], 0x108
	s_load_dword s61, s[24:25], 0x110
	s_load_dwordx4 s[0:3], s[24:25], 0x4
	s_load_dwordx2 s[38:39], s[24:25], 0x14
	s_addc_u32 s43, s25, 0
	s_min_u32 s65, s60, 15
	s_cmp_gt_u32 s33, 1
	s_cselect_b64 s[40:41], -1, 0
	s_waitcnt lgkmcnt(0)
	s_and_b32 s7, s61, 7
	s_flbit_i32_b32 s9, s7
	s_min_u32 s9, s9, 32
	s_and_b32 s6, s61, 0xffff
	s_sub_i32 s10, s9, 28
	s_lshl_b32 s6, s6, s10
	s_bfe_u32 s8, s61, 0x40003
	s_sub_i32 s9, 29, s9
	s_and_b32 s6, s6, 7
	s_cmp_eq_u32 s8, 0
	s_cselect_b32 s8, s9, s8
	s_cselect_b32 s6, s6, s7
	s_lshl_b32 s7, s61, 24
	s_lshl_b32 s8, s8, 23
	s_and_b32 s7, s7, 0x80000000
	s_add_i32 s8, s8, 0x3b800000
	s_lshl_b32 s6, s6, 20
	s_or_b32 s7, s7, s8
	s_or_b32 s62, s7, s6
	v_trunc_f32_e32 v0, s62
	v_mul_f32_e32 v1, 0x2f800000, v0
	s_mov_b32 s9, 0x2f800000
	v_floor_f32_e32 v1, v1
	v_mov_b32_e32 v2, v0
	v_fmac_f32_e32 v2, 0xcf800000, v1
	v_cvt_u32_f32_e32 v9, v1
	v_mul_f32_e64 v1, |v0|, s9
	s_mov_b32 s10, 0xcf800000
	v_floor_f32_e32 v1, v1
	v_cvt_u32_f32_e32 v8, v2
	v_fma_f32 v2, v1, s10, |v0|
	v_cvt_u32_f32_e32 v2, v2
	v_cvt_u32_f32_e32 v1, v1
	v_ashrrev_i32_e32 v0, 31, v0
	v_cvt_u32_f32_e32 v16, s62
	s_and_b32 s7, s8, 0x7f800000
	v_cvt_f16_f32_e32 v14, s62
	v_xor_b32_e32 v2, v2, v0
	v_cvt_i32_f32_e32 v12, s62
	s_or_b32 s63, s6, s8
	s_or_b32 s6, s7, s6
	v_xor_b32_e32 v1, v1, v0
	v_sub_co_u32_e32 v4, vcc, v2, v0
	s_cmp_lg_u32 s6, 0
	v_subb_co_u32_e32 v5, vcc, v1, v0, vcc
	v_lshrrev_b16_e64 v13, 8, s61
	s_cselect_b64 s[6:7], -1, 0
	v_cvt_f64_f32_e32 v[6:7], s62
	v_cmp_gt_i32_e32 vcc, s64, v15
	s_mov_b64 s[10:11], -1
	s_mov_b64 s[52:53], 0
	s_mov_b64 s[46:47], 0
	s_and_saveexec_b64 s[48:49], vcc
	s_cbranch_execz .LBB143_324
; %bb.2:
	s_andn2_b64 vcc, exec, s[30:31]
	s_cbranch_vccnz .LBB143_7
; %bb.3:
	s_andn2_b64 vcc, exec, s[44:45]
	s_cbranch_vccnz .LBB143_8
; %bb.4:
	s_add_i32 s55, s65, 1
	s_mov_b32 s54, 0
	s_cmp_eq_u32 s60, 2
	v_mov_b32_e32 v0, 0
	s_cbranch_scc1 .LBB143_9
; %bb.5:
	s_and_b32 s54, s55, 28
	s_mov_b32 s56, 0
	v_mov_b32_e32 v0, 0
	s_mov_b64 s[46:47], s[24:25]
	s_mov_b64 s[50:51], s[42:43]
	v_mov_b32_e32 v2, v15
.LBB143_6:                              ; =>This Inner Loop Header: Depth=1
	s_load_dwordx8 s[8:15], s[46:47], 0x4
	s_load_dwordx4 s[16:19], s[46:47], 0x24
	s_load_dwordx4 s[20:23], s[50:51], 0x0
	s_add_u32 s46, s46, 48
	s_addc_u32 s47, s47, 0
	s_waitcnt lgkmcnt(0)
	v_mul_hi_u32 v1, s9, v2
	v_add_u32_e32 v1, v2, v1
	v_lshrrev_b32_e32 v1, s10, v1
	v_mul_lo_u32 v3, v1, s8
	v_mul_hi_u32 v10, s12, v1
	v_sub_u32_e32 v2, v2, v3
	v_add_u32_e32 v3, v1, v10
	v_lshrrev_b32_e32 v3, s13, v3
	v_mul_lo_u32 v10, v3, s11
	v_mul_hi_u32 v11, s15, v3
	v_sub_u32_e32 v1, v1, v10
	v_add_u32_e32 v10, v3, v11
	v_mul_lo_u32 v2, v2, s20
	v_mul_lo_u32 v1, v1, s21
	v_lshrrev_b32_e32 v10, s16, v10
	v_add3_u32 v0, v2, v0, v1
	v_mul_hi_u32 v2, s18, v10
	v_add_u32_e32 v2, v10, v2
	v_mul_lo_u32 v1, v10, s14
	v_lshrrev_b32_e32 v2, s19, v2
	s_add_i32 s56, s56, 4
	v_sub_u32_e32 v1, v3, v1
	v_mul_lo_u32 v3, v2, s17
	s_add_u32 s50, s50, 16
	v_sub_u32_e32 v3, v10, v3
	s_addc_u32 s51, s51, 0
	v_mul_lo_u32 v1, v1, s22
	v_mul_lo_u32 v3, v3, s23
	s_cmp_lg_u32 s54, s56
	v_add3_u32 v0, v1, v0, v3
	s_cbranch_scc1 .LBB143_6
	s_branch .LBB143_10
.LBB143_7:
                                        ; implicit-def: $vgpr0
	s_branch .LBB143_14
.LBB143_8:
	v_mov_b32_e32 v0, 0
	s_branch .LBB143_13
.LBB143_9:
	v_mov_b32_e32 v2, v15
.LBB143_10:
	s_and_b32 s12, s55, 3
	s_cmp_eq_u32 s12, 0
	s_cbranch_scc1 .LBB143_13
; %bb.11:
	s_lshl_b32 s8, s54, 2
	s_add_u32 s8, s8, s24
	s_addc_u32 s9, s25, 0
	s_add_u32 s8, s8, 0xc4
	s_addc_u32 s9, s9, 0
	s_mul_i32 s10, s54, 12
	s_add_u32 s10, s24, s10
	s_addc_u32 s11, s25, 0
.LBB143_12:                             ; =>This Inner Loop Header: Depth=1
	s_load_dwordx2 s[14:15], s[10:11], 0x4
	s_load_dword s13, s[10:11], 0xc
	s_load_dword s16, s[8:9], 0x0
	s_add_u32 s10, s10, 12
	s_addc_u32 s11, s11, 0
	s_waitcnt lgkmcnt(0)
	v_mul_hi_u32 v1, s15, v2
	v_add_u32_e32 v1, v2, v1
	v_lshrrev_b32_e32 v1, s13, v1
	s_add_u32 s8, s8, 4
	v_mul_lo_u32 v3, v1, s14
	s_addc_u32 s9, s9, 0
	s_add_i32 s12, s12, -1
	v_sub_u32_e32 v3, v2, v3
	s_cmp_lg_u32 s12, 0
	v_mov_b32_e32 v2, v1
	v_mad_u64_u32 v[0:1], s[14:15], v3, s16, v[0:1]
	s_cbranch_scc1 .LBB143_12
.LBB143_13:
	s_cbranch_execnz .LBB143_16
.LBB143_14:
	v_mul_hi_u32 v0, s1, v15
	v_add_u32_e32 v0, v15, v0
	v_lshrrev_b32_e32 v1, s2, v0
	v_mul_lo_u32 v0, v1, s0
	v_sub_u32_e32 v0, v15, v0
	s_andn2_b64 vcc, exec, s[40:41]
	v_mul_lo_u32 v0, v0, s36
	s_cbranch_vccnz .LBB143_16
; %bb.15:
	v_mul_hi_u32 v2, s38, v1
	v_add_u32_e32 v2, v1, v2
	v_lshrrev_b32_e32 v2, s39, v2
	v_mul_lo_u32 v2, v2, s3
	v_sub_u32_e32 v1, v1, v2
	v_mad_u64_u32 v[0:1], s[8:9], v1, s37, v[0:1]
.LBB143_16:
	v_mov_b32_e32 v1, s35
	v_add_co_u32_e32 v10, vcc, s34, v0
	v_addc_co_u32_e32 v11, vcc, 0, v1, vcc
	v_cmp_gt_i16_e32 vcc, 11, v13
	s_cbranch_vccnz .LBB143_25
; %bb.17:
	v_cmp_lt_i16_e32 vcc, 25, v13
	s_cbranch_vccz .LBB143_28
; %bb.18:
	v_cmp_lt_i16_e32 vcc, 28, v13
	s_cbranch_vccz .LBB143_29
	;; [unrolled: 3-line block ×4, first 2 shown]
; %bb.21:
	v_cmp_eq_u16_e32 vcc, 46, v13
	s_mov_b64 s[12:13], 0
	s_mov_b64 s[8:9], -1
	s_mov_b64 s[10:11], 0
	s_cbranch_vccz .LBB143_40
; %bb.22:
	v_mov_b32_e32 v0, 0x80
	v_cmp_lt_i16_sdwa s[8:9], s61, v0 src0_sel:BYTE_0 src1_sel:DWORD
	s_and_b64 vcc, exec, s[8:9]
	s_cbranch_vccnz .LBB143_32
; %bb.23:
	v_cmp_eq_u16_sdwa s[8:9], s61, v0 src0_sel:BYTE_0 src1_sel:DWORD
	s_and_b64 vcc, exec, s[8:9]
	s_cbranch_vccz .LBB143_33
; %bb.24:
	s_mov_b64 s[8:9], 0
	s_mov_b32 s14, 0x7f800001
	s_branch .LBB143_35
.LBB143_25:
	s_mov_b64 s[8:9], 0
	s_mov_b64 s[10:11], 0
	s_cbranch_execnz .LBB143_189
.LBB143_26:
	s_andn2_b64 vcc, exec, s[10:11]
	s_cbranch_vccnz .LBB143_322
.LBB143_27:
	v_add_u32_e32 v15, 0x80, v15
	s_mov_b64 s[10:11], -1
	s_branch .LBB143_323
.LBB143_28:
	s_mov_b64 s[8:9], 0
	s_mov_b64 s[10:11], 0
	s_cbranch_execnz .LBB143_92
	s_branch .LBB143_188
.LBB143_29:
	s_mov_b64 s[12:13], -1
	s_mov_b64 s[8:9], 0
	s_mov_b64 s[10:11], 0
	s_branch .LBB143_67
.LBB143_30:
	s_mov_b64 s[12:13], -1
	s_mov_b64 s[8:9], 0
	s_mov_b64 s[10:11], 0
	s_branch .LBB143_54
.LBB143_31:
	s_mov_b64 s[12:13], -1
	s_mov_b64 s[8:9], 0
	s_mov_b64 s[10:11], 0
	s_branch .LBB143_40
.LBB143_32:
	s_mov_b64 s[10:11], -1
	s_mov_b64 s[8:9], 0
	s_branch .LBB143_34
.LBB143_33:
	s_mov_b64 s[8:9], -1
.LBB143_34:
                                        ; implicit-def: $sgpr14
.LBB143_35:
	s_and_b64 vcc, exec, s[10:11]
	s_cbranch_vccz .LBB143_37
; %bb.36:
	v_mov_b32_e32 v0, 0
	s_mov_b32 s14, 0
	v_cmp_ne_u16_sdwa s[8:9], s61, v0 src0_sel:BYTE_0 src1_sel:DWORD
.LBB143_37:
	s_andn2_b64 vcc, exec, s[8:9]
	s_cbranch_vccnz .LBB143_39
; %bb.38:
	s_mov_b32 s14, s62
.LBB143_39:
	s_bfe_u32 s8, s14, 0x10010
	s_add_i32 s8, s14, s8
	s_addk_i32 s8, 0x7fff
	s_lshr_b32 s10, s8, 16
	v_cmp_o_f32_e64 s[8:9], s14, s14
	s_and_b64 s[8:9], s[8:9], exec
	s_cselect_b32 s8, s10, 0x7fc0
	v_mov_b32_e32 v0, s8
	global_store_dword v[10:11], v0, off
	s_mov_b64 s[10:11], -1
	s_mov_b64 s[8:9], 0
.LBB143_40:
	s_and_b64 vcc, exec, s[12:13]
	s_cbranch_vccz .LBB143_53
; %bb.41:
	v_cmp_eq_u16_e32 vcc, 44, v13
	s_mov_b64 s[8:9], -1
	s_cbranch_vccz .LBB143_53
; %bb.42:
	v_mov_b32_e32 v0, 0xff
	v_and_b32_e32 v0, s61, v0
	s_movk_i32 s8, 0x80
	v_cmp_gt_i16_e32 vcc, s8, v0
	v_readfirstlane_b32 s13, v0
	s_cbranch_vccnz .LBB143_45
; %bb.43:
	v_mov_b32_e32 v0, 0x80
	v_cmp_eq_u16_e32 vcc, s13, v0
	s_cbranch_vccz .LBB143_46
; %bb.44:
	s_mov_b64 s[8:9], 0
	s_mov_b32 s12, 0x7f800001
	s_branch .LBB143_47
.LBB143_45:
	s_mov_b64 s[10:11], -1
	s_mov_b64 s[8:9], 0
                                        ; implicit-def: $sgpr12
	s_branch .LBB143_48
.LBB143_46:
	s_mov_b64 s[8:9], -1
                                        ; implicit-def: $sgpr12
.LBB143_47:
	s_mov_b64 s[10:11], 0
.LBB143_48:
	s_and_b64 vcc, exec, s[10:11]
	s_cbranch_vccz .LBB143_58
; %bb.49:
	s_and_b32 s12, 0xffff, s13
	v_cmp_ne_u16_e64 s[8:9], s13, 0
	s_andn2_b64 vcc, exec, s[8:9]
	s_cbranch_vccz .LBB143_59
.LBB143_50:
	s_bfe_u32 s8, s12, 0x80017
	s_cmpk_eq_i32 s8, 0xff
	v_mov_b32_e32 v0, 0xff
	s_cbranch_scc1 .LBB143_52
.LBB143_51:
	s_lshr_b32 s13, s12, 23
	s_bitcmp1_b32 s12, 22
	s_cselect_b64 s[10:11], -1, 0
	s_and_b32 s9, s12, 0x3fffff
	s_or_b32 s8, s8, s9
	s_cmp_lg_u32 s8, 0
	s_cselect_b64 s[8:9], -1, 0
	s_and_b64 s[8:9], s[10:11], s[8:9]
	v_cndmask_b32_e64 v0, 0, 1, s[8:9]
	v_add_u32_e32 v0, s13, v0
.LBB143_52:
	s_mov_b64 s[10:11], -1
	s_mov_b64 s[8:9], 0
	global_store_byte v[10:11], v0, off
.LBB143_53:
	s_mov_b64 s[12:13], 0
.LBB143_54:
	s_and_b64 vcc, exec, s[12:13]
	s_cbranch_vccz .LBB143_66
; %bb.55:
	v_cmp_eq_u16_e32 vcc, 29, v13
	s_mov_b64 s[8:9], -1
	s_cbranch_vccz .LBB143_66
; %bb.56:
	v_mov_b32_e32 v0, 0x80
	v_cmp_lt_i16_sdwa s[8:9], s61, v0 src0_sel:BYTE_0 src1_sel:DWORD
	s_and_b64 vcc, exec, s[8:9]
	s_cbranch_vccnz .LBB143_60
; %bb.57:
	v_cmp_ne_u16_sdwa s[8:9], s61, v0 src0_sel:BYTE_0 src1_sel:DWORD
	s_mov_b64 s[12:13], 0
	s_mov_b64 s[10:11], 0
	s_branch .LBB143_61
.LBB143_58:
	s_andn2_b64 vcc, exec, s[8:9]
	s_cbranch_vccnz .LBB143_50
.LBB143_59:
	s_mov_b32 s12, s63
	s_bfe_u32 s8, s12, 0x80017
	s_cmpk_eq_i32 s8, 0xff
	v_mov_b32_e32 v0, 0xff
	s_cbranch_scc0 .LBB143_51
	s_branch .LBB143_52
.LBB143_60:
	s_mov_b64 s[12:13], -1
	s_mov_b64 s[8:9], 0
                                        ; implicit-def: $sgpr10_sgpr11
.LBB143_61:
	s_andn2_b64 vcc, exec, s[12:13]
	s_cbranch_vccnz .LBB143_63
; %bb.62:
	v_mov_b32_e32 v0, 0
	v_cmp_ne_u16_sdwa s[8:9], s61, v0 src0_sel:BYTE_0 src1_sel:DWORD
	s_mov_b64 s[10:11], 0
.LBB143_63:
	s_andn2_b64 vcc, exec, s[8:9]
	v_pk_mov_b32 v[0:1], s[10:11], s[10:11] op_sel:[0,1]
	s_cbranch_vccnz .LBB143_65
; %bb.64:
	v_pk_mov_b32 v[0:1], v[8:9], v[8:9] op_sel:[0,1]
.LBB143_65:
	global_store_dwordx2 v[10:11], v[0:1], off
	s_mov_b64 s[10:11], -1
	s_mov_b64 s[8:9], 0
.LBB143_66:
	s_mov_b64 s[12:13], 0
.LBB143_67:
	s_and_b64 vcc, exec, s[12:13]
	s_cbranch_vccz .LBB143_91
; %bb.68:
	v_cmp_gt_i16_e32 vcc, 27, v13
	s_mov_b64 s[10:11], -1
	s_cbranch_vccnz .LBB143_88
; %bb.69:
	v_cmp_lt_i16_e32 vcc, 27, v13
	s_cbranch_vccz .LBB143_78
; %bb.70:
	v_mov_b32_e32 v0, 0x80
	v_cmp_lt_i16_sdwa s[10:11], s61, v0 src0_sel:BYTE_0 src1_sel:DWORD
	s_and_b64 vcc, exec, s[10:11]
	s_cbranch_vccnz .LBB143_72
; %bb.71:
	v_cmp_ne_u16_sdwa s[10:11], s61, v0 src0_sel:BYTE_0 src1_sel:DWORD
	s_mov_b64 s[12:13], 0
	s_mov_b32 s14, 0
	s_branch .LBB143_73
.LBB143_72:
	s_mov_b64 s[12:13], -1
	s_mov_b64 s[10:11], 0
                                        ; implicit-def: $sgpr14
.LBB143_73:
	s_andn2_b64 vcc, exec, s[12:13]
	s_cbranch_vccnz .LBB143_75
; %bb.74:
	v_mov_b32_e32 v0, 0
	s_mov_b32 s14, 0
	v_cmp_ne_u16_sdwa s[10:11], s61, v0 src0_sel:BYTE_0 src1_sel:DWORD
.LBB143_75:
	s_andn2_b64 vcc, exec, s[10:11]
	v_mov_b32_e32 v0, s14
	s_cbranch_vccnz .LBB143_77
; %bb.76:
	v_mov_b32_e32 v0, v16
.LBB143_77:
	global_store_dword v[10:11], v0, off
	s_mov_b64 s[10:11], 0
.LBB143_78:
	s_and_b64 vcc, exec, s[10:11]
	s_cbranch_vccz .LBB143_87
; %bb.79:
	v_mov_b32_e32 v0, 0x80
	v_cmp_lt_i16_sdwa s[10:11], s61, v0 src0_sel:BYTE_0 src1_sel:DWORD
	s_and_b64 vcc, exec, s[10:11]
	s_cbranch_vccnz .LBB143_81
; %bb.80:
	v_cmp_ne_u16_sdwa s[10:11], s61, v0 src0_sel:BYTE_0 src1_sel:DWORD
	s_mov_b64 s[12:13], 0
	s_mov_b32 s14, 0
	s_branch .LBB143_82
.LBB143_81:
	s_mov_b64 s[12:13], -1
	s_mov_b64 s[10:11], 0
                                        ; implicit-def: $sgpr14
.LBB143_82:
	s_andn2_b64 vcc, exec, s[12:13]
	s_cbranch_vccnz .LBB143_84
; %bb.83:
	v_mov_b32_e32 v0, 0
	s_mov_b32 s14, 0
	v_cmp_ne_u16_sdwa s[10:11], s61, v0 src0_sel:BYTE_0 src1_sel:DWORD
.LBB143_84:
	s_andn2_b64 vcc, exec, s[10:11]
	v_mov_b32_e32 v0, s14
	s_cbranch_vccnz .LBB143_86
; %bb.85:
	v_mov_b32_e32 v0, v16
.LBB143_86:
	global_store_short v[10:11], v0, off
.LBB143_87:
	s_mov_b64 s[10:11], 0
.LBB143_88:
	s_andn2_b64 vcc, exec, s[10:11]
	s_cbranch_vccnz .LBB143_90
; %bb.89:
	v_mov_b32_e32 v0, s61
	global_store_byte v[10:11], v0, off
.LBB143_90:
	s_mov_b64 s[10:11], -1
.LBB143_91:
	s_branch .LBB143_188
.LBB143_92:
	v_cmp_lt_i16_e32 vcc, 22, v13
	s_mov_b64 s[12:13], -1
	s_cbranch_vccz .LBB143_160
; %bb.93:
	v_cmp_gt_i16_e32 vcc, 24, v13
	s_mov_b64 s[10:11], -1
	s_cbranch_vccnz .LBB143_137
; %bb.94:
	v_cmp_lt_i16_e32 vcc, 24, v13
	s_cbranch_vccz .LBB143_114
; %bb.95:
	v_mov_b32_e32 v0, 0x80
	v_cmp_lt_i16_sdwa s[10:11], s61, v0 src0_sel:BYTE_0 src1_sel:DWORD
	s_and_b64 vcc, exec, s[10:11]
	s_cbranch_vccnz .LBB143_98
; %bb.96:
	v_cmp_eq_u16_sdwa s[10:11], s61, v0 src0_sel:BYTE_0 src1_sel:DWORD
	s_and_b64 vcc, exec, s[10:11]
	s_cbranch_vccz .LBB143_99
; %bb.97:
	s_mov_b64 s[10:11], 0
	s_mov_b32 s14, 0x7f800001
	s_branch .LBB143_100
.LBB143_98:
	s_mov_b64 s[10:11], 0
                                        ; implicit-def: $sgpr14
	s_branch .LBB143_101
.LBB143_99:
	s_mov_b64 s[10:11], -1
                                        ; implicit-def: $sgpr14
.LBB143_100:
	s_mov_b64 s[12:13], 0
.LBB143_101:
	s_and_b64 vcc, exec, s[12:13]
	s_cbranch_vccz .LBB143_104
; %bb.102:
	v_mov_b32_e32 v0, 0
	s_mov_b32 s14, 0
	v_cmp_ne_u16_sdwa s[10:11], s61, v0 src0_sel:BYTE_0 src1_sel:DWORD
	s_andn2_b64 vcc, exec, s[10:11]
	s_cbranch_vccz .LBB143_105
.LBB143_103:
	s_and_b32 s10, s14, 0x7fffffff
	s_cmp_gt_u32 s10, 0x477fffff
	v_mov_b32_e32 v1, 0x80
	s_cbranch_scc0 .LBB143_106
	s_branch .LBB143_113
.LBB143_104:
	s_andn2_b64 vcc, exec, s[10:11]
	s_cbranch_vccnz .LBB143_103
.LBB143_105:
	s_mov_b32 s14, s62
	s_and_b32 s10, s14, 0x7fffffff
	s_cmp_gt_u32 s10, 0x477fffff
	v_mov_b32_e32 v1, 0x80
	s_cbranch_scc1 .LBB143_113
.LBB143_106:
	s_cmp_gt_u32 s10, 0x37ffffff
	s_cbranch_scc0 .LBB143_108
; %bb.107:
	s_bfe_u32 s10, s14, 0x10015
	s_add_i32 s10, s14, s10
	s_add_i32 s10, s10, 0x88fffff
	s_lshr_b32 s15, s10, 21
	s_mov_b64 s[12:13], 0
	s_mov_b64 s[10:11], -1
	s_branch .LBB143_109
.LBB143_108:
	s_mov_b64 s[12:13], -1
	s_mov_b64 s[10:11], 0
                                        ; implicit-def: $sgpr15
.LBB143_109:
	s_andn2_b64 vcc, exec, s[12:13]
	v_mov_b32_e32 v0, s15
                                        ; implicit-def: $sgpr12
	s_cbranch_vccnz .LBB143_111
; %bb.110:
	v_mov_b32_e32 v0, 0x42800000
	v_add_f32_e64 v0, |s14|, v0
	v_and_b32_e32 v0, 0xff, v0
	s_mov_b32 s12, 0
	v_cmp_ne_u32_e64 s[10:11], 0, v0
.LBB143_111:
	s_andn2_b64 vcc, exec, s[10:11]
	v_mov_b32_e32 v1, s12
	s_cbranch_vccnz .LBB143_113
; %bb.112:
	s_lshr_b32 s10, s14, 24
	s_and_b32 s10, s10, 0x80
	v_or_b32_e32 v1, s10, v0
.LBB143_113:
	global_store_byte v[10:11], v1, off
	s_mov_b64 s[10:11], 0
.LBB143_114:
	s_and_b64 vcc, exec, s[10:11]
	s_cbranch_vccz .LBB143_136
; %bb.115:
	v_mov_b32_e32 v0, 0x80
	v_cmp_lt_i16_sdwa s[10:11], s61, v0 src0_sel:BYTE_0 src1_sel:DWORD
	s_and_b64 vcc, exec, s[10:11]
	s_cbranch_vccnz .LBB143_118
; %bb.116:
	v_cmp_eq_u16_sdwa s[10:11], s61, v0 src0_sel:BYTE_0 src1_sel:DWORD
	s_and_b64 vcc, exec, s[10:11]
	s_cbranch_vccz .LBB143_119
; %bb.117:
	s_mov_b64 s[10:11], 0
	s_mov_b32 s14, 0x7f800001
	s_branch .LBB143_120
.LBB143_118:
	s_mov_b64 s[12:13], -1
	s_mov_b64 s[10:11], 0
                                        ; implicit-def: $sgpr14
	s_branch .LBB143_121
.LBB143_119:
	s_mov_b64 s[10:11], -1
                                        ; implicit-def: $sgpr14
.LBB143_120:
	s_mov_b64 s[12:13], 0
.LBB143_121:
	s_and_b64 vcc, exec, s[12:13]
	s_cbranch_vccz .LBB143_126
; %bb.122:
	v_mov_b32_e32 v0, 0
	s_mov_b32 s14, 0
	v_cmp_ne_u16_sdwa s[10:11], s61, v0 src0_sel:BYTE_0 src1_sel:DWORD
	s_andn2_b64 vcc, exec, s[10:11]
	s_cbranch_vccz .LBB143_127
.LBB143_123:
	s_and_b32 s12, s14, 0x7fffffff
	s_cmp_lt_u32 s12, 0x43f00000
	s_cbranch_scc0 .LBB143_128
.LBB143_124:
	s_cmp_gt_u32 s12, 0x3c7fffff
	s_cbranch_scc0 .LBB143_129
; %bb.125:
	s_bfe_u32 s10, s14, 0x10014
	s_add_i32 s10, s14, s10
	s_add_i32 s10, s10, 0x407ffff
	s_lshr_b32 s11, s10, 20
	s_and_b32 s10, s10, 0xff00000
	s_cmp_lg_u32 s10, 0x7f00000
	s_cselect_b32 s13, s11, 0x7e
	s_mov_b64 s[10:11], 0
	s_branch .LBB143_130
.LBB143_126:
	s_andn2_b64 vcc, exec, s[10:11]
	s_cbranch_vccnz .LBB143_123
.LBB143_127:
	s_mov_b32 s14, s62
	s_and_b32 s12, s14, 0x7fffffff
	s_cmp_lt_u32 s12, 0x43f00000
	s_cbranch_scc1 .LBB143_124
.LBB143_128:
	s_mov_b64 s[10:11], -1
                                        ; implicit-def: $vgpr0
	s_branch .LBB143_133
.LBB143_129:
	s_mov_b64 s[10:11], -1
                                        ; implicit-def: $sgpr13
.LBB143_130:
	s_andn2_b64 vcc, exec, s[10:11]
	v_mov_b32_e32 v0, s13
	s_cbranch_vccnz .LBB143_132
; %bb.131:
	v_mov_b32_e32 v0, 0x46800000
	v_add_f32_e64 v0, |s14|, v0
.LBB143_132:
	s_mov_b64 s[10:11], 0
.LBB143_133:
	s_andn2_b64 vcc, exec, s[10:11]
	s_cbranch_vccnz .LBB143_135
; %bb.134:
	s_cmp_gt_u32 s12, 0x7f800000
	s_movk_i32 s10, 0x7f
	s_cselect_b32 s10, s10, 0x7e
	v_mov_b32_e32 v0, s10
.LBB143_135:
	s_lshr_b32 s10, s14, 24
	s_and_b32 s10, s10, 0x80
	v_or_b32_e32 v0, s10, v0
	global_store_byte v[10:11], v0, off
.LBB143_136:
	s_mov_b64 s[10:11], 0
.LBB143_137:
	s_andn2_b64 vcc, exec, s[10:11]
	s_cbranch_vccnz .LBB143_159
; %bb.138:
	v_mov_b32_e32 v0, 0x80
	v_cmp_lt_i16_sdwa s[10:11], s61, v0 src0_sel:BYTE_0 src1_sel:DWORD
	s_and_b64 vcc, exec, s[10:11]
	s_cbranch_vccnz .LBB143_141
; %bb.139:
	v_cmp_eq_u16_sdwa s[10:11], s61, v0 src0_sel:BYTE_0 src1_sel:DWORD
	s_and_b64 vcc, exec, s[10:11]
	s_cbranch_vccz .LBB143_142
; %bb.140:
	s_mov_b64 s[10:11], 0
	s_mov_b32 s14, 0x7f800001
	s_branch .LBB143_143
.LBB143_141:
	s_mov_b64 s[12:13], -1
	s_mov_b64 s[10:11], 0
                                        ; implicit-def: $sgpr14
	s_branch .LBB143_144
.LBB143_142:
	s_mov_b64 s[10:11], -1
                                        ; implicit-def: $sgpr14
.LBB143_143:
	s_mov_b64 s[12:13], 0
.LBB143_144:
	s_and_b64 vcc, exec, s[12:13]
	s_cbranch_vccz .LBB143_149
; %bb.145:
	v_mov_b32_e32 v0, 0
	s_mov_b32 s14, 0
	v_cmp_ne_u16_sdwa s[10:11], s61, v0 src0_sel:BYTE_0 src1_sel:DWORD
	s_andn2_b64 vcc, exec, s[10:11]
	s_cbranch_vccz .LBB143_150
.LBB143_146:
	s_and_b32 s12, s14, 0x7fffffff
	s_cmp_lt_u32 s12, 0x47800000
	s_cbranch_scc0 .LBB143_151
.LBB143_147:
	s_cmp_gt_u32 s12, 0x387fffff
	s_cbranch_scc0 .LBB143_152
; %bb.148:
	s_bfe_u32 s10, s14, 0x10015
	s_add_i32 s10, s14, s10
	s_add_i32 s10, s10, 0x80fffff
	s_lshr_b32 s13, s10, 21
	s_mov_b64 s[10:11], 0
	s_branch .LBB143_153
.LBB143_149:
	s_andn2_b64 vcc, exec, s[10:11]
	s_cbranch_vccnz .LBB143_146
.LBB143_150:
	s_mov_b32 s14, s62
	s_and_b32 s12, s14, 0x7fffffff
	s_cmp_lt_u32 s12, 0x47800000
	s_cbranch_scc1 .LBB143_147
.LBB143_151:
	s_mov_b64 s[10:11], -1
                                        ; implicit-def: $vgpr0
	s_branch .LBB143_156
.LBB143_152:
	s_mov_b64 s[10:11], -1
                                        ; implicit-def: $sgpr13
.LBB143_153:
	s_andn2_b64 vcc, exec, s[10:11]
	v_mov_b32_e32 v0, s13
	s_cbranch_vccnz .LBB143_155
; %bb.154:
	v_mov_b32_e32 v0, 0x43000000
	v_add_f32_e64 v0, |s14|, v0
.LBB143_155:
	s_mov_b64 s[10:11], 0
.LBB143_156:
	s_andn2_b64 vcc, exec, s[10:11]
	s_cbranch_vccnz .LBB143_158
; %bb.157:
	s_cmp_gt_u32 s12, 0x7f800000
	s_movk_i32 s10, 0x7f
	s_cselect_b32 s10, s10, 0x7c
	v_mov_b32_e32 v0, s10
.LBB143_158:
	s_lshr_b32 s10, s14, 24
	s_and_b32 s10, s10, 0x80
	v_or_b32_e32 v0, s10, v0
	global_store_byte v[10:11], v0, off
.LBB143_159:
	s_mov_b64 s[12:13], 0
	s_mov_b64 s[10:11], -1
.LBB143_160:
	s_andn2_b64 vcc, exec, s[12:13]
	s_cbranch_vccnz .LBB143_188
; %bb.161:
	v_cmp_lt_i16_e32 vcc, 14, v13
	s_mov_b64 s[12:13], -1
	s_cbranch_vccz .LBB143_175
; %bb.162:
	v_cmp_eq_u16_e32 vcc, 15, v13
	s_mov_b64 s[8:9], -1
	s_cbranch_vccz .LBB143_174
; %bb.163:
	v_mov_b32_e32 v0, 0x80
	v_cmp_lt_i16_sdwa s[8:9], s61, v0 src0_sel:BYTE_0 src1_sel:DWORD
	s_and_b64 vcc, exec, s[8:9]
	s_cbranch_vccnz .LBB143_166
; %bb.164:
	v_cmp_eq_u16_sdwa s[8:9], s61, v0 src0_sel:BYTE_0 src1_sel:DWORD
	s_and_b64 vcc, exec, s[8:9]
	s_cbranch_vccz .LBB143_167
; %bb.165:
	s_mov_b64 s[8:9], 0
	s_mov_b32 s12, 0x7f800001
	s_branch .LBB143_168
.LBB143_166:
	s_mov_b64 s[10:11], -1
	s_mov_b64 s[8:9], 0
                                        ; implicit-def: $sgpr12
	s_branch .LBB143_169
.LBB143_167:
	s_mov_b64 s[8:9], -1
                                        ; implicit-def: $sgpr12
.LBB143_168:
	s_mov_b64 s[10:11], 0
.LBB143_169:
	s_and_b64 vcc, exec, s[10:11]
	s_cbranch_vccz .LBB143_171
; %bb.170:
	v_mov_b32_e32 v0, 0
	s_mov_b32 s12, 0
	v_cmp_ne_u16_sdwa s[8:9], s61, v0 src0_sel:BYTE_0 src1_sel:DWORD
.LBB143_171:
	s_andn2_b64 vcc, exec, s[8:9]
	s_cbranch_vccnz .LBB143_173
; %bb.172:
	s_mov_b32 s12, s62
.LBB143_173:
	s_bfe_u32 s8, s12, 0x10010
	s_add_i32 s8, s12, s8
	s_addk_i32 s8, 0x7fff
	s_lshr_b32 s10, s8, 16
	v_cmp_o_f32_e64 s[8:9], s12, s12
	s_and_b64 s[8:9], s[8:9], exec
	s_cselect_b32 s8, s10, 0x7fc0
	v_mov_b32_e32 v0, s8
	global_store_short v[10:11], v0, off
	s_mov_b64 s[10:11], -1
	s_mov_b64 s[8:9], 0
.LBB143_174:
	s_mov_b64 s[12:13], 0
.LBB143_175:
	s_and_b64 vcc, exec, s[12:13]
	s_cbranch_vccz .LBB143_188
; %bb.176:
	v_cmp_eq_u16_e32 vcc, 11, v13
	s_mov_b64 s[8:9], -1
	s_cbranch_vccz .LBB143_188
; %bb.177:
	v_mov_b32_e32 v0, 0x80
	v_cmp_lt_i16_sdwa s[8:9], s61, v0 src0_sel:BYTE_0 src1_sel:DWORD
	s_and_b64 vcc, exec, s[8:9]
	s_cbranch_vccnz .LBB143_180
; %bb.178:
	v_cmp_eq_u16_sdwa s[8:9], s61, v0 src0_sel:BYTE_0 src1_sel:DWORD
	s_and_b64 vcc, exec, s[8:9]
	s_cbranch_vccz .LBB143_181
; %bb.179:
	s_mov_b64 s[10:11], 0
	s_mov_b64 s[8:9], -1
	s_branch .LBB143_182
.LBB143_180:
	s_mov_b64 s[12:13], -1
	s_mov_b64 s[10:11], 0
                                        ; implicit-def: $sgpr8_sgpr9
	s_branch .LBB143_183
.LBB143_181:
	s_mov_b64 s[10:11], -1
                                        ; implicit-def: $sgpr8_sgpr9
.LBB143_182:
	s_mov_b64 s[12:13], 0
.LBB143_183:
	s_and_b64 vcc, exec, s[12:13]
	s_cbranch_vccz .LBB143_185
; %bb.184:
	v_mov_b32_e32 v0, 0
	v_cmp_ne_u16_sdwa s[10:11], s61, v0 src0_sel:BYTE_0 src1_sel:DWORD
	s_mov_b64 s[8:9], 0
.LBB143_185:
	s_andn2_b64 vcc, exec, s[10:11]
	s_cbranch_vccnz .LBB143_187
; %bb.186:
	s_mov_b64 s[8:9], s[6:7]
.LBB143_187:
	v_cndmask_b32_e64 v0, 0, 1, s[8:9]
	global_store_byte v[10:11], v0, off
	s_mov_b64 s[10:11], -1
	s_mov_b64 s[8:9], 0
.LBB143_188:
	s_branch .LBB143_26
.LBB143_189:
	v_cmp_gt_i16_e32 vcc, 5, v13
	s_mov_b64 s[10:11], -1
	s_cbranch_vccnz .LBB143_270
; %bb.190:
	v_cmp_gt_i16_e32 vcc, 8, v13
	s_cbranch_vccnz .LBB143_230
; %bb.191:
	v_cmp_gt_i16_e32 vcc, 9, v13
	s_cbranch_vccnz .LBB143_217
; %bb.192:
	v_cmp_lt_i16_e32 vcc, 9, v13
	s_cbranch_vccz .LBB143_204
; %bb.193:
	v_mov_b32_e32 v0, 0x80
	v_cmp_lt_i16_sdwa s[10:11], s61, v0 src0_sel:BYTE_0 src1_sel:DWORD
	s_and_b64 vcc, exec, s[10:11]
	s_cbranch_vccnz .LBB143_196
; %bb.194:
	v_cmp_eq_u16_sdwa s[10:11], s61, v0 src0_sel:BYTE_0 src1_sel:DWORD
	s_and_b64 vcc, exec, s[10:11]
	s_cbranch_vccz .LBB143_197
; %bb.195:
	s_mov_b64 s[10:11], 0
	s_mov_b32 s13, 0x7ff80000
	s_brev_b32 s12, 4
	s_branch .LBB143_198
.LBB143_196:
	s_mov_b64 s[14:15], -1
	s_mov_b64 s[10:11], 0
                                        ; implicit-def: $sgpr12_sgpr13
	s_branch .LBB143_199
.LBB143_197:
	s_mov_b64 s[10:11], -1
                                        ; implicit-def: $sgpr12_sgpr13
.LBB143_198:
	s_mov_b64 s[14:15], 0
.LBB143_199:
	s_and_b64 vcc, exec, s[14:15]
	s_cbranch_vccz .LBB143_201
; %bb.200:
	v_mov_b32_e32 v0, 0
	v_cmp_ne_u16_sdwa s[10:11], s61, v0 src0_sel:BYTE_0 src1_sel:DWORD
	s_mov_b64 s[12:13], 0
.LBB143_201:
	s_andn2_b64 vcc, exec, s[10:11]
	v_pk_mov_b32 v[0:1], s[12:13], s[12:13] op_sel:[0,1]
	s_cbranch_vccnz .LBB143_203
; %bb.202:
	v_pk_mov_b32 v[0:1], v[6:7], v[6:7] op_sel:[0,1]
.LBB143_203:
	v_mov_b32_e32 v2, 0
	v_mov_b32_e32 v3, v2
	global_store_dwordx4 v[10:11], v[0:3], off
	s_mov_b64 s[10:11], 0
.LBB143_204:
	s_and_b64 vcc, exec, s[10:11]
	s_cbranch_vccz .LBB143_216
; %bb.205:
	v_mov_b32_e32 v0, 0x80
	v_cmp_lt_i16_sdwa s[10:11], s61, v0 src0_sel:BYTE_0 src1_sel:DWORD
	s_and_b64 vcc, exec, s[10:11]
	s_cbranch_vccnz .LBB143_208
; %bb.206:
	v_cmp_eq_u16_sdwa s[10:11], s61, v0 src0_sel:BYTE_0 src1_sel:DWORD
	s_and_b64 vcc, exec, s[10:11]
	s_cbranch_vccz .LBB143_209
; %bb.207:
	s_mov_b64 s[10:11], 0
	s_mov_b32 s14, 0x7f800001
	s_branch .LBB143_210
.LBB143_208:
	s_mov_b64 s[12:13], -1
	s_mov_b64 s[10:11], 0
                                        ; implicit-def: $sgpr14
	s_branch .LBB143_211
.LBB143_209:
	s_mov_b64 s[10:11], -1
                                        ; implicit-def: $sgpr14
.LBB143_210:
	s_mov_b64 s[12:13], 0
.LBB143_211:
	s_and_b64 vcc, exec, s[12:13]
	v_mov_b32_e32 v0, s14
	s_cbranch_vccz .LBB143_213
; %bb.212:
	s_mov_b32 s10, 0xffff
	v_mov_b32_e32 v0, s61
	v_mov_b32_e32 v1, 0
	v_and_b32_sdwa v0, s10, v0 dst_sel:DWORD dst_unused:UNUSED_PAD src0_sel:DWORD src1_sel:BYTE_0
	v_cmp_ne_u16_sdwa s[10:11], s61, v1 src0_sel:BYTE_0 src1_sel:DWORD
.LBB143_213:
	s_andn2_b64 vcc, exec, s[10:11]
	s_cbranch_vccnz .LBB143_215
; %bb.214:
	v_mov_b32_e32 v0, s62
.LBB143_215:
	v_mov_b32_e32 v1, 0
	global_store_dwordx2 v[10:11], v[0:1], off
.LBB143_216:
	s_mov_b64 s[10:11], 0
.LBB143_217:
	s_andn2_b64 vcc, exec, s[10:11]
	s_cbranch_vccnz .LBB143_229
; %bb.218:
	v_mov_b32_e32 v0, 0x80
	v_cmp_lt_i16_sdwa s[10:11], s61, v0 src0_sel:BYTE_0 src1_sel:DWORD
	s_and_b64 vcc, exec, s[10:11]
	s_cbranch_vccnz .LBB143_221
; %bb.219:
	v_cmp_eq_u16_sdwa s[10:11], s61, v0 src0_sel:BYTE_0 src1_sel:DWORD
	s_and_b64 vcc, exec, s[10:11]
	s_cbranch_vccz .LBB143_222
; %bb.220:
	s_mov_b64 s[10:11], 0
	s_movk_i32 s14, 0x7e00
	s_branch .LBB143_223
.LBB143_221:
	s_mov_b64 s[12:13], -1
	s_mov_b64 s[10:11], 0
                                        ; implicit-def: $sgpr14
	s_branch .LBB143_224
.LBB143_222:
	s_mov_b64 s[10:11], -1
                                        ; implicit-def: $sgpr14
.LBB143_223:
	s_mov_b64 s[12:13], 0
.LBB143_224:
	s_and_b64 vcc, exec, s[12:13]
	v_mov_b32_e32 v0, s14
	s_cbranch_vccz .LBB143_226
; %bb.225:
	s_mov_b32 s10, 0xffff
	v_mov_b32_e32 v0, s61
	v_mov_b32_e32 v1, 0
	v_and_b32_sdwa v0, s10, v0 dst_sel:DWORD dst_unused:UNUSED_PAD src0_sel:DWORD src1_sel:BYTE_0
	v_cmp_ne_u16_sdwa s[10:11], s61, v1 src0_sel:BYTE_0 src1_sel:DWORD
.LBB143_226:
	s_andn2_b64 vcc, exec, s[10:11]
	s_cbranch_vccnz .LBB143_228
; %bb.227:
	v_mov_b32_e32 v0, v14
.LBB143_228:
	global_store_dword v[10:11], v0, off
.LBB143_229:
	s_mov_b64 s[10:11], 0
.LBB143_230:
	s_andn2_b64 vcc, exec, s[10:11]
	s_cbranch_vccnz .LBB143_269
; %bb.231:
	v_cmp_gt_i16_e32 vcc, 6, v13
	s_mov_b64 s[10:11], -1
	s_cbranch_vccnz .LBB143_257
; %bb.232:
	v_cmp_lt_i16_e32 vcc, 6, v13
	s_cbranch_vccz .LBB143_244
; %bb.233:
	v_mov_b32_e32 v0, 0x80
	v_cmp_lt_i16_sdwa s[10:11], s61, v0 src0_sel:BYTE_0 src1_sel:DWORD
	s_and_b64 vcc, exec, s[10:11]
	s_cbranch_vccnz .LBB143_236
; %bb.234:
	v_cmp_eq_u16_sdwa s[10:11], s61, v0 src0_sel:BYTE_0 src1_sel:DWORD
	s_and_b64 vcc, exec, s[10:11]
	s_cbranch_vccz .LBB143_237
; %bb.235:
	s_mov_b64 s[10:11], 0
	s_mov_b32 s13, 0x7ff80000
	s_brev_b32 s12, 4
	s_branch .LBB143_238
.LBB143_236:
	s_mov_b64 s[14:15], -1
	s_mov_b64 s[10:11], 0
                                        ; implicit-def: $sgpr12_sgpr13
	s_branch .LBB143_239
.LBB143_237:
	s_mov_b64 s[10:11], -1
                                        ; implicit-def: $sgpr12_sgpr13
.LBB143_238:
	s_mov_b64 s[14:15], 0
.LBB143_239:
	s_and_b64 vcc, exec, s[14:15]
	s_cbranch_vccz .LBB143_241
; %bb.240:
	v_mov_b32_e32 v0, 0
	v_cmp_ne_u16_sdwa s[10:11], s61, v0 src0_sel:BYTE_0 src1_sel:DWORD
	s_mov_b64 s[12:13], 0
.LBB143_241:
	s_andn2_b64 vcc, exec, s[10:11]
	v_pk_mov_b32 v[0:1], s[12:13], s[12:13] op_sel:[0,1]
	s_cbranch_vccnz .LBB143_243
; %bb.242:
	v_pk_mov_b32 v[0:1], v[6:7], v[6:7] op_sel:[0,1]
.LBB143_243:
	global_store_dwordx2 v[10:11], v[0:1], off
	s_mov_b64 s[10:11], 0
.LBB143_244:
	s_and_b64 vcc, exec, s[10:11]
	s_cbranch_vccz .LBB143_256
; %bb.245:
	v_mov_b32_e32 v0, 0x80
	v_cmp_lt_i16_sdwa s[10:11], s61, v0 src0_sel:BYTE_0 src1_sel:DWORD
	s_and_b64 vcc, exec, s[10:11]
	s_cbranch_vccnz .LBB143_248
; %bb.246:
	v_cmp_eq_u16_sdwa s[10:11], s61, v0 src0_sel:BYTE_0 src1_sel:DWORD
	s_and_b64 vcc, exec, s[10:11]
	s_cbranch_vccz .LBB143_249
; %bb.247:
	s_mov_b64 s[10:11], 0
	s_mov_b32 s14, 0x7f800001
	s_branch .LBB143_250
.LBB143_248:
	s_mov_b64 s[12:13], -1
	s_mov_b64 s[10:11], 0
                                        ; implicit-def: $sgpr14
	s_branch .LBB143_251
.LBB143_249:
	s_mov_b64 s[10:11], -1
                                        ; implicit-def: $sgpr14
.LBB143_250:
	s_mov_b64 s[12:13], 0
.LBB143_251:
	s_and_b64 vcc, exec, s[12:13]
	s_cbranch_vccz .LBB143_253
; %bb.252:
	v_mov_b32_e32 v0, 0
	s_mov_b32 s14, 0
	v_cmp_ne_u16_sdwa s[10:11], s61, v0 src0_sel:BYTE_0 src1_sel:DWORD
.LBB143_253:
	s_andn2_b64 vcc, exec, s[10:11]
	s_cbranch_vccnz .LBB143_255
; %bb.254:
	s_mov_b32 s14, s62
.LBB143_255:
	v_mov_b32_e32 v0, s14
	global_store_dword v[10:11], v0, off
.LBB143_256:
	s_mov_b64 s[10:11], 0
.LBB143_257:
	s_andn2_b64 vcc, exec, s[10:11]
	s_cbranch_vccnz .LBB143_269
; %bb.258:
	v_mov_b32_e32 v0, 0xff
	v_and_b32_e32 v0, s61, v0
	s_movk_i32 s10, 0x80
	v_cmp_gt_i16_e32 vcc, s10, v0
	s_cbranch_vccnz .LBB143_261
; %bb.259:
	v_cmp_eq_u16_e32 vcc, s10, v0
	s_cbranch_vccz .LBB143_262
; %bb.260:
	s_mov_b64 s[10:11], 0
	s_movk_i32 s14, 0x7e00
	s_branch .LBB143_263
.LBB143_261:
	s_mov_b64 s[12:13], -1
	s_mov_b64 s[10:11], 0
                                        ; implicit-def: $sgpr14
	s_branch .LBB143_264
.LBB143_262:
	s_mov_b64 s[10:11], -1
                                        ; implicit-def: $sgpr14
.LBB143_263:
	s_mov_b64 s[12:13], 0
.LBB143_264:
	s_and_b64 vcc, exec, s[12:13]
	v_mov_b32_e32 v1, s14
	s_cbranch_vccz .LBB143_266
; %bb.265:
	v_cmp_ne_u16_e64 s[10:11], 0, v0
	v_mov_b32_e32 v1, v0
.LBB143_266:
	s_andn2_b64 vcc, exec, s[10:11]
	s_cbranch_vccnz .LBB143_268
; %bb.267:
	v_mov_b32_e32 v1, v14
.LBB143_268:
	global_store_short v[10:11], v1, off
.LBB143_269:
	s_mov_b64 s[10:11], 0
.LBB143_270:
	s_andn2_b64 vcc, exec, s[10:11]
	s_cbranch_vccnz .LBB143_321
; %bb.271:
	v_cmp_gt_i16_e32 vcc, 2, v13
	s_mov_b64 s[10:11], -1
	s_cbranch_vccnz .LBB143_302
; %bb.272:
	v_cmp_gt_i16_e32 vcc, 3, v13
	s_cbranch_vccnz .LBB143_292
; %bb.273:
	v_cmp_lt_i16_e32 vcc, 3, v13
	s_cbranch_vccz .LBB143_282
; %bb.274:
	v_mov_b32_e32 v0, 0x80
	v_cmp_lt_i16_sdwa s[10:11], s61, v0 src0_sel:BYTE_0 src1_sel:DWORD
	s_and_b64 vcc, exec, s[10:11]
	s_cbranch_vccnz .LBB143_276
; %bb.275:
	v_cmp_ne_u16_sdwa s[10:11], s61, v0 src0_sel:BYTE_0 src1_sel:DWORD
	s_mov_b64 s[14:15], 0
	s_mov_b64 s[12:13], 0
	s_branch .LBB143_277
.LBB143_276:
	s_mov_b64 s[14:15], -1
	s_mov_b64 s[10:11], 0
                                        ; implicit-def: $sgpr12_sgpr13
.LBB143_277:
	s_andn2_b64 vcc, exec, s[14:15]
	s_cbranch_vccnz .LBB143_279
; %bb.278:
	v_mov_b32_e32 v0, 0
	v_cmp_ne_u16_sdwa s[10:11], s61, v0 src0_sel:BYTE_0 src1_sel:DWORD
	s_mov_b64 s[12:13], 0
.LBB143_279:
	s_andn2_b64 vcc, exec, s[10:11]
	v_pk_mov_b32 v[0:1], s[12:13], s[12:13] op_sel:[0,1]
	s_cbranch_vccnz .LBB143_281
; %bb.280:
	v_pk_mov_b32 v[0:1], v[4:5], v[4:5] op_sel:[0,1]
.LBB143_281:
	global_store_dwordx2 v[10:11], v[0:1], off
	s_mov_b64 s[10:11], 0
.LBB143_282:
	s_and_b64 vcc, exec, s[10:11]
	s_cbranch_vccz .LBB143_291
; %bb.283:
	v_mov_b32_e32 v0, 0x80
	v_cmp_lt_i16_sdwa s[10:11], s61, v0 src0_sel:BYTE_0 src1_sel:DWORD
	s_and_b64 vcc, exec, s[10:11]
	s_cbranch_vccnz .LBB143_285
; %bb.284:
	v_cmp_ne_u16_sdwa s[10:11], s61, v0 src0_sel:BYTE_0 src1_sel:DWORD
	s_mov_b64 s[12:13], 0
	s_mov_b32 s14, 0
	s_branch .LBB143_286
.LBB143_285:
	s_mov_b64 s[12:13], -1
	s_mov_b64 s[10:11], 0
                                        ; implicit-def: $sgpr14
.LBB143_286:
	s_andn2_b64 vcc, exec, s[12:13]
	s_cbranch_vccnz .LBB143_288
; %bb.287:
	v_mov_b32_e32 v0, 0
	s_mov_b32 s14, 0
	v_cmp_ne_u16_sdwa s[10:11], s61, v0 src0_sel:BYTE_0 src1_sel:DWORD
.LBB143_288:
	s_andn2_b64 vcc, exec, s[10:11]
	v_mov_b32_e32 v0, s14
	s_cbranch_vccnz .LBB143_290
; %bb.289:
	v_mov_b32_e32 v0, v12
.LBB143_290:
	global_store_dword v[10:11], v0, off
.LBB143_291:
	s_mov_b64 s[10:11], 0
.LBB143_292:
	s_andn2_b64 vcc, exec, s[10:11]
	s_cbranch_vccnz .LBB143_301
; %bb.293:
	v_mov_b32_e32 v0, 0x80
	v_cmp_lt_i16_sdwa s[10:11], s61, v0 src0_sel:BYTE_0 src1_sel:DWORD
	s_and_b64 vcc, exec, s[10:11]
	s_cbranch_vccnz .LBB143_295
; %bb.294:
	v_cmp_ne_u16_sdwa s[10:11], s61, v0 src0_sel:BYTE_0 src1_sel:DWORD
	s_mov_b64 s[12:13], 0
	s_mov_b32 s14, 0
	s_branch .LBB143_296
.LBB143_295:
	s_mov_b64 s[12:13], -1
	s_mov_b64 s[10:11], 0
                                        ; implicit-def: $sgpr14
.LBB143_296:
	s_andn2_b64 vcc, exec, s[12:13]
	s_cbranch_vccnz .LBB143_298
; %bb.297:
	v_mov_b32_e32 v0, 0
	s_mov_b32 s14, 0
	v_cmp_ne_u16_sdwa s[10:11], s61, v0 src0_sel:BYTE_0 src1_sel:DWORD
.LBB143_298:
	s_andn2_b64 vcc, exec, s[10:11]
	v_mov_b32_e32 v0, s14
	s_cbranch_vccnz .LBB143_300
; %bb.299:
	v_mov_b32_e32 v0, v12
.LBB143_300:
	global_store_short v[10:11], v0, off
.LBB143_301:
	s_mov_b64 s[10:11], 0
.LBB143_302:
	s_andn2_b64 vcc, exec, s[10:11]
	s_cbranch_vccnz .LBB143_321
; %bb.303:
	v_cmp_lt_i16_e32 vcc, 0, v13
	s_mov_b64 s[10:11], -1
	s_cbranch_vccz .LBB143_312
; %bb.304:
	v_mov_b32_e32 v0, 0x80
	v_cmp_lt_i16_sdwa s[10:11], s61, v0 src0_sel:BYTE_0 src1_sel:DWORD
	s_and_b64 vcc, exec, s[10:11]
	s_cbranch_vccnz .LBB143_306
; %bb.305:
	v_cmp_ne_u16_sdwa s[10:11], s61, v0 src0_sel:BYTE_0 src1_sel:DWORD
	s_mov_b64 s[12:13], 0
	s_mov_b32 s14, 0
	s_branch .LBB143_307
.LBB143_306:
	s_mov_b64 s[12:13], -1
	s_mov_b64 s[10:11], 0
                                        ; implicit-def: $sgpr14
.LBB143_307:
	s_andn2_b64 vcc, exec, s[12:13]
	s_cbranch_vccnz .LBB143_309
; %bb.308:
	v_mov_b32_e32 v0, 0
	s_mov_b32 s14, 0
	v_cmp_ne_u16_sdwa s[10:11], s61, v0 src0_sel:BYTE_0 src1_sel:DWORD
.LBB143_309:
	s_andn2_b64 vcc, exec, s[10:11]
	v_mov_b32_e32 v0, s14
	s_cbranch_vccnz .LBB143_311
; %bb.310:
	v_mov_b32_e32 v0, v12
.LBB143_311:
	global_store_byte v[10:11], v0, off
	s_mov_b64 s[10:11], 0
.LBB143_312:
	s_and_b64 vcc, exec, s[10:11]
	s_cbranch_vccz .LBB143_321
; %bb.313:
	v_mov_b32_e32 v0, 0x80
	v_cmp_lt_i16_sdwa s[10:11], s61, v0 src0_sel:BYTE_0 src1_sel:DWORD
	s_and_b64 vcc, exec, s[10:11]
	s_cbranch_vccnz .LBB143_315
; %bb.314:
	v_cmp_ne_u16_sdwa s[10:11], s61, v0 src0_sel:BYTE_0 src1_sel:DWORD
	s_mov_b64 s[12:13], 0
	s_mov_b32 s14, 0
	s_branch .LBB143_316
.LBB143_315:
	s_mov_b64 s[12:13], -1
	s_mov_b64 s[10:11], 0
                                        ; implicit-def: $sgpr14
.LBB143_316:
	s_andn2_b64 vcc, exec, s[12:13]
	s_cbranch_vccnz .LBB143_318
; %bb.317:
	v_mov_b32_e32 v0, 0
	s_mov_b32 s14, 0
	v_cmp_ne_u16_sdwa s[10:11], s61, v0 src0_sel:BYTE_0 src1_sel:DWORD
.LBB143_318:
	s_andn2_b64 vcc, exec, s[10:11]
	v_mov_b32_e32 v0, s14
	s_cbranch_vccnz .LBB143_320
; %bb.319:
	v_mov_b32_e32 v0, v4
.LBB143_320:
	global_store_byte v[10:11], v0, off
.LBB143_321:
	s_branch .LBB143_27
.LBB143_322:
	s_mov_b64 s[10:11], 0
                                        ; implicit-def: $vgpr15
.LBB143_323:
	s_and_b64 s[46:47], s[8:9], exec
	s_orn2_b64 s[10:11], s[10:11], exec
.LBB143_324:
	s_or_b64 exec, exec, s[48:49]
	s_mov_b64 s[8:9], 0
                                        ; implicit-def: $vgpr10_vgpr11
	s_and_saveexec_b64 s[48:49], s[10:11]
	s_cbranch_execz .LBB143_331
; %bb.325:
	v_cmp_gt_i32_e32 vcc, s64, v15
	s_mov_b64 s[8:9], -1
	s_mov_b64 s[50:51], s[46:47]
	s_and_saveexec_b64 s[52:53], vcc
	s_cbranch_execz .LBB143_660
; %bb.326:
	s_andn2_b64 vcc, exec, s[30:31]
	s_cbranch_vccnz .LBB143_341
; %bb.327:
	s_andn2_b64 vcc, exec, s[44:45]
	s_cbranch_vccnz .LBB143_343
; %bb.328:
	s_add_i32 s57, s65, 1
	s_mov_b32 s56, 0
	s_cmp_eq_u32 s60, 2
	v_mov_b32_e32 v0, 0
	s_cbranch_scc1 .LBB143_344
; %bb.329:
	s_and_b32 s56, s57, 28
	s_mov_b32 s58, 0
	v_mov_b32_e32 v0, 0
	s_mov_b64 s[50:51], s[24:25]
	s_mov_b64 s[54:55], s[42:43]
	v_mov_b32_e32 v2, v15
.LBB143_330:                            ; =>This Inner Loop Header: Depth=1
	s_load_dwordx8 s[8:15], s[50:51], 0x4
	s_load_dwordx4 s[16:19], s[50:51], 0x24
	s_load_dwordx4 s[20:23], s[54:55], 0x0
	s_add_u32 s50, s50, 48
	s_addc_u32 s51, s51, 0
	s_waitcnt lgkmcnt(0)
	v_mul_hi_u32 v1, s9, v2
	v_add_u32_e32 v1, v2, v1
	v_lshrrev_b32_e32 v1, s10, v1
	v_mul_lo_u32 v3, v1, s8
	v_mul_hi_u32 v10, s12, v1
	v_sub_u32_e32 v2, v2, v3
	v_add_u32_e32 v3, v1, v10
	v_lshrrev_b32_e32 v3, s13, v3
	v_mul_lo_u32 v10, v3, s11
	v_mul_hi_u32 v11, s15, v3
	v_sub_u32_e32 v1, v1, v10
	v_add_u32_e32 v10, v3, v11
	v_mul_lo_u32 v2, v2, s20
	v_mul_lo_u32 v1, v1, s21
	v_lshrrev_b32_e32 v10, s16, v10
	v_add3_u32 v0, v2, v0, v1
	v_mul_hi_u32 v2, s18, v10
	v_add_u32_e32 v2, v10, v2
	v_mul_lo_u32 v1, v10, s14
	v_lshrrev_b32_e32 v2, s19, v2
	s_add_i32 s58, s58, 4
	v_sub_u32_e32 v1, v3, v1
	v_mul_lo_u32 v3, v2, s17
	s_add_u32 s54, s54, 16
	v_sub_u32_e32 v3, v10, v3
	s_addc_u32 s55, s55, 0
	v_mul_lo_u32 v1, v1, s22
	v_mul_lo_u32 v3, v3, s23
	s_cmp_eq_u32 s56, s58
	v_add3_u32 v0, v1, v0, v3
	s_cbranch_scc0 .LBB143_330
	s_branch .LBB143_345
.LBB143_331:
	s_or_b64 exec, exec, s[48:49]
	s_mov_b64 s[0:1], 0
	s_and_saveexec_b64 s[2:3], s[46:47]
	s_cbranch_execnz .LBB143_1165
.LBB143_332:
	s_or_b64 exec, exec, s[2:3]
	s_and_saveexec_b64 s[2:3], s[52:53]
	s_cbranch_execz .LBB143_1166
.LBB143_333:
	v_mov_b32_e32 v0, 0x80
	v_cmp_lt_i16_sdwa s[10:11], s61, v0 src0_sel:BYTE_0 src1_sel:DWORD
	s_and_b64 vcc, exec, s[10:11]
	s_cbranch_vccnz .LBB143_336
; %bb.334:
	v_cmp_eq_u16_sdwa s[10:11], s61, v0 src0_sel:BYTE_0 src1_sel:DWORD
	s_and_b64 vcc, exec, s[10:11]
	s_cbranch_vccz .LBB143_342
; %bb.335:
	s_mov_b64 s[12:13], 0
	s_mov_b64 s[10:11], -1
	s_branch .LBB143_338
.LBB143_336:
	s_mov_b64 s[12:13], 0
                                        ; implicit-def: $sgpr10_sgpr11
	s_cbranch_execz .LBB143_338
; %bb.337:
	v_mov_b32_e32 v0, 0
	v_cmp_ne_u16_sdwa s[12:13], s61, v0 src0_sel:BYTE_0 src1_sel:DWORD
	s_mov_b64 s[10:11], 0
.LBB143_338:
	s_andn2_b64 vcc, exec, s[12:13]
	s_cbranch_vccnz .LBB143_340
; %bb.339:
	s_mov_b64 s[10:11], s[6:7]
.LBB143_340:
	v_cndmask_b32_e64 v0, 0, 1, s[10:11]
	global_store_byte v[10:11], v0, off
	s_or_b64 exec, exec, s[2:3]
	s_and_saveexec_b64 s[2:3], s[8:9]
	s_xor_b64 s[2:3], exec, s[2:3]
	s_cbranch_execz .LBB143_1299
	s_branch .LBB143_1167
.LBB143_341:
                                        ; implicit-def: $vgpr0
	s_andn2_b64 vcc, exec, s[8:9]
	s_cbranch_vccz .LBB143_349
	s_branch .LBB143_351
.LBB143_342:
	s_mov_b64 s[12:13], -1
                                        ; implicit-def: $sgpr10_sgpr11
	s_branch .LBB143_338
.LBB143_343:
	v_mov_b32_e32 v0, 0
	s_branch .LBB143_348
.LBB143_344:
	v_mov_b32_e32 v2, v15
.LBB143_345:
	s_and_b32 s12, s57, 3
	s_cmp_eq_u32 s12, 0
	s_cbranch_scc1 .LBB143_348
; %bb.346:
	s_lshl_b32 s8, s56, 2
	s_add_u32 s8, s8, s24
	s_addc_u32 s9, s25, 0
	s_add_u32 s8, s8, 0xc4
	s_addc_u32 s9, s9, 0
	s_mul_i32 s10, s56, 12
	s_add_u32 s10, s24, s10
	s_addc_u32 s11, s25, 0
.LBB143_347:                            ; =>This Inner Loop Header: Depth=1
	s_load_dwordx2 s[14:15], s[10:11], 0x4
	s_load_dword s13, s[10:11], 0xc
	s_load_dword s16, s[8:9], 0x0
	s_add_u32 s10, s10, 12
	s_addc_u32 s11, s11, 0
	s_waitcnt lgkmcnt(0)
	v_mul_hi_u32 v1, s15, v2
	v_add_u32_e32 v1, v2, v1
	v_lshrrev_b32_e32 v1, s13, v1
	s_add_u32 s8, s8, 4
	v_mul_lo_u32 v3, v1, s14
	s_addc_u32 s9, s9, 0
	s_add_i32 s12, s12, -1
	v_sub_u32_e32 v3, v2, v3
	s_cmp_lg_u32 s12, 0
	v_mov_b32_e32 v2, v1
	v_mad_u64_u32 v[0:1], s[14:15], v3, s16, v[0:1]
	s_cbranch_scc1 .LBB143_347
.LBB143_348:
	s_cbranch_execnz .LBB143_351
.LBB143_349:
	v_mul_hi_u32 v0, s1, v15
	v_add_u32_e32 v0, v15, v0
	v_lshrrev_b32_e32 v1, s2, v0
	v_mul_lo_u32 v0, v1, s0
	v_sub_u32_e32 v0, v15, v0
	s_andn2_b64 vcc, exec, s[40:41]
	v_mul_lo_u32 v0, v0, s36
	s_cbranch_vccnz .LBB143_351
; %bb.350:
	v_mul_hi_u32 v2, s38, v1
	v_add_u32_e32 v2, v1, v2
	v_lshrrev_b32_e32 v2, s39, v2
	v_mul_lo_u32 v2, v2, s3
	v_sub_u32_e32 v1, v1, v2
	v_mad_u64_u32 v[0:1], s[8:9], v1, s37, v[0:1]
.LBB143_351:
	v_mov_b32_e32 v1, s35
	v_add_co_u32_e32 v10, vcc, s34, v0
	v_addc_co_u32_e32 v11, vcc, 0, v1, vcc
	v_cmp_gt_i16_e32 vcc, 11, v13
	s_cbranch_vccnz .LBB143_360
; %bb.352:
	v_cmp_lt_i16_e32 vcc, 25, v13
	s_cbranch_vccz .LBB143_363
; %bb.353:
	v_cmp_lt_i16_e32 vcc, 28, v13
	s_cbranch_vccz .LBB143_364
	;; [unrolled: 3-line block ×4, first 2 shown]
; %bb.356:
	v_cmp_eq_u16_e32 vcc, 46, v13
	s_mov_b64 s[12:13], 0
	s_mov_b64 s[8:9], -1
	s_mov_b64 s[10:11], 0
	s_cbranch_vccz .LBB143_375
; %bb.357:
	v_mov_b32_e32 v0, 0x80
	v_cmp_lt_i16_sdwa s[8:9], s61, v0 src0_sel:BYTE_0 src1_sel:DWORD
	s_and_b64 vcc, exec, s[8:9]
	s_cbranch_vccnz .LBB143_367
; %bb.358:
	v_cmp_eq_u16_sdwa s[8:9], s61, v0 src0_sel:BYTE_0 src1_sel:DWORD
	s_and_b64 vcc, exec, s[8:9]
	s_cbranch_vccz .LBB143_368
; %bb.359:
	s_mov_b64 s[8:9], 0
	s_mov_b32 s14, 0x7f800001
	s_branch .LBB143_370
.LBB143_360:
	s_mov_b64 s[10:11], 0
	s_mov_b64 s[8:9], s[46:47]
	s_cbranch_execnz .LBB143_525
.LBB143_361:
	s_andn2_b64 vcc, exec, s[10:11]
	s_cbranch_vccnz .LBB143_658
.LBB143_362:
	v_add_u32_e32 v15, 0x80, v15
	s_mov_b64 s[10:11], -1
	s_branch .LBB143_659
.LBB143_363:
	s_mov_b64 s[12:13], -1
	s_mov_b64 s[10:11], 0
	s_mov_b64 s[8:9], s[46:47]
	s_branch .LBB143_427
.LBB143_364:
	s_mov_b64 s[12:13], -1
	s_mov_b64 s[10:11], 0
	s_mov_b64 s[8:9], s[46:47]
	s_branch .LBB143_402
.LBB143_365:
	s_mov_b64 s[12:13], -1
	s_mov_b64 s[10:11], 0
	s_mov_b64 s[8:9], s[46:47]
	s_branch .LBB143_389
.LBB143_366:
	s_mov_b64 s[12:13], -1
	s_mov_b64 s[10:11], 0
	s_mov_b64 s[8:9], s[46:47]
	s_branch .LBB143_375
.LBB143_367:
	s_mov_b64 s[10:11], -1
	s_mov_b64 s[8:9], 0
	s_branch .LBB143_369
.LBB143_368:
	s_mov_b64 s[8:9], -1
.LBB143_369:
                                        ; implicit-def: $sgpr14
.LBB143_370:
	s_and_b64 vcc, exec, s[10:11]
	s_cbranch_vccz .LBB143_372
; %bb.371:
	v_mov_b32_e32 v0, 0
	s_mov_b32 s14, 0
	v_cmp_ne_u16_sdwa s[8:9], s61, v0 src0_sel:BYTE_0 src1_sel:DWORD
.LBB143_372:
	s_andn2_b64 vcc, exec, s[8:9]
	s_cbranch_vccnz .LBB143_374
; %bb.373:
	s_mov_b32 s14, s62
.LBB143_374:
	s_bfe_u32 s8, s14, 0x10010
	s_add_i32 s8, s14, s8
	s_addk_i32 s8, 0x7fff
	s_lshr_b32 s10, s8, 16
	v_cmp_o_f32_e64 s[8:9], s14, s14
	s_and_b64 s[8:9], s[8:9], exec
	s_cselect_b32 s8, s10, 0x7fc0
	v_mov_b32_e32 v0, s8
	global_store_dword v[10:11], v0, off
	s_mov_b64 s[10:11], -1
	s_mov_b64 s[8:9], 0
.LBB143_375:
	s_and_b64 vcc, exec, s[12:13]
	s_cbranch_vccz .LBB143_388
; %bb.376:
	v_cmp_eq_u16_e32 vcc, 44, v13
	s_mov_b64 s[8:9], -1
	s_cbranch_vccz .LBB143_388
; %bb.377:
	v_mov_b32_e32 v0, 0xff
	v_and_b32_e32 v0, s61, v0
	s_movk_i32 s8, 0x80
	v_cmp_gt_i16_e32 vcc, s8, v0
	v_readfirstlane_b32 s13, v0
	s_cbranch_vccnz .LBB143_380
; %bb.378:
	v_mov_b32_e32 v0, 0x80
	v_cmp_eq_u16_e32 vcc, s13, v0
	s_cbranch_vccz .LBB143_381
; %bb.379:
	s_mov_b64 s[8:9], 0
	s_mov_b32 s12, 0x7f800001
	s_branch .LBB143_382
.LBB143_380:
	s_mov_b64 s[10:11], -1
	s_mov_b64 s[8:9], 0
                                        ; implicit-def: $sgpr12
	s_branch .LBB143_383
.LBB143_381:
	s_mov_b64 s[8:9], -1
                                        ; implicit-def: $sgpr12
.LBB143_382:
	s_mov_b64 s[10:11], 0
.LBB143_383:
	s_and_b64 vcc, exec, s[10:11]
	s_cbranch_vccz .LBB143_393
; %bb.384:
	s_and_b32 s12, 0xffff, s13
	v_cmp_ne_u16_e64 s[8:9], s13, 0
	s_andn2_b64 vcc, exec, s[8:9]
	s_cbranch_vccz .LBB143_394
.LBB143_385:
	s_bfe_u32 s8, s12, 0x80017
	s_cmpk_eq_i32 s8, 0xff
	v_mov_b32_e32 v0, 0xff
	s_cbranch_scc1 .LBB143_387
.LBB143_386:
	s_lshr_b32 s13, s12, 23
	s_bitcmp1_b32 s12, 22
	s_cselect_b64 s[10:11], -1, 0
	s_and_b32 s9, s12, 0x3fffff
	s_or_b32 s8, s8, s9
	s_cmp_lg_u32 s8, 0
	s_cselect_b64 s[8:9], -1, 0
	s_and_b64 s[8:9], s[10:11], s[8:9]
	v_cndmask_b32_e64 v0, 0, 1, s[8:9]
	v_add_u32_e32 v0, s13, v0
.LBB143_387:
	s_mov_b64 s[10:11], -1
	s_mov_b64 s[8:9], 0
	global_store_byte v[10:11], v0, off
.LBB143_388:
	s_mov_b64 s[12:13], 0
.LBB143_389:
	s_and_b64 vcc, exec, s[12:13]
	s_cbranch_vccz .LBB143_401
; %bb.390:
	v_cmp_eq_u16_e32 vcc, 29, v13
	s_mov_b64 s[8:9], -1
	s_cbranch_vccz .LBB143_401
; %bb.391:
	v_mov_b32_e32 v0, 0x80
	v_cmp_lt_i16_sdwa s[8:9], s61, v0 src0_sel:BYTE_0 src1_sel:DWORD
	s_and_b64 vcc, exec, s[8:9]
	s_cbranch_vccnz .LBB143_395
; %bb.392:
	v_cmp_ne_u16_sdwa s[8:9], s61, v0 src0_sel:BYTE_0 src1_sel:DWORD
	s_mov_b64 s[12:13], 0
	s_mov_b64 s[10:11], 0
	s_branch .LBB143_396
.LBB143_393:
	s_andn2_b64 vcc, exec, s[8:9]
	s_cbranch_vccnz .LBB143_385
.LBB143_394:
	s_mov_b32 s12, s63
	s_bfe_u32 s8, s12, 0x80017
	s_cmpk_eq_i32 s8, 0xff
	v_mov_b32_e32 v0, 0xff
	s_cbranch_scc0 .LBB143_386
	s_branch .LBB143_387
.LBB143_395:
	s_mov_b64 s[12:13], -1
	s_mov_b64 s[8:9], 0
                                        ; implicit-def: $sgpr10_sgpr11
.LBB143_396:
	s_andn2_b64 vcc, exec, s[12:13]
	s_cbranch_vccnz .LBB143_398
; %bb.397:
	v_mov_b32_e32 v0, 0
	v_cmp_ne_u16_sdwa s[8:9], s61, v0 src0_sel:BYTE_0 src1_sel:DWORD
	s_mov_b64 s[10:11], 0
.LBB143_398:
	s_andn2_b64 vcc, exec, s[8:9]
	v_pk_mov_b32 v[0:1], s[10:11], s[10:11] op_sel:[0,1]
	s_cbranch_vccnz .LBB143_400
; %bb.399:
	v_pk_mov_b32 v[0:1], v[8:9], v[8:9] op_sel:[0,1]
.LBB143_400:
	global_store_dwordx2 v[10:11], v[0:1], off
	s_mov_b64 s[10:11], -1
	s_mov_b64 s[8:9], 0
.LBB143_401:
	s_mov_b64 s[12:13], 0
.LBB143_402:
	s_and_b64 vcc, exec, s[12:13]
	s_cbranch_vccz .LBB143_426
; %bb.403:
	v_cmp_gt_i16_e32 vcc, 27, v13
	s_mov_b64 s[10:11], -1
	s_cbranch_vccnz .LBB143_423
; %bb.404:
	v_cmp_lt_i16_e32 vcc, 27, v13
	s_cbranch_vccz .LBB143_413
; %bb.405:
	v_mov_b32_e32 v0, 0x80
	v_cmp_lt_i16_sdwa s[10:11], s61, v0 src0_sel:BYTE_0 src1_sel:DWORD
	s_and_b64 vcc, exec, s[10:11]
	s_cbranch_vccnz .LBB143_407
; %bb.406:
	v_cmp_ne_u16_sdwa s[10:11], s61, v0 src0_sel:BYTE_0 src1_sel:DWORD
	s_mov_b64 s[12:13], 0
	s_mov_b32 s14, 0
	s_branch .LBB143_408
.LBB143_407:
	s_mov_b64 s[12:13], -1
	s_mov_b64 s[10:11], 0
                                        ; implicit-def: $sgpr14
.LBB143_408:
	s_andn2_b64 vcc, exec, s[12:13]
	s_cbranch_vccnz .LBB143_410
; %bb.409:
	v_mov_b32_e32 v0, 0
	s_mov_b32 s14, 0
	v_cmp_ne_u16_sdwa s[10:11], s61, v0 src0_sel:BYTE_0 src1_sel:DWORD
.LBB143_410:
	s_andn2_b64 vcc, exec, s[10:11]
	v_mov_b32_e32 v0, s14
	s_cbranch_vccnz .LBB143_412
; %bb.411:
	v_mov_b32_e32 v0, v16
.LBB143_412:
	global_store_dword v[10:11], v0, off
	s_mov_b64 s[10:11], 0
.LBB143_413:
	s_and_b64 vcc, exec, s[10:11]
	s_cbranch_vccz .LBB143_422
; %bb.414:
	v_mov_b32_e32 v0, 0x80
	v_cmp_lt_i16_sdwa s[10:11], s61, v0 src0_sel:BYTE_0 src1_sel:DWORD
	s_and_b64 vcc, exec, s[10:11]
	s_cbranch_vccnz .LBB143_416
; %bb.415:
	v_cmp_ne_u16_sdwa s[10:11], s61, v0 src0_sel:BYTE_0 src1_sel:DWORD
	s_mov_b64 s[12:13], 0
	s_mov_b32 s14, 0
	s_branch .LBB143_417
.LBB143_416:
	s_mov_b64 s[12:13], -1
	s_mov_b64 s[10:11], 0
                                        ; implicit-def: $sgpr14
.LBB143_417:
	s_andn2_b64 vcc, exec, s[12:13]
	s_cbranch_vccnz .LBB143_419
; %bb.418:
	v_mov_b32_e32 v0, 0
	s_mov_b32 s14, 0
	v_cmp_ne_u16_sdwa s[10:11], s61, v0 src0_sel:BYTE_0 src1_sel:DWORD
.LBB143_419:
	s_andn2_b64 vcc, exec, s[10:11]
	v_mov_b32_e32 v0, s14
	s_cbranch_vccnz .LBB143_421
; %bb.420:
	v_mov_b32_e32 v0, v16
.LBB143_421:
	global_store_short v[10:11], v0, off
.LBB143_422:
	s_mov_b64 s[10:11], 0
.LBB143_423:
	s_andn2_b64 vcc, exec, s[10:11]
	s_cbranch_vccnz .LBB143_425
; %bb.424:
	v_mov_b32_e32 v0, s61
	global_store_byte v[10:11], v0, off
.LBB143_425:
	s_mov_b64 s[10:11], -1
.LBB143_426:
	s_mov_b64 s[12:13], 0
.LBB143_427:
	s_and_b64 vcc, exec, s[12:13]
	s_cbranch_vccz .LBB143_524
; %bb.428:
	v_cmp_lt_i16_e32 vcc, 22, v13
	s_mov_b64 s[12:13], -1
	s_cbranch_vccz .LBB143_496
; %bb.429:
	v_cmp_gt_i16_e32 vcc, 24, v13
	s_mov_b64 s[10:11], -1
	s_cbranch_vccnz .LBB143_473
; %bb.430:
	v_cmp_lt_i16_e32 vcc, 24, v13
	s_cbranch_vccz .LBB143_450
; %bb.431:
	v_mov_b32_e32 v0, 0x80
	v_cmp_lt_i16_sdwa s[10:11], s61, v0 src0_sel:BYTE_0 src1_sel:DWORD
	s_and_b64 vcc, exec, s[10:11]
	s_cbranch_vccnz .LBB143_434
; %bb.432:
	v_cmp_eq_u16_sdwa s[10:11], s61, v0 src0_sel:BYTE_0 src1_sel:DWORD
	s_and_b64 vcc, exec, s[10:11]
	s_cbranch_vccz .LBB143_435
; %bb.433:
	s_mov_b64 s[10:11], 0
	s_mov_b32 s14, 0x7f800001
	s_branch .LBB143_436
.LBB143_434:
	s_mov_b64 s[10:11], 0
                                        ; implicit-def: $sgpr14
	s_branch .LBB143_437
.LBB143_435:
	s_mov_b64 s[10:11], -1
                                        ; implicit-def: $sgpr14
.LBB143_436:
	s_mov_b64 s[12:13], 0
.LBB143_437:
	s_and_b64 vcc, exec, s[12:13]
	s_cbranch_vccz .LBB143_440
; %bb.438:
	v_mov_b32_e32 v0, 0
	s_mov_b32 s14, 0
	v_cmp_ne_u16_sdwa s[10:11], s61, v0 src0_sel:BYTE_0 src1_sel:DWORD
	s_andn2_b64 vcc, exec, s[10:11]
	s_cbranch_vccz .LBB143_441
.LBB143_439:
	s_and_b32 s10, s14, 0x7fffffff
	s_cmp_gt_u32 s10, 0x477fffff
	v_mov_b32_e32 v1, 0x80
	s_cbranch_scc0 .LBB143_442
	s_branch .LBB143_449
.LBB143_440:
	s_andn2_b64 vcc, exec, s[10:11]
	s_cbranch_vccnz .LBB143_439
.LBB143_441:
	s_mov_b32 s14, s62
	s_and_b32 s10, s14, 0x7fffffff
	s_cmp_gt_u32 s10, 0x477fffff
	v_mov_b32_e32 v1, 0x80
	s_cbranch_scc1 .LBB143_449
.LBB143_442:
	s_cmp_lt_u32 s10, 0x38000000
	s_cbranch_scc1 .LBB143_444
; %bb.443:
	s_bfe_u32 s10, s14, 0x10015
	s_add_i32 s10, s14, s10
	s_add_i32 s10, s10, 0x88fffff
	s_lshr_b32 s15, s10, 21
	s_mov_b64 s[12:13], 0
	s_mov_b64 s[10:11], -1
	s_branch .LBB143_445
.LBB143_444:
	s_mov_b64 s[12:13], -1
	s_mov_b64 s[10:11], 0
                                        ; implicit-def: $sgpr15
.LBB143_445:
	s_andn2_b64 vcc, exec, s[12:13]
	v_mov_b32_e32 v0, s15
                                        ; implicit-def: $sgpr12
	s_cbranch_vccnz .LBB143_447
; %bb.446:
	v_mov_b32_e32 v0, 0x42800000
	v_add_f32_e64 v0, |s14|, v0
	v_and_b32_e32 v0, 0xff, v0
	s_mov_b32 s12, 0
	v_cmp_ne_u32_e64 s[10:11], 0, v0
.LBB143_447:
	s_andn2_b64 vcc, exec, s[10:11]
	v_mov_b32_e32 v1, s12
	s_cbranch_vccnz .LBB143_449
; %bb.448:
	s_lshr_b32 s10, s14, 24
	s_and_b32 s10, s10, 0x80
	v_or_b32_e32 v1, s10, v0
.LBB143_449:
	global_store_byte v[10:11], v1, off
	s_mov_b64 s[10:11], 0
.LBB143_450:
	s_and_b64 vcc, exec, s[10:11]
	s_cbranch_vccz .LBB143_472
; %bb.451:
	v_mov_b32_e32 v0, 0x80
	v_cmp_lt_i16_sdwa s[10:11], s61, v0 src0_sel:BYTE_0 src1_sel:DWORD
	s_and_b64 vcc, exec, s[10:11]
	s_cbranch_vccnz .LBB143_454
; %bb.452:
	v_cmp_eq_u16_sdwa s[10:11], s61, v0 src0_sel:BYTE_0 src1_sel:DWORD
	s_and_b64 vcc, exec, s[10:11]
	s_cbranch_vccz .LBB143_455
; %bb.453:
	s_mov_b64 s[10:11], 0
	s_mov_b32 s14, 0x7f800001
	s_branch .LBB143_456
.LBB143_454:
	s_mov_b64 s[12:13], -1
	s_mov_b64 s[10:11], 0
                                        ; implicit-def: $sgpr14
	s_branch .LBB143_457
.LBB143_455:
	s_mov_b64 s[10:11], -1
                                        ; implicit-def: $sgpr14
.LBB143_456:
	s_mov_b64 s[12:13], 0
.LBB143_457:
	s_and_b64 vcc, exec, s[12:13]
	s_cbranch_vccz .LBB143_462
; %bb.458:
	v_mov_b32_e32 v0, 0
	s_mov_b32 s14, 0
	v_cmp_ne_u16_sdwa s[10:11], s61, v0 src0_sel:BYTE_0 src1_sel:DWORD
	s_andn2_b64 vcc, exec, s[10:11]
	s_cbranch_vccz .LBB143_463
.LBB143_459:
	s_and_b32 s12, s14, 0x7fffffff
	s_cmp_gt_u32 s12, 0x43efffff
	s_cbranch_scc1 .LBB143_464
.LBB143_460:
	s_cmp_lt_u32 s12, 0x3c800000
	s_cbranch_scc1 .LBB143_465
; %bb.461:
	s_bfe_u32 s10, s14, 0x10014
	s_add_i32 s10, s14, s10
	s_add_i32 s10, s10, 0x407ffff
	s_lshr_b32 s11, s10, 20
	s_and_b32 s10, s10, 0xff00000
	s_cmp_lg_u32 s10, 0x7f00000
	s_cselect_b32 s13, s11, 0x7e
	s_mov_b64 s[10:11], 0
	s_branch .LBB143_466
.LBB143_462:
	s_andn2_b64 vcc, exec, s[10:11]
	s_cbranch_vccnz .LBB143_459
.LBB143_463:
	s_mov_b32 s14, s62
	s_and_b32 s12, s14, 0x7fffffff
	s_cmp_gt_u32 s12, 0x43efffff
	s_cbranch_scc0 .LBB143_460
.LBB143_464:
	s_mov_b64 s[10:11], -1
                                        ; implicit-def: $vgpr0
	s_branch .LBB143_469
.LBB143_465:
	s_mov_b64 s[10:11], -1
                                        ; implicit-def: $sgpr13
.LBB143_466:
	s_andn2_b64 vcc, exec, s[10:11]
	v_mov_b32_e32 v0, s13
	s_cbranch_vccnz .LBB143_468
; %bb.467:
	v_mov_b32_e32 v0, 0x46800000
	v_add_f32_e64 v0, |s14|, v0
.LBB143_468:
	s_mov_b64 s[10:11], 0
.LBB143_469:
	s_andn2_b64 vcc, exec, s[10:11]
	s_cbranch_vccnz .LBB143_471
; %bb.470:
	s_cmp_gt_u32 s12, 0x7f800000
	s_movk_i32 s10, 0x7f
	s_cselect_b32 s10, s10, 0x7e
	v_mov_b32_e32 v0, s10
.LBB143_471:
	s_lshr_b32 s10, s14, 24
	s_and_b32 s10, s10, 0x80
	v_or_b32_e32 v0, s10, v0
	global_store_byte v[10:11], v0, off
.LBB143_472:
	s_mov_b64 s[10:11], 0
.LBB143_473:
	s_andn2_b64 vcc, exec, s[10:11]
	s_cbranch_vccnz .LBB143_495
; %bb.474:
	v_mov_b32_e32 v0, 0x80
	v_cmp_lt_i16_sdwa s[10:11], s61, v0 src0_sel:BYTE_0 src1_sel:DWORD
	s_and_b64 vcc, exec, s[10:11]
	s_cbranch_vccnz .LBB143_477
; %bb.475:
	v_cmp_eq_u16_sdwa s[10:11], s61, v0 src0_sel:BYTE_0 src1_sel:DWORD
	s_and_b64 vcc, exec, s[10:11]
	s_cbranch_vccz .LBB143_478
; %bb.476:
	s_mov_b64 s[10:11], 0
	s_mov_b32 s14, 0x7f800001
	s_branch .LBB143_479
.LBB143_477:
	s_mov_b64 s[12:13], -1
	s_mov_b64 s[10:11], 0
                                        ; implicit-def: $sgpr14
	s_branch .LBB143_480
.LBB143_478:
	s_mov_b64 s[10:11], -1
                                        ; implicit-def: $sgpr14
.LBB143_479:
	s_mov_b64 s[12:13], 0
.LBB143_480:
	s_and_b64 vcc, exec, s[12:13]
	s_cbranch_vccz .LBB143_485
; %bb.481:
	v_mov_b32_e32 v0, 0
	s_mov_b32 s14, 0
	v_cmp_ne_u16_sdwa s[10:11], s61, v0 src0_sel:BYTE_0 src1_sel:DWORD
	s_andn2_b64 vcc, exec, s[10:11]
	s_cbranch_vccz .LBB143_486
.LBB143_482:
	s_and_b32 s12, s14, 0x7fffffff
	s_cmp_gt_u32 s12, 0x477fffff
	s_cbranch_scc1 .LBB143_487
.LBB143_483:
	s_cmp_lt_u32 s12, 0x38800000
	s_cbranch_scc1 .LBB143_488
; %bb.484:
	s_bfe_u32 s10, s14, 0x10015
	s_add_i32 s10, s14, s10
	s_add_i32 s10, s10, 0x80fffff
	s_lshr_b32 s13, s10, 21
	s_mov_b64 s[10:11], 0
	s_branch .LBB143_489
.LBB143_485:
	s_andn2_b64 vcc, exec, s[10:11]
	s_cbranch_vccnz .LBB143_482
.LBB143_486:
	s_mov_b32 s14, s62
	s_and_b32 s12, s14, 0x7fffffff
	s_cmp_gt_u32 s12, 0x477fffff
	s_cbranch_scc0 .LBB143_483
.LBB143_487:
	s_mov_b64 s[10:11], -1
                                        ; implicit-def: $vgpr0
	s_branch .LBB143_492
.LBB143_488:
	s_mov_b64 s[10:11], -1
                                        ; implicit-def: $sgpr13
.LBB143_489:
	s_andn2_b64 vcc, exec, s[10:11]
	v_mov_b32_e32 v0, s13
	s_cbranch_vccnz .LBB143_491
; %bb.490:
	v_mov_b32_e32 v0, 0x43000000
	v_add_f32_e64 v0, |s14|, v0
.LBB143_491:
	s_mov_b64 s[10:11], 0
.LBB143_492:
	s_andn2_b64 vcc, exec, s[10:11]
	s_cbranch_vccnz .LBB143_494
; %bb.493:
	s_cmp_gt_u32 s12, 0x7f800000
	s_movk_i32 s10, 0x7f
	s_cselect_b32 s10, s10, 0x7c
	v_mov_b32_e32 v0, s10
.LBB143_494:
	s_lshr_b32 s10, s14, 24
	s_and_b32 s10, s10, 0x80
	v_or_b32_e32 v0, s10, v0
	global_store_byte v[10:11], v0, off
.LBB143_495:
	s_mov_b64 s[12:13], 0
	s_mov_b64 s[10:11], -1
.LBB143_496:
	s_andn2_b64 vcc, exec, s[12:13]
	s_cbranch_vccnz .LBB143_524
; %bb.497:
	v_cmp_lt_i16_e32 vcc, 14, v13
	s_mov_b64 s[12:13], -1
	s_cbranch_vccz .LBB143_511
; %bb.498:
	v_cmp_eq_u16_e32 vcc, 15, v13
	s_mov_b64 s[8:9], -1
	s_cbranch_vccz .LBB143_510
; %bb.499:
	v_mov_b32_e32 v0, 0x80
	v_cmp_lt_i16_sdwa s[8:9], s61, v0 src0_sel:BYTE_0 src1_sel:DWORD
	s_and_b64 vcc, exec, s[8:9]
	s_cbranch_vccnz .LBB143_502
; %bb.500:
	v_cmp_eq_u16_sdwa s[8:9], s61, v0 src0_sel:BYTE_0 src1_sel:DWORD
	s_and_b64 vcc, exec, s[8:9]
	s_cbranch_vccz .LBB143_503
; %bb.501:
	s_mov_b64 s[8:9], 0
	s_mov_b32 s12, 0x7f800001
	s_branch .LBB143_504
.LBB143_502:
	s_mov_b64 s[10:11], -1
	s_mov_b64 s[8:9], 0
                                        ; implicit-def: $sgpr12
	s_branch .LBB143_505
.LBB143_503:
	s_mov_b64 s[8:9], -1
                                        ; implicit-def: $sgpr12
.LBB143_504:
	s_mov_b64 s[10:11], 0
.LBB143_505:
	s_and_b64 vcc, exec, s[10:11]
	s_cbranch_vccz .LBB143_507
; %bb.506:
	v_mov_b32_e32 v0, 0
	s_mov_b32 s12, 0
	v_cmp_ne_u16_sdwa s[8:9], s61, v0 src0_sel:BYTE_0 src1_sel:DWORD
.LBB143_507:
	s_andn2_b64 vcc, exec, s[8:9]
	s_cbranch_vccnz .LBB143_509
; %bb.508:
	s_mov_b32 s12, s62
.LBB143_509:
	s_bfe_u32 s8, s12, 0x10010
	s_add_i32 s8, s12, s8
	s_addk_i32 s8, 0x7fff
	s_lshr_b32 s10, s8, 16
	v_cmp_o_f32_e64 s[8:9], s12, s12
	s_and_b64 s[8:9], s[8:9], exec
	s_cselect_b32 s8, s10, 0x7fc0
	v_mov_b32_e32 v0, s8
	global_store_short v[10:11], v0, off
	s_mov_b64 s[10:11], -1
	s_mov_b64 s[8:9], 0
.LBB143_510:
	s_mov_b64 s[12:13], 0
.LBB143_511:
	s_and_b64 vcc, exec, s[12:13]
	s_cbranch_vccz .LBB143_524
; %bb.512:
	v_cmp_eq_u16_e32 vcc, 11, v13
	s_mov_b64 s[8:9], -1
	s_cbranch_vccz .LBB143_524
; %bb.513:
	v_mov_b32_e32 v0, 0x80
	v_cmp_lt_i16_sdwa s[8:9], s61, v0 src0_sel:BYTE_0 src1_sel:DWORD
	s_and_b64 vcc, exec, s[8:9]
	s_cbranch_vccnz .LBB143_516
; %bb.514:
	v_cmp_eq_u16_sdwa s[8:9], s61, v0 src0_sel:BYTE_0 src1_sel:DWORD
	s_and_b64 vcc, exec, s[8:9]
	s_cbranch_vccz .LBB143_517
; %bb.515:
	s_mov_b64 s[10:11], 0
	s_mov_b64 s[8:9], -1
	s_branch .LBB143_518
.LBB143_516:
	s_mov_b64 s[12:13], -1
	s_mov_b64 s[10:11], 0
                                        ; implicit-def: $sgpr8_sgpr9
	s_branch .LBB143_519
.LBB143_517:
	s_mov_b64 s[10:11], -1
                                        ; implicit-def: $sgpr8_sgpr9
.LBB143_518:
	s_mov_b64 s[12:13], 0
.LBB143_519:
	s_and_b64 vcc, exec, s[12:13]
	s_cbranch_vccz .LBB143_521
; %bb.520:
	v_mov_b32_e32 v0, 0
	v_cmp_ne_u16_sdwa s[10:11], s61, v0 src0_sel:BYTE_0 src1_sel:DWORD
	s_mov_b64 s[8:9], 0
.LBB143_521:
	s_andn2_b64 vcc, exec, s[10:11]
	s_cbranch_vccnz .LBB143_523
; %bb.522:
	s_mov_b64 s[8:9], s[6:7]
.LBB143_523:
	v_cndmask_b32_e64 v0, 0, 1, s[8:9]
	global_store_byte v[10:11], v0, off
	s_mov_b64 s[10:11], -1
	s_mov_b64 s[8:9], 0
.LBB143_524:
	s_branch .LBB143_361
.LBB143_525:
	v_cmp_gt_i16_e32 vcc, 5, v13
	s_mov_b64 s[10:11], -1
	s_cbranch_vccnz .LBB143_606
; %bb.526:
	v_cmp_gt_i16_e32 vcc, 8, v13
	s_cbranch_vccnz .LBB143_566
; %bb.527:
	v_cmp_gt_i16_e32 vcc, 9, v13
	s_cbranch_vccnz .LBB143_553
; %bb.528:
	v_cmp_lt_i16_e32 vcc, 9, v13
	s_cbranch_vccz .LBB143_540
; %bb.529:
	v_mov_b32_e32 v0, 0x80
	v_cmp_lt_i16_sdwa s[10:11], s61, v0 src0_sel:BYTE_0 src1_sel:DWORD
	s_and_b64 vcc, exec, s[10:11]
	s_cbranch_vccnz .LBB143_532
; %bb.530:
	v_cmp_eq_u16_sdwa s[10:11], s61, v0 src0_sel:BYTE_0 src1_sel:DWORD
	s_and_b64 vcc, exec, s[10:11]
	s_cbranch_vccz .LBB143_533
; %bb.531:
	s_mov_b64 s[10:11], 0
	s_mov_b32 s13, 0x7ff80000
	s_brev_b32 s12, 4
	s_branch .LBB143_534
.LBB143_532:
	s_mov_b64 s[14:15], -1
	s_mov_b64 s[10:11], 0
                                        ; implicit-def: $sgpr12_sgpr13
	s_branch .LBB143_535
.LBB143_533:
	s_mov_b64 s[10:11], -1
                                        ; implicit-def: $sgpr12_sgpr13
.LBB143_534:
	s_mov_b64 s[14:15], 0
.LBB143_535:
	s_and_b64 vcc, exec, s[14:15]
	s_cbranch_vccz .LBB143_537
; %bb.536:
	v_mov_b32_e32 v0, 0
	v_cmp_ne_u16_sdwa s[10:11], s61, v0 src0_sel:BYTE_0 src1_sel:DWORD
	s_mov_b64 s[12:13], 0
.LBB143_537:
	s_andn2_b64 vcc, exec, s[10:11]
	v_pk_mov_b32 v[0:1], s[12:13], s[12:13] op_sel:[0,1]
	s_cbranch_vccnz .LBB143_539
; %bb.538:
	v_pk_mov_b32 v[0:1], v[6:7], v[6:7] op_sel:[0,1]
.LBB143_539:
	v_mov_b32_e32 v2, 0
	v_mov_b32_e32 v3, v2
	global_store_dwordx4 v[10:11], v[0:3], off
	s_mov_b64 s[10:11], 0
.LBB143_540:
	s_and_b64 vcc, exec, s[10:11]
	s_cbranch_vccz .LBB143_552
; %bb.541:
	v_mov_b32_e32 v0, 0x80
	v_cmp_lt_i16_sdwa s[10:11], s61, v0 src0_sel:BYTE_0 src1_sel:DWORD
	s_and_b64 vcc, exec, s[10:11]
	s_cbranch_vccnz .LBB143_544
; %bb.542:
	v_cmp_eq_u16_sdwa s[10:11], s61, v0 src0_sel:BYTE_0 src1_sel:DWORD
	s_and_b64 vcc, exec, s[10:11]
	s_cbranch_vccz .LBB143_545
; %bb.543:
	s_mov_b64 s[10:11], 0
	s_mov_b32 s14, 0x7f800001
	s_branch .LBB143_546
.LBB143_544:
	s_mov_b64 s[12:13], -1
	s_mov_b64 s[10:11], 0
                                        ; implicit-def: $sgpr14
	s_branch .LBB143_547
.LBB143_545:
	s_mov_b64 s[10:11], -1
                                        ; implicit-def: $sgpr14
.LBB143_546:
	s_mov_b64 s[12:13], 0
.LBB143_547:
	s_and_b64 vcc, exec, s[12:13]
	v_mov_b32_e32 v0, s14
	s_cbranch_vccz .LBB143_549
; %bb.548:
	s_mov_b32 s10, 0xffff
	v_mov_b32_e32 v0, s61
	v_mov_b32_e32 v1, 0
	v_and_b32_sdwa v0, s10, v0 dst_sel:DWORD dst_unused:UNUSED_PAD src0_sel:DWORD src1_sel:BYTE_0
	v_cmp_ne_u16_sdwa s[10:11], s61, v1 src0_sel:BYTE_0 src1_sel:DWORD
.LBB143_549:
	s_andn2_b64 vcc, exec, s[10:11]
	s_cbranch_vccnz .LBB143_551
; %bb.550:
	v_mov_b32_e32 v0, s62
.LBB143_551:
	v_mov_b32_e32 v1, 0
	global_store_dwordx2 v[10:11], v[0:1], off
.LBB143_552:
	s_mov_b64 s[10:11], 0
.LBB143_553:
	s_andn2_b64 vcc, exec, s[10:11]
	s_cbranch_vccnz .LBB143_565
; %bb.554:
	v_mov_b32_e32 v0, 0x80
	v_cmp_lt_i16_sdwa s[10:11], s61, v0 src0_sel:BYTE_0 src1_sel:DWORD
	s_and_b64 vcc, exec, s[10:11]
	s_cbranch_vccnz .LBB143_557
; %bb.555:
	v_cmp_eq_u16_sdwa s[10:11], s61, v0 src0_sel:BYTE_0 src1_sel:DWORD
	s_and_b64 vcc, exec, s[10:11]
	s_cbranch_vccz .LBB143_558
; %bb.556:
	s_mov_b64 s[10:11], 0
	s_movk_i32 s14, 0x7e00
	s_branch .LBB143_559
.LBB143_557:
	s_mov_b64 s[12:13], -1
	s_mov_b64 s[10:11], 0
                                        ; implicit-def: $sgpr14
	s_branch .LBB143_560
.LBB143_558:
	s_mov_b64 s[10:11], -1
                                        ; implicit-def: $sgpr14
.LBB143_559:
	s_mov_b64 s[12:13], 0
.LBB143_560:
	s_and_b64 vcc, exec, s[12:13]
	v_mov_b32_e32 v0, s14
	s_cbranch_vccz .LBB143_562
; %bb.561:
	s_mov_b32 s10, 0xffff
	v_mov_b32_e32 v0, s61
	v_mov_b32_e32 v1, 0
	v_and_b32_sdwa v0, s10, v0 dst_sel:DWORD dst_unused:UNUSED_PAD src0_sel:DWORD src1_sel:BYTE_0
	v_cmp_ne_u16_sdwa s[10:11], s61, v1 src0_sel:BYTE_0 src1_sel:DWORD
.LBB143_562:
	s_andn2_b64 vcc, exec, s[10:11]
	s_cbranch_vccnz .LBB143_564
; %bb.563:
	v_mov_b32_e32 v0, v14
.LBB143_564:
	global_store_dword v[10:11], v0, off
.LBB143_565:
	s_mov_b64 s[10:11], 0
.LBB143_566:
	s_andn2_b64 vcc, exec, s[10:11]
	s_cbranch_vccnz .LBB143_605
; %bb.567:
	v_cmp_gt_i16_e32 vcc, 6, v13
	s_mov_b64 s[10:11], -1
	s_cbranch_vccnz .LBB143_593
; %bb.568:
	v_cmp_lt_i16_e32 vcc, 6, v13
	s_cbranch_vccz .LBB143_580
; %bb.569:
	v_mov_b32_e32 v0, 0x80
	v_cmp_lt_i16_sdwa s[10:11], s61, v0 src0_sel:BYTE_0 src1_sel:DWORD
	s_and_b64 vcc, exec, s[10:11]
	s_cbranch_vccnz .LBB143_572
; %bb.570:
	v_cmp_eq_u16_sdwa s[10:11], s61, v0 src0_sel:BYTE_0 src1_sel:DWORD
	s_and_b64 vcc, exec, s[10:11]
	s_cbranch_vccz .LBB143_573
; %bb.571:
	s_mov_b64 s[10:11], 0
	s_mov_b32 s13, 0x7ff80000
	s_brev_b32 s12, 4
	s_branch .LBB143_574
.LBB143_572:
	s_mov_b64 s[14:15], -1
	s_mov_b64 s[10:11], 0
                                        ; implicit-def: $sgpr12_sgpr13
	s_branch .LBB143_575
.LBB143_573:
	s_mov_b64 s[10:11], -1
                                        ; implicit-def: $sgpr12_sgpr13
.LBB143_574:
	s_mov_b64 s[14:15], 0
.LBB143_575:
	s_and_b64 vcc, exec, s[14:15]
	s_cbranch_vccz .LBB143_577
; %bb.576:
	v_mov_b32_e32 v0, 0
	v_cmp_ne_u16_sdwa s[10:11], s61, v0 src0_sel:BYTE_0 src1_sel:DWORD
	s_mov_b64 s[12:13], 0
.LBB143_577:
	s_andn2_b64 vcc, exec, s[10:11]
	v_pk_mov_b32 v[0:1], s[12:13], s[12:13] op_sel:[0,1]
	s_cbranch_vccnz .LBB143_579
; %bb.578:
	v_pk_mov_b32 v[0:1], v[6:7], v[6:7] op_sel:[0,1]
.LBB143_579:
	global_store_dwordx2 v[10:11], v[0:1], off
	s_mov_b64 s[10:11], 0
.LBB143_580:
	s_and_b64 vcc, exec, s[10:11]
	s_cbranch_vccz .LBB143_592
; %bb.581:
	v_mov_b32_e32 v0, 0x80
	v_cmp_lt_i16_sdwa s[10:11], s61, v0 src0_sel:BYTE_0 src1_sel:DWORD
	s_and_b64 vcc, exec, s[10:11]
	s_cbranch_vccnz .LBB143_584
; %bb.582:
	v_cmp_eq_u16_sdwa s[10:11], s61, v0 src0_sel:BYTE_0 src1_sel:DWORD
	s_and_b64 vcc, exec, s[10:11]
	s_cbranch_vccz .LBB143_585
; %bb.583:
	s_mov_b64 s[10:11], 0
	s_mov_b32 s14, 0x7f800001
	s_branch .LBB143_586
.LBB143_584:
	s_mov_b64 s[12:13], -1
	s_mov_b64 s[10:11], 0
                                        ; implicit-def: $sgpr14
	s_branch .LBB143_587
.LBB143_585:
	s_mov_b64 s[10:11], -1
                                        ; implicit-def: $sgpr14
.LBB143_586:
	s_mov_b64 s[12:13], 0
.LBB143_587:
	s_and_b64 vcc, exec, s[12:13]
	s_cbranch_vccz .LBB143_589
; %bb.588:
	v_mov_b32_e32 v0, 0
	s_mov_b32 s14, 0
	v_cmp_ne_u16_sdwa s[10:11], s61, v0 src0_sel:BYTE_0 src1_sel:DWORD
.LBB143_589:
	s_andn2_b64 vcc, exec, s[10:11]
	s_cbranch_vccnz .LBB143_591
; %bb.590:
	s_mov_b32 s14, s62
.LBB143_591:
	v_mov_b32_e32 v0, s14
	global_store_dword v[10:11], v0, off
.LBB143_592:
	s_mov_b64 s[10:11], 0
.LBB143_593:
	s_andn2_b64 vcc, exec, s[10:11]
	s_cbranch_vccnz .LBB143_605
; %bb.594:
	v_mov_b32_e32 v0, 0xff
	v_and_b32_e32 v0, s61, v0
	s_movk_i32 s10, 0x80
	v_cmp_gt_i16_e32 vcc, s10, v0
	s_cbranch_vccnz .LBB143_597
; %bb.595:
	v_cmp_eq_u16_e32 vcc, s10, v0
	s_cbranch_vccz .LBB143_598
; %bb.596:
	s_mov_b64 s[10:11], 0
	s_movk_i32 s14, 0x7e00
	s_branch .LBB143_599
.LBB143_597:
	s_mov_b64 s[12:13], -1
	s_mov_b64 s[10:11], 0
                                        ; implicit-def: $sgpr14
	s_branch .LBB143_600
.LBB143_598:
	s_mov_b64 s[10:11], -1
                                        ; implicit-def: $sgpr14
.LBB143_599:
	s_mov_b64 s[12:13], 0
.LBB143_600:
	s_and_b64 vcc, exec, s[12:13]
	v_mov_b32_e32 v1, s14
	s_cbranch_vccz .LBB143_602
; %bb.601:
	v_cmp_ne_u16_e64 s[10:11], 0, v0
	v_mov_b32_e32 v1, v0
.LBB143_602:
	s_andn2_b64 vcc, exec, s[10:11]
	s_cbranch_vccnz .LBB143_604
; %bb.603:
	v_mov_b32_e32 v1, v14
.LBB143_604:
	global_store_short v[10:11], v1, off
.LBB143_605:
	s_mov_b64 s[10:11], 0
.LBB143_606:
	s_andn2_b64 vcc, exec, s[10:11]
	s_cbranch_vccnz .LBB143_657
; %bb.607:
	v_cmp_gt_i16_e32 vcc, 2, v13
	s_mov_b64 s[10:11], -1
	s_cbranch_vccnz .LBB143_638
; %bb.608:
	v_cmp_gt_i16_e32 vcc, 3, v13
	s_cbranch_vccnz .LBB143_628
; %bb.609:
	v_cmp_lt_i16_e32 vcc, 3, v13
	s_cbranch_vccz .LBB143_618
; %bb.610:
	v_mov_b32_e32 v0, 0x80
	v_cmp_lt_i16_sdwa s[10:11], s61, v0 src0_sel:BYTE_0 src1_sel:DWORD
	s_and_b64 vcc, exec, s[10:11]
	s_cbranch_vccnz .LBB143_612
; %bb.611:
	v_cmp_ne_u16_sdwa s[10:11], s61, v0 src0_sel:BYTE_0 src1_sel:DWORD
	s_mov_b64 s[14:15], 0
	s_mov_b64 s[12:13], 0
	s_branch .LBB143_613
.LBB143_612:
	s_mov_b64 s[14:15], -1
	s_mov_b64 s[10:11], 0
                                        ; implicit-def: $sgpr12_sgpr13
.LBB143_613:
	s_andn2_b64 vcc, exec, s[14:15]
	s_cbranch_vccnz .LBB143_615
; %bb.614:
	v_mov_b32_e32 v0, 0
	v_cmp_ne_u16_sdwa s[10:11], s61, v0 src0_sel:BYTE_0 src1_sel:DWORD
	s_mov_b64 s[12:13], 0
.LBB143_615:
	s_andn2_b64 vcc, exec, s[10:11]
	v_pk_mov_b32 v[0:1], s[12:13], s[12:13] op_sel:[0,1]
	s_cbranch_vccnz .LBB143_617
; %bb.616:
	v_pk_mov_b32 v[0:1], v[4:5], v[4:5] op_sel:[0,1]
.LBB143_617:
	global_store_dwordx2 v[10:11], v[0:1], off
	s_mov_b64 s[10:11], 0
.LBB143_618:
	s_and_b64 vcc, exec, s[10:11]
	s_cbranch_vccz .LBB143_627
; %bb.619:
	v_mov_b32_e32 v0, 0x80
	v_cmp_lt_i16_sdwa s[10:11], s61, v0 src0_sel:BYTE_0 src1_sel:DWORD
	s_and_b64 vcc, exec, s[10:11]
	s_cbranch_vccnz .LBB143_621
; %bb.620:
	v_cmp_ne_u16_sdwa s[10:11], s61, v0 src0_sel:BYTE_0 src1_sel:DWORD
	s_mov_b64 s[12:13], 0
	s_mov_b32 s14, 0
	s_branch .LBB143_622
.LBB143_621:
	s_mov_b64 s[12:13], -1
	s_mov_b64 s[10:11], 0
                                        ; implicit-def: $sgpr14
.LBB143_622:
	s_andn2_b64 vcc, exec, s[12:13]
	s_cbranch_vccnz .LBB143_624
; %bb.623:
	v_mov_b32_e32 v0, 0
	s_mov_b32 s14, 0
	v_cmp_ne_u16_sdwa s[10:11], s61, v0 src0_sel:BYTE_0 src1_sel:DWORD
.LBB143_624:
	s_andn2_b64 vcc, exec, s[10:11]
	v_mov_b32_e32 v0, s14
	s_cbranch_vccnz .LBB143_626
; %bb.625:
	v_mov_b32_e32 v0, v12
.LBB143_626:
	global_store_dword v[10:11], v0, off
.LBB143_627:
	s_mov_b64 s[10:11], 0
.LBB143_628:
	s_andn2_b64 vcc, exec, s[10:11]
	s_cbranch_vccnz .LBB143_637
; %bb.629:
	v_mov_b32_e32 v0, 0x80
	v_cmp_lt_i16_sdwa s[10:11], s61, v0 src0_sel:BYTE_0 src1_sel:DWORD
	s_and_b64 vcc, exec, s[10:11]
	s_cbranch_vccnz .LBB143_631
; %bb.630:
	v_cmp_ne_u16_sdwa s[10:11], s61, v0 src0_sel:BYTE_0 src1_sel:DWORD
	s_mov_b64 s[12:13], 0
	s_mov_b32 s14, 0
	s_branch .LBB143_632
.LBB143_631:
	s_mov_b64 s[12:13], -1
	s_mov_b64 s[10:11], 0
                                        ; implicit-def: $sgpr14
.LBB143_632:
	s_andn2_b64 vcc, exec, s[12:13]
	s_cbranch_vccnz .LBB143_634
; %bb.633:
	v_mov_b32_e32 v0, 0
	s_mov_b32 s14, 0
	v_cmp_ne_u16_sdwa s[10:11], s61, v0 src0_sel:BYTE_0 src1_sel:DWORD
.LBB143_634:
	s_andn2_b64 vcc, exec, s[10:11]
	v_mov_b32_e32 v0, s14
	s_cbranch_vccnz .LBB143_636
; %bb.635:
	v_mov_b32_e32 v0, v12
.LBB143_636:
	global_store_short v[10:11], v0, off
.LBB143_637:
	s_mov_b64 s[10:11], 0
.LBB143_638:
	s_andn2_b64 vcc, exec, s[10:11]
	s_cbranch_vccnz .LBB143_657
; %bb.639:
	v_cmp_lt_i16_e32 vcc, 0, v13
	s_mov_b64 s[10:11], -1
	s_cbranch_vccz .LBB143_648
; %bb.640:
	v_mov_b32_e32 v0, 0x80
	v_cmp_lt_i16_sdwa s[10:11], s61, v0 src0_sel:BYTE_0 src1_sel:DWORD
	s_and_b64 vcc, exec, s[10:11]
	s_cbranch_vccnz .LBB143_642
; %bb.641:
	v_cmp_ne_u16_sdwa s[10:11], s61, v0 src0_sel:BYTE_0 src1_sel:DWORD
	s_mov_b64 s[12:13], 0
	s_mov_b32 s14, 0
	s_branch .LBB143_643
.LBB143_642:
	s_mov_b64 s[12:13], -1
	s_mov_b64 s[10:11], 0
                                        ; implicit-def: $sgpr14
.LBB143_643:
	s_andn2_b64 vcc, exec, s[12:13]
	s_cbranch_vccnz .LBB143_645
; %bb.644:
	v_mov_b32_e32 v0, 0
	s_mov_b32 s14, 0
	v_cmp_ne_u16_sdwa s[10:11], s61, v0 src0_sel:BYTE_0 src1_sel:DWORD
.LBB143_645:
	s_andn2_b64 vcc, exec, s[10:11]
	v_mov_b32_e32 v0, s14
	s_cbranch_vccnz .LBB143_647
; %bb.646:
	v_mov_b32_e32 v0, v12
.LBB143_647:
	global_store_byte v[10:11], v0, off
	s_mov_b64 s[10:11], 0
.LBB143_648:
	s_and_b64 vcc, exec, s[10:11]
	s_cbranch_vccz .LBB143_657
; %bb.649:
	v_mov_b32_e32 v0, 0x80
	v_cmp_lt_i16_sdwa s[10:11], s61, v0 src0_sel:BYTE_0 src1_sel:DWORD
	s_and_b64 vcc, exec, s[10:11]
	s_cbranch_vccnz .LBB143_651
; %bb.650:
	v_cmp_ne_u16_sdwa s[10:11], s61, v0 src0_sel:BYTE_0 src1_sel:DWORD
	s_mov_b64 s[12:13], 0
	s_mov_b32 s14, 0
	s_branch .LBB143_652
.LBB143_651:
	s_mov_b64 s[12:13], -1
	s_mov_b64 s[10:11], 0
                                        ; implicit-def: $sgpr14
.LBB143_652:
	s_andn2_b64 vcc, exec, s[12:13]
	s_cbranch_vccnz .LBB143_654
; %bb.653:
	v_mov_b32_e32 v0, 0
	s_mov_b32 s14, 0
	v_cmp_ne_u16_sdwa s[10:11], s61, v0 src0_sel:BYTE_0 src1_sel:DWORD
.LBB143_654:
	s_andn2_b64 vcc, exec, s[10:11]
	v_mov_b32_e32 v0, s14
	s_cbranch_vccnz .LBB143_656
; %bb.655:
	v_mov_b32_e32 v0, v4
.LBB143_656:
	global_store_byte v[10:11], v0, off
.LBB143_657:
	s_branch .LBB143_362
.LBB143_658:
	s_mov_b64 s[10:11], 0
                                        ; implicit-def: $vgpr15
.LBB143_659:
	s_andn2_b64 s[12:13], s[46:47], exec
	s_and_b64 s[8:9], s[8:9], exec
	s_or_b64 s[50:51], s[12:13], s[8:9]
	s_orn2_b64 s[8:9], s[10:11], exec
.LBB143_660:
	s_or_b64 exec, exec, s[52:53]
	s_mov_b64 s[10:11], 0
	s_mov_b64 s[12:13], 0
                                        ; implicit-def: $vgpr10_vgpr11
	s_and_saveexec_b64 s[52:53], s[8:9]
	s_cbranch_execz .LBB143_1164
; %bb.661:
	v_cmp_gt_i32_e32 vcc, s64, v15
	s_mov_b64 s[10:11], -1
	s_mov_b64 s[56:57], s[50:51]
	s_and_saveexec_b64 s[54:55], vcc
	s_cbranch_execz .LBB143_987
; %bb.662:
	s_andn2_b64 vcc, exec, s[30:31]
	s_cbranch_vccnz .LBB143_667
; %bb.663:
	s_andn2_b64 vcc, exec, s[44:45]
	s_cbranch_vccnz .LBB143_668
; %bb.664:
	s_add_i32 s67, s65, 1
	s_mov_b32 s66, 0
	s_cmp_eq_u32 s60, 2
	v_mov_b32_e32 v0, 0
	s_cbranch_scc1 .LBB143_669
; %bb.665:
	s_and_b32 s66, s67, 28
	s_mov_b32 s68, 0
	v_mov_b32_e32 v0, 0
	s_mov_b64 s[56:57], s[24:25]
	s_mov_b64 s[58:59], s[42:43]
	v_mov_b32_e32 v2, v15
.LBB143_666:                            ; =>This Inner Loop Header: Depth=1
	s_load_dwordx8 s[8:15], s[56:57], 0x4
	s_load_dwordx4 s[16:19], s[56:57], 0x24
	s_load_dwordx4 s[20:23], s[58:59], 0x0
	s_add_u32 s56, s56, 48
	s_addc_u32 s57, s57, 0
	s_waitcnt lgkmcnt(0)
	v_mul_hi_u32 v1, s9, v2
	v_add_u32_e32 v1, v2, v1
	v_lshrrev_b32_e32 v1, s10, v1
	v_mul_lo_u32 v3, v1, s8
	v_mul_hi_u32 v10, s12, v1
	v_sub_u32_e32 v2, v2, v3
	v_add_u32_e32 v3, v1, v10
	v_lshrrev_b32_e32 v3, s13, v3
	v_mul_lo_u32 v10, v3, s11
	v_mul_hi_u32 v11, s15, v3
	v_sub_u32_e32 v1, v1, v10
	v_add_u32_e32 v10, v3, v11
	v_mul_lo_u32 v2, v2, s20
	v_mul_lo_u32 v1, v1, s21
	v_lshrrev_b32_e32 v10, s16, v10
	v_add3_u32 v0, v2, v0, v1
	v_mul_hi_u32 v2, s18, v10
	v_add_u32_e32 v2, v10, v2
	v_mul_lo_u32 v1, v10, s14
	v_lshrrev_b32_e32 v2, s19, v2
	s_add_i32 s68, s68, 4
	v_sub_u32_e32 v1, v3, v1
	v_mul_lo_u32 v3, v2, s17
	s_add_u32 s58, s58, 16
	v_sub_u32_e32 v3, v10, v3
	s_addc_u32 s59, s59, 0
	v_mul_lo_u32 v1, v1, s22
	v_mul_lo_u32 v3, v3, s23
	s_cmp_eq_u32 s66, s68
	v_add3_u32 v0, v1, v0, v3
	s_cbranch_scc0 .LBB143_666
	s_branch .LBB143_670
.LBB143_667:
	s_mov_b64 s[8:9], -1
                                        ; implicit-def: $vgpr0
	s_branch .LBB143_674
.LBB143_668:
	v_mov_b32_e32 v0, 0
	s_branch .LBB143_673
.LBB143_669:
	v_mov_b32_e32 v2, v15
.LBB143_670:
	s_and_b32 s12, s67, 3
	s_cmp_eq_u32 s12, 0
	s_cbranch_scc1 .LBB143_673
; %bb.671:
	s_lshl_b32 s8, s66, 2
	s_add_u32 s8, s8, s24
	s_addc_u32 s9, s25, 0
	s_add_u32 s8, s8, 0xc4
	s_addc_u32 s9, s9, 0
	s_mul_i32 s10, s66, 12
	s_add_u32 s10, s24, s10
	s_addc_u32 s11, s25, 0
.LBB143_672:                            ; =>This Inner Loop Header: Depth=1
	s_load_dwordx2 s[14:15], s[10:11], 0x4
	s_load_dword s13, s[10:11], 0xc
	s_load_dword s16, s[8:9], 0x0
	s_add_u32 s10, s10, 12
	s_addc_u32 s11, s11, 0
	s_waitcnt lgkmcnt(0)
	v_mul_hi_u32 v1, s15, v2
	v_add_u32_e32 v1, v2, v1
	v_lshrrev_b32_e32 v1, s13, v1
	s_add_u32 s8, s8, 4
	v_mul_lo_u32 v3, v1, s14
	s_addc_u32 s9, s9, 0
	s_add_i32 s12, s12, -1
	v_sub_u32_e32 v3, v2, v3
	s_cmp_lg_u32 s12, 0
	v_mov_b32_e32 v2, v1
	v_mad_u64_u32 v[0:1], s[14:15], v3, s16, v[0:1]
	s_cbranch_scc1 .LBB143_672
.LBB143_673:
	s_mov_b64 s[8:9], 0
.LBB143_674:
	s_andn2_b64 vcc, exec, s[8:9]
	s_cbranch_vccnz .LBB143_677
; %bb.675:
	v_mul_hi_u32 v0, s1, v15
	v_add_u32_e32 v0, v15, v0
	v_lshrrev_b32_e32 v1, s2, v0
	v_mul_lo_u32 v0, v1, s0
	v_sub_u32_e32 v0, v15, v0
	s_andn2_b64 vcc, exec, s[40:41]
	v_mul_lo_u32 v0, v0, s36
	s_cbranch_vccnz .LBB143_677
; %bb.676:
	v_mul_hi_u32 v2, s38, v1
	v_add_u32_e32 v2, v1, v2
	v_lshrrev_b32_e32 v2, s39, v2
	v_mul_lo_u32 v2, v2, s3
	v_sub_u32_e32 v1, v1, v2
	v_mad_u64_u32 v[0:1], s[8:9], v1, s37, v[0:1]
.LBB143_677:
	v_mov_b32_e32 v1, s35
	v_add_co_u32_e32 v10, vcc, s34, v0
	v_addc_co_u32_e32 v11, vcc, 0, v1, vcc
	v_cmp_gt_i16_e32 vcc, 11, v13
	s_cbranch_vccnz .LBB143_686
; %bb.678:
	v_cmp_lt_i16_e32 vcc, 25, v13
	s_cbranch_vccz .LBB143_687
; %bb.679:
	v_cmp_lt_i16_e32 vcc, 28, v13
	s_cbranch_vccz .LBB143_688
	;; [unrolled: 3-line block ×4, first 2 shown]
; %bb.682:
	v_cmp_eq_u16_e32 vcc, 46, v13
	s_mov_b64 s[12:13], 0
	s_mov_b64 s[8:9], -1
	s_mov_b64 s[10:11], 0
	s_cbranch_vccz .LBB143_699
; %bb.683:
	v_mov_b32_e32 v0, 0x80
	v_cmp_lt_i16_sdwa s[8:9], s61, v0 src0_sel:BYTE_0 src1_sel:DWORD
	s_and_b64 vcc, exec, s[8:9]
	s_cbranch_vccnz .LBB143_691
; %bb.684:
	v_cmp_eq_u16_sdwa s[8:9], s61, v0 src0_sel:BYTE_0 src1_sel:DWORD
	s_and_b64 vcc, exec, s[8:9]
	s_cbranch_vccz .LBB143_692
; %bb.685:
	s_mov_b64 s[8:9], 0
	s_mov_b32 s14, 0x7f800001
	s_branch .LBB143_694
.LBB143_686:
	s_mov_b64 s[12:13], -1
	s_mov_b64 s[10:11], 0
	s_mov_b64 s[8:9], s[50:51]
	s_branch .LBB143_849
.LBB143_687:
	s_mov_b64 s[12:13], -1
	s_mov_b64 s[10:11], 0
	s_mov_b64 s[8:9], s[50:51]
	s_branch .LBB143_751
.LBB143_688:
	s_mov_b64 s[12:13], -1
	s_mov_b64 s[10:11], 0
	s_mov_b64 s[8:9], s[50:51]
	s_branch .LBB143_726
.LBB143_689:
	s_mov_b64 s[12:13], -1
	s_mov_b64 s[10:11], 0
	s_mov_b64 s[8:9], s[50:51]
	s_branch .LBB143_713
.LBB143_690:
	s_mov_b64 s[12:13], -1
	s_mov_b64 s[10:11], 0
	s_mov_b64 s[8:9], s[50:51]
	s_branch .LBB143_699
.LBB143_691:
	s_mov_b64 s[10:11], -1
	s_mov_b64 s[8:9], 0
	s_branch .LBB143_693
.LBB143_692:
	s_mov_b64 s[8:9], -1
.LBB143_693:
                                        ; implicit-def: $sgpr14
.LBB143_694:
	s_and_b64 vcc, exec, s[10:11]
	s_cbranch_vccz .LBB143_696
; %bb.695:
	v_mov_b32_e32 v0, 0
	s_mov_b32 s14, 0
	v_cmp_ne_u16_sdwa s[8:9], s61, v0 src0_sel:BYTE_0 src1_sel:DWORD
.LBB143_696:
	s_andn2_b64 vcc, exec, s[8:9]
	s_cbranch_vccnz .LBB143_698
; %bb.697:
	s_mov_b32 s14, s62
.LBB143_698:
	s_bfe_u32 s8, s14, 0x10010
	s_add_i32 s8, s14, s8
	s_addk_i32 s8, 0x7fff
	s_lshr_b32 s10, s8, 16
	v_cmp_o_f32_e64 s[8:9], s14, s14
	s_and_b64 s[8:9], s[8:9], exec
	s_cselect_b32 s8, s10, 0x7fc0
	v_mov_b32_e32 v0, s8
	global_store_dword v[10:11], v0, off
	s_mov_b64 s[10:11], -1
	s_mov_b64 s[8:9], 0
.LBB143_699:
	s_and_b64 vcc, exec, s[12:13]
	s_cbranch_vccz .LBB143_712
; %bb.700:
	v_cmp_eq_u16_e32 vcc, 44, v13
	s_mov_b64 s[8:9], -1
	s_cbranch_vccz .LBB143_712
; %bb.701:
	v_mov_b32_e32 v0, 0xff
	v_and_b32_e32 v0, s61, v0
	s_movk_i32 s8, 0x80
	v_cmp_gt_i16_e32 vcc, s8, v0
	v_readfirstlane_b32 s13, v0
	s_cbranch_vccnz .LBB143_704
; %bb.702:
	v_mov_b32_e32 v0, 0x80
	v_cmp_eq_u16_e32 vcc, s13, v0
	s_cbranch_vccz .LBB143_705
; %bb.703:
	s_mov_b64 s[8:9], 0
	s_mov_b32 s12, 0x7f800001
	s_branch .LBB143_706
.LBB143_704:
	s_mov_b64 s[10:11], -1
	s_mov_b64 s[8:9], 0
                                        ; implicit-def: $sgpr12
	s_branch .LBB143_707
.LBB143_705:
	s_mov_b64 s[8:9], -1
                                        ; implicit-def: $sgpr12
.LBB143_706:
	s_mov_b64 s[10:11], 0
.LBB143_707:
	s_and_b64 vcc, exec, s[10:11]
	s_cbranch_vccz .LBB143_717
; %bb.708:
	s_and_b32 s12, 0xffff, s13
	v_cmp_ne_u16_e64 s[8:9], s13, 0
	s_andn2_b64 vcc, exec, s[8:9]
	s_cbranch_vccz .LBB143_718
.LBB143_709:
	s_bfe_u32 s8, s12, 0x80017
	s_cmpk_eq_i32 s8, 0xff
	v_mov_b32_e32 v0, 0xff
	s_cbranch_scc1 .LBB143_711
.LBB143_710:
	s_lshr_b32 s13, s12, 23
	s_bitcmp1_b32 s12, 22
	s_cselect_b64 s[10:11], -1, 0
	s_and_b32 s9, s12, 0x3fffff
	s_or_b32 s8, s8, s9
	s_cmp_lg_u32 s8, 0
	s_cselect_b64 s[8:9], -1, 0
	s_and_b64 s[8:9], s[10:11], s[8:9]
	v_cndmask_b32_e64 v0, 0, 1, s[8:9]
	v_add_u32_e32 v0, s13, v0
.LBB143_711:
	s_mov_b64 s[10:11], -1
	s_mov_b64 s[8:9], 0
	global_store_byte v[10:11], v0, off
.LBB143_712:
	s_mov_b64 s[12:13], 0
.LBB143_713:
	s_and_b64 vcc, exec, s[12:13]
	s_cbranch_vccz .LBB143_725
; %bb.714:
	v_cmp_eq_u16_e32 vcc, 29, v13
	s_mov_b64 s[8:9], -1
	s_cbranch_vccz .LBB143_725
; %bb.715:
	v_mov_b32_e32 v0, 0x80
	v_cmp_lt_i16_sdwa s[8:9], s61, v0 src0_sel:BYTE_0 src1_sel:DWORD
	s_and_b64 vcc, exec, s[8:9]
	s_cbranch_vccnz .LBB143_719
; %bb.716:
	v_cmp_ne_u16_sdwa s[8:9], s61, v0 src0_sel:BYTE_0 src1_sel:DWORD
	s_mov_b64 s[12:13], 0
	s_mov_b64 s[10:11], 0
	s_branch .LBB143_720
.LBB143_717:
	s_andn2_b64 vcc, exec, s[8:9]
	s_cbranch_vccnz .LBB143_709
.LBB143_718:
	s_mov_b32 s12, s63
	s_bfe_u32 s8, s12, 0x80017
	s_cmpk_eq_i32 s8, 0xff
	v_mov_b32_e32 v0, 0xff
	s_cbranch_scc0 .LBB143_710
	s_branch .LBB143_711
.LBB143_719:
	s_mov_b64 s[12:13], -1
	s_mov_b64 s[8:9], 0
                                        ; implicit-def: $sgpr10_sgpr11
.LBB143_720:
	s_andn2_b64 vcc, exec, s[12:13]
	s_cbranch_vccnz .LBB143_722
; %bb.721:
	v_mov_b32_e32 v0, 0
	v_cmp_ne_u16_sdwa s[8:9], s61, v0 src0_sel:BYTE_0 src1_sel:DWORD
	s_mov_b64 s[10:11], 0
.LBB143_722:
	s_andn2_b64 vcc, exec, s[8:9]
	v_pk_mov_b32 v[0:1], s[10:11], s[10:11] op_sel:[0,1]
	s_cbranch_vccnz .LBB143_724
; %bb.723:
	v_pk_mov_b32 v[0:1], v[8:9], v[8:9] op_sel:[0,1]
.LBB143_724:
	global_store_dwordx2 v[10:11], v[0:1], off
	s_mov_b64 s[10:11], -1
	s_mov_b64 s[8:9], 0
.LBB143_725:
	s_mov_b64 s[12:13], 0
.LBB143_726:
	s_and_b64 vcc, exec, s[12:13]
	s_cbranch_vccz .LBB143_750
; %bb.727:
	v_cmp_gt_i16_e32 vcc, 27, v13
	s_mov_b64 s[10:11], -1
	s_cbranch_vccnz .LBB143_747
; %bb.728:
	v_cmp_lt_i16_e32 vcc, 27, v13
	s_cbranch_vccz .LBB143_737
; %bb.729:
	v_mov_b32_e32 v0, 0x80
	v_cmp_lt_i16_sdwa s[10:11], s61, v0 src0_sel:BYTE_0 src1_sel:DWORD
	s_and_b64 vcc, exec, s[10:11]
	s_cbranch_vccnz .LBB143_731
; %bb.730:
	v_cmp_ne_u16_sdwa s[10:11], s61, v0 src0_sel:BYTE_0 src1_sel:DWORD
	s_mov_b64 s[12:13], 0
	s_mov_b32 s14, 0
	s_branch .LBB143_732
.LBB143_731:
	s_mov_b64 s[12:13], -1
	s_mov_b64 s[10:11], 0
                                        ; implicit-def: $sgpr14
.LBB143_732:
	s_andn2_b64 vcc, exec, s[12:13]
	s_cbranch_vccnz .LBB143_734
; %bb.733:
	v_mov_b32_e32 v0, 0
	s_mov_b32 s14, 0
	v_cmp_ne_u16_sdwa s[10:11], s61, v0 src0_sel:BYTE_0 src1_sel:DWORD
.LBB143_734:
	s_andn2_b64 vcc, exec, s[10:11]
	v_mov_b32_e32 v0, s14
	s_cbranch_vccnz .LBB143_736
; %bb.735:
	v_mov_b32_e32 v0, v16
.LBB143_736:
	global_store_dword v[10:11], v0, off
	s_mov_b64 s[10:11], 0
.LBB143_737:
	s_and_b64 vcc, exec, s[10:11]
	s_cbranch_vccz .LBB143_746
; %bb.738:
	v_mov_b32_e32 v0, 0x80
	v_cmp_lt_i16_sdwa s[10:11], s61, v0 src0_sel:BYTE_0 src1_sel:DWORD
	s_and_b64 vcc, exec, s[10:11]
	s_cbranch_vccnz .LBB143_740
; %bb.739:
	v_cmp_ne_u16_sdwa s[10:11], s61, v0 src0_sel:BYTE_0 src1_sel:DWORD
	s_mov_b64 s[12:13], 0
	s_mov_b32 s14, 0
	s_branch .LBB143_741
.LBB143_740:
	s_mov_b64 s[12:13], -1
	s_mov_b64 s[10:11], 0
                                        ; implicit-def: $sgpr14
.LBB143_741:
	s_andn2_b64 vcc, exec, s[12:13]
	s_cbranch_vccnz .LBB143_743
; %bb.742:
	v_mov_b32_e32 v0, 0
	s_mov_b32 s14, 0
	v_cmp_ne_u16_sdwa s[10:11], s61, v0 src0_sel:BYTE_0 src1_sel:DWORD
.LBB143_743:
	s_andn2_b64 vcc, exec, s[10:11]
	v_mov_b32_e32 v0, s14
	s_cbranch_vccnz .LBB143_745
; %bb.744:
	v_mov_b32_e32 v0, v16
.LBB143_745:
	global_store_short v[10:11], v0, off
.LBB143_746:
	s_mov_b64 s[10:11], 0
.LBB143_747:
	s_andn2_b64 vcc, exec, s[10:11]
	s_cbranch_vccnz .LBB143_749
; %bb.748:
	v_mov_b32_e32 v0, s61
	global_store_byte v[10:11], v0, off
.LBB143_749:
	s_mov_b64 s[10:11], -1
.LBB143_750:
	s_mov_b64 s[12:13], 0
.LBB143_751:
	s_and_b64 vcc, exec, s[12:13]
	s_cbranch_vccz .LBB143_848
; %bb.752:
	v_cmp_lt_i16_e32 vcc, 22, v13
	s_mov_b64 s[12:13], -1
	s_cbranch_vccz .LBB143_820
; %bb.753:
	v_cmp_gt_i16_e32 vcc, 24, v13
	s_mov_b64 s[10:11], -1
	s_cbranch_vccnz .LBB143_797
; %bb.754:
	v_cmp_lt_i16_e32 vcc, 24, v13
	s_cbranch_vccz .LBB143_774
; %bb.755:
	v_mov_b32_e32 v0, 0x80
	v_cmp_lt_i16_sdwa s[10:11], s61, v0 src0_sel:BYTE_0 src1_sel:DWORD
	s_and_b64 vcc, exec, s[10:11]
	s_cbranch_vccnz .LBB143_758
; %bb.756:
	v_cmp_eq_u16_sdwa s[10:11], s61, v0 src0_sel:BYTE_0 src1_sel:DWORD
	s_and_b64 vcc, exec, s[10:11]
	s_cbranch_vccz .LBB143_759
; %bb.757:
	s_mov_b64 s[10:11], 0
	s_mov_b32 s14, 0x7f800001
	s_branch .LBB143_760
.LBB143_758:
	s_mov_b64 s[10:11], 0
                                        ; implicit-def: $sgpr14
	s_branch .LBB143_761
.LBB143_759:
	s_mov_b64 s[10:11], -1
                                        ; implicit-def: $sgpr14
.LBB143_760:
	s_mov_b64 s[12:13], 0
.LBB143_761:
	s_and_b64 vcc, exec, s[12:13]
	s_cbranch_vccz .LBB143_764
; %bb.762:
	v_mov_b32_e32 v0, 0
	s_mov_b32 s14, 0
	v_cmp_ne_u16_sdwa s[10:11], s61, v0 src0_sel:BYTE_0 src1_sel:DWORD
	s_andn2_b64 vcc, exec, s[10:11]
	s_cbranch_vccz .LBB143_765
.LBB143_763:
	s_and_b32 s10, s14, 0x7fffffff
	s_cmp_gt_u32 s10, 0x477fffff
	v_mov_b32_e32 v1, 0x80
	s_cbranch_scc0 .LBB143_766
	s_branch .LBB143_773
.LBB143_764:
	s_andn2_b64 vcc, exec, s[10:11]
	s_cbranch_vccnz .LBB143_763
.LBB143_765:
	s_mov_b32 s14, s62
	s_and_b32 s10, s14, 0x7fffffff
	s_cmp_gt_u32 s10, 0x477fffff
	v_mov_b32_e32 v1, 0x80
	s_cbranch_scc1 .LBB143_773
.LBB143_766:
	s_cmp_lt_u32 s10, 0x38000000
	s_cbranch_scc1 .LBB143_768
; %bb.767:
	s_bfe_u32 s10, s14, 0x10015
	s_add_i32 s10, s14, s10
	s_add_i32 s10, s10, 0x88fffff
	s_lshr_b32 s15, s10, 21
	s_mov_b64 s[12:13], 0
	s_mov_b64 s[10:11], -1
	s_branch .LBB143_769
.LBB143_768:
	s_mov_b64 s[12:13], -1
	s_mov_b64 s[10:11], 0
                                        ; implicit-def: $sgpr15
.LBB143_769:
	s_andn2_b64 vcc, exec, s[12:13]
	v_mov_b32_e32 v0, s15
                                        ; implicit-def: $sgpr12
	s_cbranch_vccnz .LBB143_771
; %bb.770:
	v_mov_b32_e32 v0, 0x42800000
	v_add_f32_e64 v0, |s14|, v0
	v_and_b32_e32 v0, 0xff, v0
	s_mov_b32 s12, 0
	v_cmp_ne_u32_e64 s[10:11], 0, v0
.LBB143_771:
	s_andn2_b64 vcc, exec, s[10:11]
	v_mov_b32_e32 v1, s12
	s_cbranch_vccnz .LBB143_773
; %bb.772:
	s_lshr_b32 s10, s14, 24
	s_and_b32 s10, s10, 0x80
	v_or_b32_e32 v1, s10, v0
.LBB143_773:
	global_store_byte v[10:11], v1, off
	s_mov_b64 s[10:11], 0
.LBB143_774:
	s_and_b64 vcc, exec, s[10:11]
	s_cbranch_vccz .LBB143_796
; %bb.775:
	v_mov_b32_e32 v0, 0x80
	v_cmp_lt_i16_sdwa s[10:11], s61, v0 src0_sel:BYTE_0 src1_sel:DWORD
	s_and_b64 vcc, exec, s[10:11]
	s_cbranch_vccnz .LBB143_778
; %bb.776:
	v_cmp_eq_u16_sdwa s[10:11], s61, v0 src0_sel:BYTE_0 src1_sel:DWORD
	s_and_b64 vcc, exec, s[10:11]
	s_cbranch_vccz .LBB143_779
; %bb.777:
	s_mov_b64 s[10:11], 0
	s_mov_b32 s14, 0x7f800001
	s_branch .LBB143_780
.LBB143_778:
	s_mov_b64 s[12:13], -1
	s_mov_b64 s[10:11], 0
                                        ; implicit-def: $sgpr14
	s_branch .LBB143_781
.LBB143_779:
	s_mov_b64 s[10:11], -1
                                        ; implicit-def: $sgpr14
.LBB143_780:
	s_mov_b64 s[12:13], 0
.LBB143_781:
	s_and_b64 vcc, exec, s[12:13]
	s_cbranch_vccz .LBB143_786
; %bb.782:
	v_mov_b32_e32 v0, 0
	s_mov_b32 s14, 0
	v_cmp_ne_u16_sdwa s[10:11], s61, v0 src0_sel:BYTE_0 src1_sel:DWORD
	s_andn2_b64 vcc, exec, s[10:11]
	s_cbranch_vccz .LBB143_787
.LBB143_783:
	s_and_b32 s12, s14, 0x7fffffff
	s_cmp_gt_u32 s12, 0x43efffff
	s_cbranch_scc1 .LBB143_788
.LBB143_784:
	s_cmp_lt_u32 s12, 0x3c800000
	s_cbranch_scc1 .LBB143_789
; %bb.785:
	s_bfe_u32 s10, s14, 0x10014
	s_add_i32 s10, s14, s10
	s_add_i32 s10, s10, 0x407ffff
	s_lshr_b32 s11, s10, 20
	s_and_b32 s10, s10, 0xff00000
	s_cmp_lg_u32 s10, 0x7f00000
	s_cselect_b32 s13, s11, 0x7e
	s_mov_b64 s[10:11], 0
	s_branch .LBB143_790
.LBB143_786:
	s_andn2_b64 vcc, exec, s[10:11]
	s_cbranch_vccnz .LBB143_783
.LBB143_787:
	s_mov_b32 s14, s62
	s_and_b32 s12, s14, 0x7fffffff
	s_cmp_gt_u32 s12, 0x43efffff
	s_cbranch_scc0 .LBB143_784
.LBB143_788:
	s_mov_b64 s[10:11], -1
                                        ; implicit-def: $vgpr0
	s_branch .LBB143_793
.LBB143_789:
	s_mov_b64 s[10:11], -1
                                        ; implicit-def: $sgpr13
.LBB143_790:
	s_andn2_b64 vcc, exec, s[10:11]
	v_mov_b32_e32 v0, s13
	s_cbranch_vccnz .LBB143_792
; %bb.791:
	v_mov_b32_e32 v0, 0x46800000
	v_add_f32_e64 v0, |s14|, v0
.LBB143_792:
	s_mov_b64 s[10:11], 0
.LBB143_793:
	s_andn2_b64 vcc, exec, s[10:11]
	s_cbranch_vccnz .LBB143_795
; %bb.794:
	s_cmp_gt_u32 s12, 0x7f800000
	s_movk_i32 s10, 0x7f
	s_cselect_b32 s10, s10, 0x7e
	v_mov_b32_e32 v0, s10
.LBB143_795:
	s_lshr_b32 s10, s14, 24
	s_and_b32 s10, s10, 0x80
	v_or_b32_e32 v0, s10, v0
	global_store_byte v[10:11], v0, off
.LBB143_796:
	s_mov_b64 s[10:11], 0
.LBB143_797:
	s_andn2_b64 vcc, exec, s[10:11]
	s_cbranch_vccnz .LBB143_819
; %bb.798:
	v_mov_b32_e32 v0, 0x80
	v_cmp_lt_i16_sdwa s[10:11], s61, v0 src0_sel:BYTE_0 src1_sel:DWORD
	s_and_b64 vcc, exec, s[10:11]
	s_cbranch_vccnz .LBB143_801
; %bb.799:
	v_cmp_eq_u16_sdwa s[10:11], s61, v0 src0_sel:BYTE_0 src1_sel:DWORD
	s_and_b64 vcc, exec, s[10:11]
	s_cbranch_vccz .LBB143_802
; %bb.800:
	s_mov_b64 s[10:11], 0
	s_mov_b32 s14, 0x7f800001
	s_branch .LBB143_803
.LBB143_801:
	s_mov_b64 s[12:13], -1
	s_mov_b64 s[10:11], 0
                                        ; implicit-def: $sgpr14
	s_branch .LBB143_804
.LBB143_802:
	s_mov_b64 s[10:11], -1
                                        ; implicit-def: $sgpr14
.LBB143_803:
	s_mov_b64 s[12:13], 0
.LBB143_804:
	s_and_b64 vcc, exec, s[12:13]
	s_cbranch_vccz .LBB143_809
; %bb.805:
	v_mov_b32_e32 v0, 0
	s_mov_b32 s14, 0
	v_cmp_ne_u16_sdwa s[10:11], s61, v0 src0_sel:BYTE_0 src1_sel:DWORD
	s_andn2_b64 vcc, exec, s[10:11]
	s_cbranch_vccz .LBB143_810
.LBB143_806:
	s_and_b32 s12, s14, 0x7fffffff
	s_cmp_gt_u32 s12, 0x477fffff
	s_cbranch_scc1 .LBB143_811
.LBB143_807:
	s_cmp_lt_u32 s12, 0x38800000
	s_cbranch_scc1 .LBB143_812
; %bb.808:
	s_bfe_u32 s10, s14, 0x10015
	s_add_i32 s10, s14, s10
	s_add_i32 s10, s10, 0x80fffff
	s_lshr_b32 s13, s10, 21
	s_mov_b64 s[10:11], 0
	s_branch .LBB143_813
.LBB143_809:
	s_andn2_b64 vcc, exec, s[10:11]
	s_cbranch_vccnz .LBB143_806
.LBB143_810:
	s_mov_b32 s14, s62
	s_and_b32 s12, s14, 0x7fffffff
	s_cmp_gt_u32 s12, 0x477fffff
	s_cbranch_scc0 .LBB143_807
.LBB143_811:
	s_mov_b64 s[10:11], -1
                                        ; implicit-def: $vgpr0
	s_branch .LBB143_816
.LBB143_812:
	s_mov_b64 s[10:11], -1
                                        ; implicit-def: $sgpr13
.LBB143_813:
	s_andn2_b64 vcc, exec, s[10:11]
	v_mov_b32_e32 v0, s13
	s_cbranch_vccnz .LBB143_815
; %bb.814:
	v_mov_b32_e32 v0, 0x43000000
	v_add_f32_e64 v0, |s14|, v0
.LBB143_815:
	s_mov_b64 s[10:11], 0
.LBB143_816:
	s_andn2_b64 vcc, exec, s[10:11]
	s_cbranch_vccnz .LBB143_818
; %bb.817:
	s_cmp_gt_u32 s12, 0x7f800000
	s_movk_i32 s10, 0x7f
	s_cselect_b32 s10, s10, 0x7c
	v_mov_b32_e32 v0, s10
.LBB143_818:
	s_lshr_b32 s10, s14, 24
	s_and_b32 s10, s10, 0x80
	v_or_b32_e32 v0, s10, v0
	global_store_byte v[10:11], v0, off
.LBB143_819:
	s_mov_b64 s[12:13], 0
	s_mov_b64 s[10:11], -1
.LBB143_820:
	s_andn2_b64 vcc, exec, s[12:13]
	s_cbranch_vccnz .LBB143_848
; %bb.821:
	v_cmp_lt_i16_e32 vcc, 14, v13
	s_mov_b64 s[12:13], -1
	s_cbranch_vccz .LBB143_835
; %bb.822:
	v_cmp_eq_u16_e32 vcc, 15, v13
	s_mov_b64 s[8:9], -1
	s_cbranch_vccz .LBB143_834
; %bb.823:
	v_mov_b32_e32 v0, 0x80
	v_cmp_lt_i16_sdwa s[8:9], s61, v0 src0_sel:BYTE_0 src1_sel:DWORD
	s_and_b64 vcc, exec, s[8:9]
	s_cbranch_vccnz .LBB143_826
; %bb.824:
	v_cmp_eq_u16_sdwa s[8:9], s61, v0 src0_sel:BYTE_0 src1_sel:DWORD
	s_and_b64 vcc, exec, s[8:9]
	s_cbranch_vccz .LBB143_827
; %bb.825:
	s_mov_b64 s[8:9], 0
	s_mov_b32 s12, 0x7f800001
	s_branch .LBB143_828
.LBB143_826:
	s_mov_b64 s[10:11], -1
	s_mov_b64 s[8:9], 0
                                        ; implicit-def: $sgpr12
	s_branch .LBB143_829
.LBB143_827:
	s_mov_b64 s[8:9], -1
                                        ; implicit-def: $sgpr12
.LBB143_828:
	s_mov_b64 s[10:11], 0
.LBB143_829:
	s_and_b64 vcc, exec, s[10:11]
	s_cbranch_vccz .LBB143_831
; %bb.830:
	v_mov_b32_e32 v0, 0
	s_mov_b32 s12, 0
	v_cmp_ne_u16_sdwa s[8:9], s61, v0 src0_sel:BYTE_0 src1_sel:DWORD
.LBB143_831:
	s_andn2_b64 vcc, exec, s[8:9]
	s_cbranch_vccnz .LBB143_833
; %bb.832:
	s_mov_b32 s12, s62
.LBB143_833:
	s_bfe_u32 s8, s12, 0x10010
	s_add_i32 s8, s12, s8
	s_addk_i32 s8, 0x7fff
	s_lshr_b32 s10, s8, 16
	v_cmp_o_f32_e64 s[8:9], s12, s12
	s_and_b64 s[8:9], s[8:9], exec
	s_cselect_b32 s8, s10, 0x7fc0
	v_mov_b32_e32 v0, s8
	global_store_short v[10:11], v0, off
	s_mov_b64 s[10:11], -1
	s_mov_b64 s[8:9], 0
.LBB143_834:
	s_mov_b64 s[12:13], 0
.LBB143_835:
	s_and_b64 vcc, exec, s[12:13]
	s_cbranch_vccz .LBB143_848
; %bb.836:
	v_cmp_eq_u16_e32 vcc, 11, v13
	s_mov_b64 s[8:9], -1
	s_cbranch_vccz .LBB143_848
; %bb.837:
	v_mov_b32_e32 v0, 0x80
	v_cmp_lt_i16_sdwa s[8:9], s61, v0 src0_sel:BYTE_0 src1_sel:DWORD
	s_and_b64 vcc, exec, s[8:9]
	s_cbranch_vccnz .LBB143_840
; %bb.838:
	v_cmp_eq_u16_sdwa s[8:9], s61, v0 src0_sel:BYTE_0 src1_sel:DWORD
	s_and_b64 vcc, exec, s[8:9]
	s_cbranch_vccz .LBB143_841
; %bb.839:
	s_mov_b64 s[10:11], 0
	s_mov_b64 s[8:9], -1
	s_branch .LBB143_842
.LBB143_840:
	s_mov_b64 s[12:13], -1
	s_mov_b64 s[10:11], 0
                                        ; implicit-def: $sgpr8_sgpr9
	s_branch .LBB143_843
.LBB143_841:
	s_mov_b64 s[10:11], -1
                                        ; implicit-def: $sgpr8_sgpr9
.LBB143_842:
	s_mov_b64 s[12:13], 0
.LBB143_843:
	s_and_b64 vcc, exec, s[12:13]
	s_cbranch_vccz .LBB143_845
; %bb.844:
	v_mov_b32_e32 v0, 0
	v_cmp_ne_u16_sdwa s[10:11], s61, v0 src0_sel:BYTE_0 src1_sel:DWORD
	s_mov_b64 s[8:9], 0
.LBB143_845:
	s_andn2_b64 vcc, exec, s[10:11]
	s_cbranch_vccnz .LBB143_847
; %bb.846:
	s_mov_b64 s[8:9], s[6:7]
.LBB143_847:
	v_cndmask_b32_e64 v0, 0, 1, s[8:9]
	global_store_byte v[10:11], v0, off
	s_mov_b64 s[10:11], -1
	s_mov_b64 s[8:9], 0
.LBB143_848:
	s_mov_b64 s[12:13], 0
.LBB143_849:
	s_and_b64 vcc, exec, s[12:13]
	s_cbranch_vccz .LBB143_983
; %bb.850:
	v_cmp_gt_i16_e32 vcc, 5, v13
	s_mov_b64 s[10:11], -1
	s_cbranch_vccnz .LBB143_931
; %bb.851:
	v_cmp_gt_i16_e32 vcc, 8, v13
	s_cbranch_vccnz .LBB143_891
; %bb.852:
	v_cmp_gt_i16_e32 vcc, 9, v13
	s_cbranch_vccnz .LBB143_878
; %bb.853:
	v_cmp_lt_i16_e32 vcc, 9, v13
	s_cbranch_vccz .LBB143_865
; %bb.854:
	v_mov_b32_e32 v0, 0x80
	v_cmp_lt_i16_sdwa s[10:11], s61, v0 src0_sel:BYTE_0 src1_sel:DWORD
	s_and_b64 vcc, exec, s[10:11]
	s_cbranch_vccnz .LBB143_857
; %bb.855:
	v_cmp_eq_u16_sdwa s[10:11], s61, v0 src0_sel:BYTE_0 src1_sel:DWORD
	s_and_b64 vcc, exec, s[10:11]
	s_cbranch_vccz .LBB143_858
; %bb.856:
	s_mov_b64 s[10:11], 0
	s_mov_b32 s13, 0x7ff80000
	s_brev_b32 s12, 4
	s_branch .LBB143_859
.LBB143_857:
	s_mov_b64 s[14:15], -1
	s_mov_b64 s[10:11], 0
                                        ; implicit-def: $sgpr12_sgpr13
	s_branch .LBB143_860
.LBB143_858:
	s_mov_b64 s[10:11], -1
                                        ; implicit-def: $sgpr12_sgpr13
.LBB143_859:
	s_mov_b64 s[14:15], 0
.LBB143_860:
	s_and_b64 vcc, exec, s[14:15]
	s_cbranch_vccz .LBB143_862
; %bb.861:
	v_mov_b32_e32 v0, 0
	v_cmp_ne_u16_sdwa s[10:11], s61, v0 src0_sel:BYTE_0 src1_sel:DWORD
	s_mov_b64 s[12:13], 0
.LBB143_862:
	s_andn2_b64 vcc, exec, s[10:11]
	v_pk_mov_b32 v[0:1], s[12:13], s[12:13] op_sel:[0,1]
	s_cbranch_vccnz .LBB143_864
; %bb.863:
	v_pk_mov_b32 v[0:1], v[6:7], v[6:7] op_sel:[0,1]
.LBB143_864:
	v_mov_b32_e32 v2, 0
	v_mov_b32_e32 v3, v2
	global_store_dwordx4 v[10:11], v[0:3], off
	s_mov_b64 s[10:11], 0
.LBB143_865:
	s_and_b64 vcc, exec, s[10:11]
	s_cbranch_vccz .LBB143_877
; %bb.866:
	v_mov_b32_e32 v0, 0x80
	v_cmp_lt_i16_sdwa s[10:11], s61, v0 src0_sel:BYTE_0 src1_sel:DWORD
	s_and_b64 vcc, exec, s[10:11]
	s_cbranch_vccnz .LBB143_869
; %bb.867:
	v_cmp_eq_u16_sdwa s[10:11], s61, v0 src0_sel:BYTE_0 src1_sel:DWORD
	s_and_b64 vcc, exec, s[10:11]
	s_cbranch_vccz .LBB143_870
; %bb.868:
	s_mov_b64 s[10:11], 0
	s_mov_b32 s14, 0x7f800001
	s_branch .LBB143_871
.LBB143_869:
	s_mov_b64 s[12:13], -1
	s_mov_b64 s[10:11], 0
                                        ; implicit-def: $sgpr14
	s_branch .LBB143_872
.LBB143_870:
	s_mov_b64 s[10:11], -1
                                        ; implicit-def: $sgpr14
.LBB143_871:
	s_mov_b64 s[12:13], 0
.LBB143_872:
	s_and_b64 vcc, exec, s[12:13]
	v_mov_b32_e32 v0, s14
	s_cbranch_vccz .LBB143_874
; %bb.873:
	s_mov_b32 s10, 0xffff
	v_mov_b32_e32 v0, s61
	v_mov_b32_e32 v1, 0
	v_and_b32_sdwa v0, s10, v0 dst_sel:DWORD dst_unused:UNUSED_PAD src0_sel:DWORD src1_sel:BYTE_0
	v_cmp_ne_u16_sdwa s[10:11], s61, v1 src0_sel:BYTE_0 src1_sel:DWORD
.LBB143_874:
	s_andn2_b64 vcc, exec, s[10:11]
	s_cbranch_vccnz .LBB143_876
; %bb.875:
	v_mov_b32_e32 v0, s62
.LBB143_876:
	v_mov_b32_e32 v1, 0
	global_store_dwordx2 v[10:11], v[0:1], off
.LBB143_877:
	s_mov_b64 s[10:11], 0
.LBB143_878:
	s_andn2_b64 vcc, exec, s[10:11]
	s_cbranch_vccnz .LBB143_890
; %bb.879:
	v_mov_b32_e32 v0, 0x80
	v_cmp_lt_i16_sdwa s[10:11], s61, v0 src0_sel:BYTE_0 src1_sel:DWORD
	s_and_b64 vcc, exec, s[10:11]
	s_cbranch_vccnz .LBB143_882
; %bb.880:
	v_cmp_eq_u16_sdwa s[10:11], s61, v0 src0_sel:BYTE_0 src1_sel:DWORD
	s_and_b64 vcc, exec, s[10:11]
	s_cbranch_vccz .LBB143_883
; %bb.881:
	s_mov_b64 s[10:11], 0
	s_movk_i32 s14, 0x7e00
	s_branch .LBB143_884
.LBB143_882:
	s_mov_b64 s[12:13], -1
	s_mov_b64 s[10:11], 0
                                        ; implicit-def: $sgpr14
	s_branch .LBB143_885
.LBB143_883:
	s_mov_b64 s[10:11], -1
                                        ; implicit-def: $sgpr14
.LBB143_884:
	s_mov_b64 s[12:13], 0
.LBB143_885:
	s_and_b64 vcc, exec, s[12:13]
	v_mov_b32_e32 v0, s14
	s_cbranch_vccz .LBB143_887
; %bb.886:
	s_mov_b32 s10, 0xffff
	v_mov_b32_e32 v0, s61
	v_mov_b32_e32 v1, 0
	v_and_b32_sdwa v0, s10, v0 dst_sel:DWORD dst_unused:UNUSED_PAD src0_sel:DWORD src1_sel:BYTE_0
	v_cmp_ne_u16_sdwa s[10:11], s61, v1 src0_sel:BYTE_0 src1_sel:DWORD
.LBB143_887:
	s_andn2_b64 vcc, exec, s[10:11]
	s_cbranch_vccnz .LBB143_889
; %bb.888:
	v_mov_b32_e32 v0, v14
.LBB143_889:
	global_store_dword v[10:11], v0, off
.LBB143_890:
	s_mov_b64 s[10:11], 0
.LBB143_891:
	s_andn2_b64 vcc, exec, s[10:11]
	s_cbranch_vccnz .LBB143_930
; %bb.892:
	v_cmp_gt_i16_e32 vcc, 6, v13
	s_mov_b64 s[10:11], -1
	s_cbranch_vccnz .LBB143_918
; %bb.893:
	v_cmp_lt_i16_e32 vcc, 6, v13
	s_cbranch_vccz .LBB143_905
; %bb.894:
	v_mov_b32_e32 v0, 0x80
	v_cmp_lt_i16_sdwa s[10:11], s61, v0 src0_sel:BYTE_0 src1_sel:DWORD
	s_and_b64 vcc, exec, s[10:11]
	s_cbranch_vccnz .LBB143_897
; %bb.895:
	v_cmp_eq_u16_sdwa s[10:11], s61, v0 src0_sel:BYTE_0 src1_sel:DWORD
	s_and_b64 vcc, exec, s[10:11]
	s_cbranch_vccz .LBB143_898
; %bb.896:
	s_mov_b64 s[10:11], 0
	s_mov_b32 s13, 0x7ff80000
	s_brev_b32 s12, 4
	s_branch .LBB143_899
.LBB143_897:
	s_mov_b64 s[14:15], -1
	s_mov_b64 s[10:11], 0
                                        ; implicit-def: $sgpr12_sgpr13
	s_branch .LBB143_900
.LBB143_898:
	s_mov_b64 s[10:11], -1
                                        ; implicit-def: $sgpr12_sgpr13
.LBB143_899:
	s_mov_b64 s[14:15], 0
.LBB143_900:
	s_and_b64 vcc, exec, s[14:15]
	s_cbranch_vccz .LBB143_902
; %bb.901:
	v_mov_b32_e32 v0, 0
	v_cmp_ne_u16_sdwa s[10:11], s61, v0 src0_sel:BYTE_0 src1_sel:DWORD
	s_mov_b64 s[12:13], 0
.LBB143_902:
	s_andn2_b64 vcc, exec, s[10:11]
	v_pk_mov_b32 v[0:1], s[12:13], s[12:13] op_sel:[0,1]
	s_cbranch_vccnz .LBB143_904
; %bb.903:
	v_pk_mov_b32 v[0:1], v[6:7], v[6:7] op_sel:[0,1]
.LBB143_904:
	global_store_dwordx2 v[10:11], v[0:1], off
	s_mov_b64 s[10:11], 0
.LBB143_905:
	s_and_b64 vcc, exec, s[10:11]
	s_cbranch_vccz .LBB143_917
; %bb.906:
	v_mov_b32_e32 v0, 0x80
	v_cmp_lt_i16_sdwa s[10:11], s61, v0 src0_sel:BYTE_0 src1_sel:DWORD
	s_and_b64 vcc, exec, s[10:11]
	s_cbranch_vccnz .LBB143_909
; %bb.907:
	v_cmp_eq_u16_sdwa s[10:11], s61, v0 src0_sel:BYTE_0 src1_sel:DWORD
	s_and_b64 vcc, exec, s[10:11]
	s_cbranch_vccz .LBB143_910
; %bb.908:
	s_mov_b64 s[10:11], 0
	s_mov_b32 s14, 0x7f800001
	s_branch .LBB143_911
.LBB143_909:
	s_mov_b64 s[12:13], -1
	s_mov_b64 s[10:11], 0
                                        ; implicit-def: $sgpr14
	s_branch .LBB143_912
.LBB143_910:
	s_mov_b64 s[10:11], -1
                                        ; implicit-def: $sgpr14
.LBB143_911:
	s_mov_b64 s[12:13], 0
.LBB143_912:
	s_and_b64 vcc, exec, s[12:13]
	s_cbranch_vccz .LBB143_914
; %bb.913:
	v_mov_b32_e32 v0, 0
	s_mov_b32 s14, 0
	v_cmp_ne_u16_sdwa s[10:11], s61, v0 src0_sel:BYTE_0 src1_sel:DWORD
.LBB143_914:
	s_andn2_b64 vcc, exec, s[10:11]
	s_cbranch_vccnz .LBB143_916
; %bb.915:
	s_mov_b32 s14, s62
.LBB143_916:
	v_mov_b32_e32 v0, s14
	global_store_dword v[10:11], v0, off
.LBB143_917:
	s_mov_b64 s[10:11], 0
.LBB143_918:
	s_andn2_b64 vcc, exec, s[10:11]
	s_cbranch_vccnz .LBB143_930
; %bb.919:
	v_mov_b32_e32 v0, 0xff
	v_and_b32_e32 v0, s61, v0
	s_movk_i32 s10, 0x80
	v_cmp_gt_i16_e32 vcc, s10, v0
	s_cbranch_vccnz .LBB143_922
; %bb.920:
	v_cmp_eq_u16_e32 vcc, s10, v0
	s_cbranch_vccz .LBB143_923
; %bb.921:
	s_mov_b64 s[10:11], 0
	s_movk_i32 s14, 0x7e00
	s_branch .LBB143_924
.LBB143_922:
	s_mov_b64 s[12:13], -1
	s_mov_b64 s[10:11], 0
                                        ; implicit-def: $sgpr14
	s_branch .LBB143_925
.LBB143_923:
	s_mov_b64 s[10:11], -1
                                        ; implicit-def: $sgpr14
.LBB143_924:
	s_mov_b64 s[12:13], 0
.LBB143_925:
	s_and_b64 vcc, exec, s[12:13]
	v_mov_b32_e32 v1, s14
	s_cbranch_vccz .LBB143_927
; %bb.926:
	v_cmp_ne_u16_e64 s[10:11], 0, v0
	v_mov_b32_e32 v1, v0
.LBB143_927:
	s_andn2_b64 vcc, exec, s[10:11]
	s_cbranch_vccnz .LBB143_929
; %bb.928:
	v_mov_b32_e32 v1, v14
.LBB143_929:
	global_store_short v[10:11], v1, off
.LBB143_930:
	s_mov_b64 s[10:11], 0
.LBB143_931:
	s_andn2_b64 vcc, exec, s[10:11]
	s_cbranch_vccnz .LBB143_982
; %bb.932:
	v_cmp_gt_i16_e32 vcc, 2, v13
	s_mov_b64 s[10:11], -1
	s_cbranch_vccnz .LBB143_963
; %bb.933:
	v_cmp_gt_i16_e32 vcc, 3, v13
	s_cbranch_vccnz .LBB143_953
; %bb.934:
	v_cmp_lt_i16_e32 vcc, 3, v13
	s_cbranch_vccz .LBB143_943
; %bb.935:
	v_mov_b32_e32 v0, 0x80
	v_cmp_lt_i16_sdwa s[10:11], s61, v0 src0_sel:BYTE_0 src1_sel:DWORD
	s_and_b64 vcc, exec, s[10:11]
	s_cbranch_vccnz .LBB143_937
; %bb.936:
	v_cmp_ne_u16_sdwa s[10:11], s61, v0 src0_sel:BYTE_0 src1_sel:DWORD
	s_mov_b64 s[14:15], 0
	s_mov_b64 s[12:13], 0
	s_branch .LBB143_938
.LBB143_937:
	s_mov_b64 s[14:15], -1
	s_mov_b64 s[10:11], 0
                                        ; implicit-def: $sgpr12_sgpr13
.LBB143_938:
	s_andn2_b64 vcc, exec, s[14:15]
	s_cbranch_vccnz .LBB143_940
; %bb.939:
	v_mov_b32_e32 v0, 0
	v_cmp_ne_u16_sdwa s[10:11], s61, v0 src0_sel:BYTE_0 src1_sel:DWORD
	s_mov_b64 s[12:13], 0
.LBB143_940:
	s_andn2_b64 vcc, exec, s[10:11]
	v_pk_mov_b32 v[0:1], s[12:13], s[12:13] op_sel:[0,1]
	s_cbranch_vccnz .LBB143_942
; %bb.941:
	v_pk_mov_b32 v[0:1], v[4:5], v[4:5] op_sel:[0,1]
.LBB143_942:
	global_store_dwordx2 v[10:11], v[0:1], off
	s_mov_b64 s[10:11], 0
.LBB143_943:
	s_and_b64 vcc, exec, s[10:11]
	s_cbranch_vccz .LBB143_952
; %bb.944:
	v_mov_b32_e32 v0, 0x80
	v_cmp_lt_i16_sdwa s[10:11], s61, v0 src0_sel:BYTE_0 src1_sel:DWORD
	s_and_b64 vcc, exec, s[10:11]
	s_cbranch_vccnz .LBB143_946
; %bb.945:
	v_cmp_ne_u16_sdwa s[10:11], s61, v0 src0_sel:BYTE_0 src1_sel:DWORD
	s_mov_b64 s[12:13], 0
	s_mov_b32 s14, 0
	s_branch .LBB143_947
.LBB143_946:
	s_mov_b64 s[12:13], -1
	s_mov_b64 s[10:11], 0
                                        ; implicit-def: $sgpr14
.LBB143_947:
	s_andn2_b64 vcc, exec, s[12:13]
	s_cbranch_vccnz .LBB143_949
; %bb.948:
	v_mov_b32_e32 v0, 0
	s_mov_b32 s14, 0
	v_cmp_ne_u16_sdwa s[10:11], s61, v0 src0_sel:BYTE_0 src1_sel:DWORD
.LBB143_949:
	s_andn2_b64 vcc, exec, s[10:11]
	v_mov_b32_e32 v0, s14
	s_cbranch_vccnz .LBB143_951
; %bb.950:
	v_mov_b32_e32 v0, v12
.LBB143_951:
	global_store_dword v[10:11], v0, off
.LBB143_952:
	s_mov_b64 s[10:11], 0
.LBB143_953:
	s_andn2_b64 vcc, exec, s[10:11]
	s_cbranch_vccnz .LBB143_962
; %bb.954:
	v_mov_b32_e32 v0, 0x80
	v_cmp_lt_i16_sdwa s[10:11], s61, v0 src0_sel:BYTE_0 src1_sel:DWORD
	s_and_b64 vcc, exec, s[10:11]
	s_cbranch_vccnz .LBB143_956
; %bb.955:
	v_cmp_ne_u16_sdwa s[10:11], s61, v0 src0_sel:BYTE_0 src1_sel:DWORD
	s_mov_b64 s[12:13], 0
	s_mov_b32 s14, 0
	s_branch .LBB143_957
.LBB143_956:
	s_mov_b64 s[12:13], -1
	s_mov_b64 s[10:11], 0
                                        ; implicit-def: $sgpr14
.LBB143_957:
	s_andn2_b64 vcc, exec, s[12:13]
	s_cbranch_vccnz .LBB143_959
; %bb.958:
	v_mov_b32_e32 v0, 0
	s_mov_b32 s14, 0
	v_cmp_ne_u16_sdwa s[10:11], s61, v0 src0_sel:BYTE_0 src1_sel:DWORD
.LBB143_959:
	s_andn2_b64 vcc, exec, s[10:11]
	v_mov_b32_e32 v0, s14
	s_cbranch_vccnz .LBB143_961
; %bb.960:
	v_mov_b32_e32 v0, v12
.LBB143_961:
	global_store_short v[10:11], v0, off
.LBB143_962:
	s_mov_b64 s[10:11], 0
.LBB143_963:
	s_andn2_b64 vcc, exec, s[10:11]
	s_cbranch_vccnz .LBB143_982
; %bb.964:
	v_cmp_lt_i16_e32 vcc, 0, v13
	s_mov_b64 s[10:11], -1
	s_cbranch_vccz .LBB143_973
; %bb.965:
	v_mov_b32_e32 v0, 0x80
	v_cmp_lt_i16_sdwa s[10:11], s61, v0 src0_sel:BYTE_0 src1_sel:DWORD
	s_and_b64 vcc, exec, s[10:11]
	s_cbranch_vccnz .LBB143_967
; %bb.966:
	v_cmp_ne_u16_sdwa s[10:11], s61, v0 src0_sel:BYTE_0 src1_sel:DWORD
	s_mov_b64 s[12:13], 0
	s_mov_b32 s14, 0
	s_branch .LBB143_968
.LBB143_967:
	s_mov_b64 s[12:13], -1
	s_mov_b64 s[10:11], 0
                                        ; implicit-def: $sgpr14
.LBB143_968:
	s_andn2_b64 vcc, exec, s[12:13]
	s_cbranch_vccnz .LBB143_970
; %bb.969:
	v_mov_b32_e32 v0, 0
	s_mov_b32 s14, 0
	v_cmp_ne_u16_sdwa s[10:11], s61, v0 src0_sel:BYTE_0 src1_sel:DWORD
.LBB143_970:
	s_andn2_b64 vcc, exec, s[10:11]
	v_mov_b32_e32 v0, s14
	s_cbranch_vccnz .LBB143_972
; %bb.971:
	v_mov_b32_e32 v0, v12
.LBB143_972:
	global_store_byte v[10:11], v0, off
	s_mov_b64 s[10:11], 0
.LBB143_973:
	s_and_b64 vcc, exec, s[10:11]
	s_cbranch_vccz .LBB143_982
; %bb.974:
	v_mov_b32_e32 v0, 0x80
	v_cmp_lt_i16_sdwa s[10:11], s61, v0 src0_sel:BYTE_0 src1_sel:DWORD
	s_and_b64 vcc, exec, s[10:11]
	s_cbranch_vccnz .LBB143_976
; %bb.975:
	v_cmp_ne_u16_sdwa s[10:11], s61, v0 src0_sel:BYTE_0 src1_sel:DWORD
	s_mov_b64 s[12:13], 0
	s_mov_b32 s14, 0
	s_branch .LBB143_977
.LBB143_976:
	s_mov_b64 s[12:13], -1
	s_mov_b64 s[10:11], 0
                                        ; implicit-def: $sgpr14
.LBB143_977:
	s_andn2_b64 vcc, exec, s[12:13]
	s_cbranch_vccnz .LBB143_979
; %bb.978:
	v_mov_b32_e32 v0, 0
	s_mov_b32 s14, 0
	v_cmp_ne_u16_sdwa s[10:11], s61, v0 src0_sel:BYTE_0 src1_sel:DWORD
.LBB143_979:
	s_andn2_b64 vcc, exec, s[10:11]
	v_mov_b32_e32 v0, s14
	s_cbranch_vccnz .LBB143_981
; %bb.980:
	v_mov_b32_e32 v0, v4
.LBB143_981:
	global_store_byte v[10:11], v0, off
.LBB143_982:
	s_mov_b64 s[10:11], -1
.LBB143_983:
	s_andn2_b64 vcc, exec, s[10:11]
	s_cbranch_vccnz .LBB143_985
; %bb.984:
	v_add_u32_e32 v15, 0x80, v15
	s_mov_b64 s[10:11], -1
	s_branch .LBB143_986
.LBB143_985:
	s_mov_b64 s[10:11], 0
                                        ; implicit-def: $vgpr15
.LBB143_986:
	s_andn2_b64 s[12:13], s[50:51], exec
	s_and_b64 s[8:9], s[8:9], exec
	s_or_b64 s[56:57], s[12:13], s[8:9]
	s_orn2_b64 s[10:11], s[10:11], exec
.LBB143_987:
	s_or_b64 exec, exec, s[54:55]
	s_mov_b64 s[8:9], 0
	s_mov_b64 s[12:13], 0
                                        ; implicit-def: $vgpr10_vgpr11
	s_and_saveexec_b64 s[54:55], s[10:11]
	s_cbranch_execz .LBB143_1163
; %bb.988:
	v_cmp_gt_i32_e32 vcc, s64, v15
	s_mov_b64 s[10:11], s[56:57]
                                        ; implicit-def: $vgpr10_vgpr11
	s_and_saveexec_b64 s[58:59], vcc
	s_cbranch_execz .LBB143_1162
; %bb.989:
	s_andn2_b64 vcc, exec, s[30:31]
	s_cbranch_vccnz .LBB143_994
; %bb.990:
	s_andn2_b64 vcc, exec, s[44:45]
	s_cbranch_vccnz .LBB143_995
; %bb.991:
	s_add_i32 s65, s65, 1
	s_mov_b32 s64, 0
	s_cmp_eq_u32 s60, 2
	v_mov_b32_e32 v0, 0
	s_cbranch_scc1 .LBB143_996
; %bb.992:
	s_and_b32 s64, s65, 28
	s_mov_b32 s66, 0
	v_mov_b32_e32 v0, 0
	s_mov_b64 s[44:45], s[24:25]
	v_mov_b32_e32 v2, v15
.LBB143_993:                            ; =>This Inner Loop Header: Depth=1
	s_load_dwordx8 s[8:15], s[44:45], 0x4
	s_load_dwordx4 s[16:19], s[44:45], 0x24
	s_load_dwordx4 s[20:23], s[42:43], 0x0
	s_add_u32 s44, s44, 48
	s_addc_u32 s45, s45, 0
	s_waitcnt lgkmcnt(0)
	v_mul_hi_u32 v1, s9, v2
	v_add_u32_e32 v1, v2, v1
	v_lshrrev_b32_e32 v1, s10, v1
	v_mul_lo_u32 v3, v1, s8
	v_mul_hi_u32 v10, s12, v1
	v_sub_u32_e32 v2, v2, v3
	v_add_u32_e32 v3, v1, v10
	v_lshrrev_b32_e32 v3, s13, v3
	v_mul_lo_u32 v10, v3, s11
	v_mul_hi_u32 v11, s15, v3
	v_sub_u32_e32 v1, v1, v10
	v_add_u32_e32 v10, v3, v11
	v_mul_lo_u32 v2, v2, s20
	v_mul_lo_u32 v1, v1, s21
	v_lshrrev_b32_e32 v10, s16, v10
	v_add3_u32 v0, v2, v0, v1
	v_mul_hi_u32 v2, s18, v10
	v_add_u32_e32 v2, v10, v2
	v_mul_lo_u32 v1, v10, s14
	v_lshrrev_b32_e32 v2, s19, v2
	s_add_i32 s66, s66, 4
	v_sub_u32_e32 v1, v3, v1
	v_mul_lo_u32 v3, v2, s17
	s_add_u32 s42, s42, 16
	v_sub_u32_e32 v3, v10, v3
	s_addc_u32 s43, s43, 0
	v_mul_lo_u32 v1, v1, s22
	v_mul_lo_u32 v3, v3, s23
	s_cmp_eq_u32 s64, s66
	v_add3_u32 v0, v1, v0, v3
	s_cbranch_scc0 .LBB143_993
	s_branch .LBB143_997
.LBB143_994:
	s_mov_b64 s[8:9], -1
                                        ; implicit-def: $vgpr0
	s_branch .LBB143_1001
.LBB143_995:
	v_mov_b32_e32 v0, 0
	s_branch .LBB143_1000
.LBB143_996:
	v_mov_b32_e32 v2, v15
.LBB143_997:
	s_and_b32 s12, s65, 3
	s_cmp_eq_u32 s12, 0
	s_cbranch_scc1 .LBB143_1000
; %bb.998:
	s_lshl_b32 s8, s64, 2
	s_add_u32 s8, s8, s24
	s_addc_u32 s9, s25, 0
	s_add_u32 s8, s8, 0xc4
	s_addc_u32 s9, s9, 0
	s_mul_i32 s10, s64, 12
	s_add_u32 s10, s24, s10
	s_addc_u32 s11, s25, 0
.LBB143_999:                            ; =>This Inner Loop Header: Depth=1
	s_load_dwordx2 s[14:15], s[10:11], 0x4
	s_load_dword s13, s[10:11], 0xc
	s_load_dword s16, s[8:9], 0x0
	s_add_u32 s10, s10, 12
	s_addc_u32 s11, s11, 0
	s_waitcnt lgkmcnt(0)
	v_mul_hi_u32 v1, s15, v2
	v_add_u32_e32 v1, v2, v1
	v_lshrrev_b32_e32 v1, s13, v1
	s_add_u32 s8, s8, 4
	v_mul_lo_u32 v3, v1, s14
	s_addc_u32 s9, s9, 0
	s_add_i32 s12, s12, -1
	v_sub_u32_e32 v3, v2, v3
	s_cmp_lg_u32 s12, 0
	v_mov_b32_e32 v2, v1
	v_mad_u64_u32 v[0:1], s[14:15], v3, s16, v[0:1]
	s_cbranch_scc1 .LBB143_999
.LBB143_1000:
	s_mov_b64 s[8:9], 0
.LBB143_1001:
	s_andn2_b64 vcc, exec, s[8:9]
	s_cbranch_vccnz .LBB143_1004
; %bb.1002:
	v_mul_hi_u32 v0, s1, v15
	v_add_u32_e32 v0, v15, v0
	v_lshrrev_b32_e32 v1, s2, v0
	v_mul_lo_u32 v0, v1, s0
	v_sub_u32_e32 v0, v15, v0
	s_andn2_b64 vcc, exec, s[40:41]
	v_mul_lo_u32 v0, v0, s36
	s_cbranch_vccnz .LBB143_1004
; %bb.1003:
	v_mul_hi_u32 v2, s38, v1
	v_add_u32_e32 v2, v1, v2
	v_lshrrev_b32_e32 v2, s39, v2
	v_mul_lo_u32 v2, v2, s3
	v_sub_u32_e32 v1, v1, v2
	v_mad_u64_u32 v[0:1], s[0:1], v1, s37, v[0:1]
.LBB143_1004:
	v_mov_b32_e32 v1, s35
	v_add_co_u32_e32 v10, vcc, s34, v0
	v_addc_co_u32_e32 v11, vcc, 0, v1, vcc
	v_cmp_gt_i16_e32 vcc, 11, v13
	s_cbranch_vccnz .LBB143_1013
; %bb.1005:
	v_cmp_lt_i16_e32 vcc, 25, v13
	s_mov_b64 s[8:9], -1
	s_mov_b64 s[0:1], s[56:57]
	s_cbranch_vccz .LBB143_1074
; %bb.1006:
	v_cmp_lt_i16_e32 vcc, 28, v13
	s_mov_b64 s[2:3], -1
	s_mov_b64 s[0:1], s[56:57]
	s_cbranch_vccz .LBB143_1050
; %bb.1007:
	v_cmp_lt_i16_e32 vcc, 43, v13
	s_mov_b64 s[0:1], s[56:57]
	s_cbranch_vccz .LBB143_1037
; %bb.1008:
	v_cmp_lt_i16_e32 vcc, 45, v13
	s_mov_b64 s[0:1], s[56:57]
	s_cbranch_vccz .LBB143_1023
; %bb.1009:
	v_cmp_eq_u16_e32 vcc, 46, v13
	s_mov_b64 s[0:1], -1
	s_cbranch_vccz .LBB143_1022
; %bb.1010:
	v_mov_b32_e32 v0, 0x80
	v_cmp_lt_i16_sdwa s[0:1], s61, v0 src0_sel:BYTE_0 src1_sel:DWORD
	s_and_b64 vcc, exec, s[0:1]
	s_cbranch_vccnz .LBB143_1014
; %bb.1011:
	v_cmp_eq_u16_sdwa s[0:1], s61, v0 src0_sel:BYTE_0 src1_sel:DWORD
	s_and_b64 vcc, exec, s[0:1]
	s_cbranch_vccz .LBB143_1015
; %bb.1012:
	s_mov_b64 s[0:1], 0
	s_mov_b32 s8, 0x7f800001
	s_branch .LBB143_1016
.LBB143_1013:
	s_mov_b64 s[8:9], 0
	s_mov_b64 s[2:3], -1
	s_mov_b64 s[0:1], s[56:57]
	s_branch .LBB143_1161
.LBB143_1014:
	s_mov_b64 s[0:1], 0
                                        ; implicit-def: $sgpr8
	s_branch .LBB143_1017
.LBB143_1015:
	s_mov_b64 s[0:1], -1
                                        ; implicit-def: $sgpr8
.LBB143_1016:
	s_mov_b64 s[2:3], 0
.LBB143_1017:
	s_and_b64 vcc, exec, s[2:3]
	s_cbranch_vccz .LBB143_1019
; %bb.1018:
	v_mov_b32_e32 v0, 0
	s_mov_b32 s8, 0
	v_cmp_ne_u16_sdwa s[0:1], s61, v0 src0_sel:BYTE_0 src1_sel:DWORD
.LBB143_1019:
	s_andn2_b64 vcc, exec, s[0:1]
	s_cbranch_vccnz .LBB143_1021
; %bb.1020:
	s_mov_b32 s8, s62
.LBB143_1021:
	s_bfe_u32 s0, s8, 0x10010
	s_add_i32 s0, s8, s0
	s_addk_i32 s0, 0x7fff
	s_lshr_b32 s2, s0, 16
	v_cmp_o_f32_e64 s[0:1], s8, s8
	s_and_b64 s[0:1], s[0:1], exec
	s_cselect_b32 s0, s2, 0x7fc0
	v_mov_b32_e32 v0, s0
	global_store_dword v[10:11], v0, off
	s_mov_b64 s[0:1], 0
.LBB143_1022:
	s_mov_b64 s[2:3], 0
.LBB143_1023:
	s_and_b64 vcc, exec, s[2:3]
	s_cbranch_vccz .LBB143_1036
; %bb.1024:
	v_cmp_eq_u16_e32 vcc, 44, v13
	s_mov_b64 s[0:1], -1
	s_cbranch_vccz .LBB143_1036
; %bb.1025:
	v_mov_b32_e32 v0, 0xff
	v_and_b32_e32 v0, s61, v0
	s_movk_i32 s0, 0x80
	v_cmp_gt_i16_e32 vcc, s0, v0
	v_readfirstlane_b32 s9, v0
	s_cbranch_vccnz .LBB143_1028
; %bb.1026:
	v_mov_b32_e32 v0, 0x80
	v_cmp_eq_u16_e32 vcc, s9, v0
	s_cbranch_vccz .LBB143_1029
; %bb.1027:
	s_mov_b64 s[0:1], 0
	s_mov_b32 s8, 0x7f800001
	s_branch .LBB143_1030
.LBB143_1028:
	s_mov_b64 s[2:3], -1
	s_mov_b64 s[0:1], 0
                                        ; implicit-def: $sgpr8
	s_branch .LBB143_1031
.LBB143_1029:
	s_mov_b64 s[0:1], -1
                                        ; implicit-def: $sgpr8
.LBB143_1030:
	s_mov_b64 s[2:3], 0
.LBB143_1031:
	s_and_b64 vcc, exec, s[2:3]
	s_cbranch_vccz .LBB143_1041
; %bb.1032:
	s_and_b32 s8, 0xffff, s9
	v_cmp_ne_u16_e64 s[0:1], s9, 0
	s_andn2_b64 vcc, exec, s[0:1]
	s_cbranch_vccz .LBB143_1042
.LBB143_1033:
	s_bfe_u32 s0, s8, 0x80017
	s_cmpk_eq_i32 s0, 0xff
	v_mov_b32_e32 v0, 0xff
	s_cbranch_scc1 .LBB143_1035
.LBB143_1034:
	s_lshr_b32 s9, s8, 23
	s_bitcmp1_b32 s8, 22
	s_cselect_b64 s[2:3], -1, 0
	s_and_b32 s1, s8, 0x3fffff
	s_or_b32 s0, s0, s1
	s_cmp_lg_u32 s0, 0
	s_cselect_b64 s[0:1], -1, 0
	s_and_b64 s[0:1], s[2:3], s[0:1]
	v_cndmask_b32_e64 v0, 0, 1, s[0:1]
	v_add_u32_e32 v0, s9, v0
.LBB143_1035:
	s_mov_b64 s[0:1], 0
	global_store_byte v[10:11], v0, off
.LBB143_1036:
	s_mov_b64 s[2:3], 0
.LBB143_1037:
	s_and_b64 vcc, exec, s[2:3]
	s_cbranch_vccz .LBB143_1049
; %bb.1038:
	v_cmp_eq_u16_e32 vcc, 29, v13
	s_mov_b64 s[0:1], -1
	s_cbranch_vccz .LBB143_1049
; %bb.1039:
	v_mov_b32_e32 v0, 0x80
	v_cmp_lt_i16_sdwa s[0:1], s61, v0 src0_sel:BYTE_0 src1_sel:DWORD
	s_and_b64 vcc, exec, s[0:1]
	s_cbranch_vccnz .LBB143_1043
; %bb.1040:
	v_cmp_ne_u16_sdwa s[0:1], s61, v0 src0_sel:BYTE_0 src1_sel:DWORD
	s_mov_b64 s[8:9], 0
	s_mov_b64 s[2:3], 0
	s_branch .LBB143_1044
.LBB143_1041:
	s_andn2_b64 vcc, exec, s[0:1]
	s_cbranch_vccnz .LBB143_1033
.LBB143_1042:
	s_mov_b32 s8, s63
	s_bfe_u32 s0, s8, 0x80017
	s_cmpk_eq_i32 s0, 0xff
	v_mov_b32_e32 v0, 0xff
	s_cbranch_scc0 .LBB143_1034
	s_branch .LBB143_1035
.LBB143_1043:
	s_mov_b64 s[8:9], -1
	s_mov_b64 s[0:1], 0
                                        ; implicit-def: $sgpr2_sgpr3
.LBB143_1044:
	s_andn2_b64 vcc, exec, s[8:9]
	s_cbranch_vccnz .LBB143_1046
; %bb.1045:
	v_mov_b32_e32 v0, 0
	v_cmp_ne_u16_sdwa s[0:1], s61, v0 src0_sel:BYTE_0 src1_sel:DWORD
	s_mov_b64 s[2:3], 0
.LBB143_1046:
	s_andn2_b64 vcc, exec, s[0:1]
	v_pk_mov_b32 v[0:1], s[2:3], s[2:3] op_sel:[0,1]
	s_cbranch_vccnz .LBB143_1048
; %bb.1047:
	v_pk_mov_b32 v[0:1], v[8:9], v[8:9] op_sel:[0,1]
.LBB143_1048:
	s_mov_b64 s[0:1], 0
	global_store_dwordx2 v[10:11], v[0:1], off
.LBB143_1049:
	s_mov_b64 s[2:3], 0
.LBB143_1050:
	s_and_b64 vcc, exec, s[2:3]
	s_cbranch_vccz .LBB143_1073
; %bb.1051:
	v_cmp_gt_i16_e32 vcc, 27, v13
	s_mov_b64 s[2:3], -1
	s_cbranch_vccnz .LBB143_1071
; %bb.1052:
	v_cmp_lt_i16_e32 vcc, 27, v13
	s_cbranch_vccz .LBB143_1061
; %bb.1053:
	v_mov_b32_e32 v0, 0x80
	v_cmp_lt_i16_sdwa s[2:3], s61, v0 src0_sel:BYTE_0 src1_sel:DWORD
	s_and_b64 vcc, exec, s[2:3]
	s_cbranch_vccnz .LBB143_1055
; %bb.1054:
	v_cmp_ne_u16_sdwa s[2:3], s61, v0 src0_sel:BYTE_0 src1_sel:DWORD
	s_mov_b64 s[8:9], 0
	s_mov_b32 s10, 0
	s_branch .LBB143_1056
.LBB143_1055:
	s_mov_b64 s[8:9], -1
	s_mov_b64 s[2:3], 0
                                        ; implicit-def: $sgpr10
.LBB143_1056:
	s_andn2_b64 vcc, exec, s[8:9]
	s_cbranch_vccnz .LBB143_1058
; %bb.1057:
	v_mov_b32_e32 v0, 0
	s_mov_b32 s10, 0
	v_cmp_ne_u16_sdwa s[2:3], s61, v0 src0_sel:BYTE_0 src1_sel:DWORD
.LBB143_1058:
	s_andn2_b64 vcc, exec, s[2:3]
	v_mov_b32_e32 v0, s10
	s_cbranch_vccnz .LBB143_1060
; %bb.1059:
	v_mov_b32_e32 v0, v16
.LBB143_1060:
	global_store_dword v[10:11], v0, off
	s_mov_b64 s[2:3], 0
.LBB143_1061:
	s_and_b64 vcc, exec, s[2:3]
	s_cbranch_vccz .LBB143_1070
; %bb.1062:
	v_mov_b32_e32 v0, 0x80
	v_cmp_lt_i16_sdwa s[2:3], s61, v0 src0_sel:BYTE_0 src1_sel:DWORD
	s_and_b64 vcc, exec, s[2:3]
	s_cbranch_vccnz .LBB143_1064
; %bb.1063:
	v_cmp_ne_u16_sdwa s[2:3], s61, v0 src0_sel:BYTE_0 src1_sel:DWORD
	s_mov_b64 s[8:9], 0
	s_mov_b32 s10, 0
	s_branch .LBB143_1065
.LBB143_1064:
	s_mov_b64 s[8:9], -1
	s_mov_b64 s[2:3], 0
                                        ; implicit-def: $sgpr10
.LBB143_1065:
	s_andn2_b64 vcc, exec, s[8:9]
	s_cbranch_vccnz .LBB143_1067
; %bb.1066:
	v_mov_b32_e32 v0, 0
	s_mov_b32 s10, 0
	v_cmp_ne_u16_sdwa s[2:3], s61, v0 src0_sel:BYTE_0 src1_sel:DWORD
.LBB143_1067:
	s_andn2_b64 vcc, exec, s[2:3]
	v_mov_b32_e32 v0, s10
	s_cbranch_vccnz .LBB143_1069
; %bb.1068:
	v_mov_b32_e32 v0, v16
.LBB143_1069:
	global_store_short v[10:11], v0, off
.LBB143_1070:
	s_mov_b64 s[2:3], 0
.LBB143_1071:
	s_andn2_b64 vcc, exec, s[2:3]
	s_cbranch_vccnz .LBB143_1073
; %bb.1072:
	v_mov_b32_e32 v0, s61
	global_store_byte v[10:11], v0, off
.LBB143_1073:
	s_mov_b64 s[8:9], 0
.LBB143_1074:
	s_mov_b64 s[2:3], 0
	s_and_b64 vcc, exec, s[8:9]
	s_cbranch_vccz .LBB143_1081
; %bb.1075:
	v_cmp_lt_i16_e32 vcc, 22, v13
	s_mov_b64 s[8:9], -1
	s_cbranch_vccz .LBB143_1144
; %bb.1076:
	v_cmp_gt_i16_e32 vcc, 24, v13
	s_cbranch_vccnz .LBB143_1121
; %bb.1077:
	v_cmp_lt_i16_e32 vcc, 24, v13
	s_cbranch_vccz .LBB143_1098
; %bb.1078:
	v_mov_b32_e32 v0, 0x80
	v_cmp_lt_i16_sdwa s[8:9], s61, v0 src0_sel:BYTE_0 src1_sel:DWORD
	s_and_b64 vcc, exec, s[8:9]
	s_cbranch_vccnz .LBB143_1082
; %bb.1079:
	v_cmp_eq_u16_sdwa s[8:9], s61, v0 src0_sel:BYTE_0 src1_sel:DWORD
	s_and_b64 vcc, exec, s[8:9]
	s_cbranch_vccz .LBB143_1083
; %bb.1080:
	s_mov_b64 s[8:9], 0
	s_mov_b32 s12, 0x7f800001
	s_branch .LBB143_1084
.LBB143_1081:
	s_mov_b64 s[8:9], 0
	s_branch .LBB143_1161
.LBB143_1082:
	s_mov_b64 s[10:11], -1
	s_mov_b64 s[8:9], 0
                                        ; implicit-def: $sgpr12
	s_branch .LBB143_1085
.LBB143_1083:
	s_mov_b64 s[8:9], -1
                                        ; implicit-def: $sgpr12
.LBB143_1084:
	s_mov_b64 s[10:11], 0
.LBB143_1085:
	s_and_b64 vcc, exec, s[10:11]
	s_cbranch_vccz .LBB143_1088
; %bb.1086:
	v_mov_b32_e32 v0, 0
	s_mov_b32 s12, 0
	v_cmp_ne_u16_sdwa s[8:9], s61, v0 src0_sel:BYTE_0 src1_sel:DWORD
	s_andn2_b64 vcc, exec, s[8:9]
	s_cbranch_vccz .LBB143_1089
.LBB143_1087:
	s_and_b32 s8, s12, 0x7fffffff
	s_cmp_gt_u32 s8, 0x477fffff
	v_mov_b32_e32 v1, 0x80
	s_cbranch_scc0 .LBB143_1090
	s_branch .LBB143_1097
.LBB143_1088:
	s_andn2_b64 vcc, exec, s[8:9]
	s_cbranch_vccnz .LBB143_1087
.LBB143_1089:
	s_mov_b32 s12, s62
	s_and_b32 s8, s12, 0x7fffffff
	s_cmp_gt_u32 s8, 0x477fffff
	v_mov_b32_e32 v1, 0x80
	s_cbranch_scc1 .LBB143_1097
.LBB143_1090:
	s_cmp_lt_u32 s8, 0x38000000
	s_cbranch_scc1 .LBB143_1092
; %bb.1091:
	s_bfe_u32 s8, s12, 0x10015
	s_add_i32 s8, s12, s8
	s_add_i32 s8, s8, 0x88fffff
	s_lshr_b32 s13, s8, 21
	s_mov_b64 s[10:11], 0
	s_mov_b64 s[8:9], -1
	s_branch .LBB143_1093
.LBB143_1092:
	s_mov_b64 s[10:11], -1
	s_mov_b64 s[8:9], 0
                                        ; implicit-def: $sgpr13
.LBB143_1093:
	s_andn2_b64 vcc, exec, s[10:11]
	v_mov_b32_e32 v0, s13
                                        ; implicit-def: $sgpr10
	s_cbranch_vccnz .LBB143_1095
; %bb.1094:
	v_mov_b32_e32 v0, 0x42800000
	v_add_f32_e64 v0, |s12|, v0
	v_and_b32_e32 v0, 0xff, v0
	s_mov_b32 s10, 0
	v_cmp_ne_u32_e64 s[8:9], 0, v0
.LBB143_1095:
	s_andn2_b64 vcc, exec, s[8:9]
	v_mov_b32_e32 v1, s10
	s_cbranch_vccnz .LBB143_1097
; %bb.1096:
	s_lshr_b32 s8, s12, 24
	s_and_b32 s8, s8, 0x80
	v_or_b32_e32 v1, s8, v0
.LBB143_1097:
	global_store_byte v[10:11], v1, off
	s_mov_b64 s[8:9], 0
.LBB143_1098:
	s_and_b64 vcc, exec, s[8:9]
	s_cbranch_vccz .LBB143_1120
; %bb.1099:
	v_mov_b32_e32 v0, 0x80
	v_cmp_lt_i16_sdwa s[8:9], s61, v0 src0_sel:BYTE_0 src1_sel:DWORD
	s_and_b64 vcc, exec, s[8:9]
	s_cbranch_vccnz .LBB143_1102
; %bb.1100:
	v_cmp_eq_u16_sdwa s[8:9], s61, v0 src0_sel:BYTE_0 src1_sel:DWORD
	s_and_b64 vcc, exec, s[8:9]
	s_cbranch_vccz .LBB143_1103
; %bb.1101:
	s_mov_b64 s[8:9], 0
	s_mov_b32 s12, 0x7f800001
	s_branch .LBB143_1104
.LBB143_1102:
	s_mov_b64 s[10:11], -1
	s_mov_b64 s[8:9], 0
                                        ; implicit-def: $sgpr12
	s_branch .LBB143_1105
.LBB143_1103:
	s_mov_b64 s[8:9], -1
                                        ; implicit-def: $sgpr12
.LBB143_1104:
	s_mov_b64 s[10:11], 0
.LBB143_1105:
	s_and_b64 vcc, exec, s[10:11]
	s_cbranch_vccz .LBB143_1110
; %bb.1106:
	v_mov_b32_e32 v0, 0
	s_mov_b32 s12, 0
	v_cmp_ne_u16_sdwa s[8:9], s61, v0 src0_sel:BYTE_0 src1_sel:DWORD
	s_andn2_b64 vcc, exec, s[8:9]
	s_cbranch_vccz .LBB143_1111
.LBB143_1107:
	s_and_b32 s10, s12, 0x7fffffff
	s_cmp_gt_u32 s10, 0x43efffff
	s_cbranch_scc1 .LBB143_1112
.LBB143_1108:
	s_cmp_lt_u32 s10, 0x3c800000
	s_cbranch_scc1 .LBB143_1113
; %bb.1109:
	s_bfe_u32 s8, s12, 0x10014
	s_add_i32 s8, s12, s8
	s_add_i32 s8, s8, 0x407ffff
	s_lshr_b32 s9, s8, 20
	s_and_b32 s8, s8, 0xff00000
	s_cmp_lg_u32 s8, 0x7f00000
	s_cselect_b32 s11, s9, 0x7e
	s_mov_b64 s[8:9], 0
	s_branch .LBB143_1114
.LBB143_1110:
	s_andn2_b64 vcc, exec, s[8:9]
	s_cbranch_vccnz .LBB143_1107
.LBB143_1111:
	s_mov_b32 s12, s62
	s_and_b32 s10, s12, 0x7fffffff
	s_cmp_gt_u32 s10, 0x43efffff
	s_cbranch_scc0 .LBB143_1108
.LBB143_1112:
	s_mov_b64 s[8:9], -1
                                        ; implicit-def: $vgpr0
	s_branch .LBB143_1117
.LBB143_1113:
	s_mov_b64 s[8:9], -1
                                        ; implicit-def: $sgpr11
.LBB143_1114:
	s_andn2_b64 vcc, exec, s[8:9]
	v_mov_b32_e32 v0, s11
	s_cbranch_vccnz .LBB143_1116
; %bb.1115:
	v_mov_b32_e32 v0, 0x46800000
	v_add_f32_e64 v0, |s12|, v0
.LBB143_1116:
	s_mov_b64 s[8:9], 0
.LBB143_1117:
	s_andn2_b64 vcc, exec, s[8:9]
	s_cbranch_vccnz .LBB143_1119
; %bb.1118:
	s_cmp_gt_u32 s10, 0x7f800000
	s_movk_i32 s8, 0x7f
	s_cselect_b32 s8, s8, 0x7e
	v_mov_b32_e32 v0, s8
.LBB143_1119:
	s_lshr_b32 s8, s12, 24
	s_and_b32 s8, s8, 0x80
	v_or_b32_e32 v0, s8, v0
	global_store_byte v[10:11], v0, off
.LBB143_1120:
	s_mov_b64 s[8:9], 0
.LBB143_1121:
	s_andn2_b64 vcc, exec, s[8:9]
	s_cbranch_vccnz .LBB143_1143
; %bb.1122:
	v_mov_b32_e32 v0, 0x80
	v_cmp_lt_i16_sdwa s[8:9], s61, v0 src0_sel:BYTE_0 src1_sel:DWORD
	s_and_b64 vcc, exec, s[8:9]
	s_cbranch_vccnz .LBB143_1125
; %bb.1123:
	v_cmp_eq_u16_sdwa s[8:9], s61, v0 src0_sel:BYTE_0 src1_sel:DWORD
	s_and_b64 vcc, exec, s[8:9]
	s_cbranch_vccz .LBB143_1126
; %bb.1124:
	s_mov_b64 s[8:9], 0
	s_mov_b32 s12, 0x7f800001
	s_branch .LBB143_1127
.LBB143_1125:
	s_mov_b64 s[10:11], -1
	s_mov_b64 s[8:9], 0
                                        ; implicit-def: $sgpr12
	s_branch .LBB143_1128
.LBB143_1126:
	s_mov_b64 s[8:9], -1
                                        ; implicit-def: $sgpr12
.LBB143_1127:
	s_mov_b64 s[10:11], 0
.LBB143_1128:
	s_and_b64 vcc, exec, s[10:11]
	s_cbranch_vccz .LBB143_1133
; %bb.1129:
	v_mov_b32_e32 v0, 0
	s_mov_b32 s12, 0
	v_cmp_ne_u16_sdwa s[8:9], s61, v0 src0_sel:BYTE_0 src1_sel:DWORD
	s_andn2_b64 vcc, exec, s[8:9]
	s_cbranch_vccz .LBB143_1134
.LBB143_1130:
	s_and_b32 s10, s12, 0x7fffffff
	s_cmp_gt_u32 s10, 0x477fffff
	s_cbranch_scc1 .LBB143_1135
.LBB143_1131:
	s_cmp_lt_u32 s10, 0x38800000
	s_cbranch_scc1 .LBB143_1136
; %bb.1132:
	s_bfe_u32 s8, s12, 0x10015
	s_add_i32 s8, s12, s8
	s_add_i32 s8, s8, 0x80fffff
	s_lshr_b32 s11, s8, 21
	s_mov_b64 s[8:9], 0
	s_branch .LBB143_1137
.LBB143_1133:
	s_andn2_b64 vcc, exec, s[8:9]
	s_cbranch_vccnz .LBB143_1130
.LBB143_1134:
	s_mov_b32 s12, s62
	s_and_b32 s10, s12, 0x7fffffff
	s_cmp_gt_u32 s10, 0x477fffff
	s_cbranch_scc0 .LBB143_1131
.LBB143_1135:
	s_mov_b64 s[8:9], -1
                                        ; implicit-def: $vgpr0
	s_branch .LBB143_1140
.LBB143_1136:
	s_mov_b64 s[8:9], -1
                                        ; implicit-def: $sgpr11
.LBB143_1137:
	s_andn2_b64 vcc, exec, s[8:9]
	v_mov_b32_e32 v0, s11
	s_cbranch_vccnz .LBB143_1139
; %bb.1138:
	v_mov_b32_e32 v0, 0x43000000
	v_add_f32_e64 v0, |s12|, v0
.LBB143_1139:
	s_mov_b64 s[8:9], 0
.LBB143_1140:
	s_andn2_b64 vcc, exec, s[8:9]
	s_cbranch_vccnz .LBB143_1142
; %bb.1141:
	s_cmp_gt_u32 s10, 0x7f800000
	s_movk_i32 s8, 0x7f
	s_cselect_b32 s8, s8, 0x7c
	v_mov_b32_e32 v0, s8
.LBB143_1142:
	s_lshr_b32 s8, s12, 24
	s_and_b32 s8, s8, 0x80
	v_or_b32_e32 v0, s8, v0
	global_store_byte v[10:11], v0, off
.LBB143_1143:
	s_mov_b64 s[8:9], 0
.LBB143_1144:
	s_andn2_b64 vcc, exec, s[8:9]
	s_mov_b64 s[8:9], 0
	s_cbranch_vccnz .LBB143_1161
; %bb.1145:
	v_cmp_lt_i16_e32 vcc, 14, v13
	s_mov_b64 s[10:11], -1
	s_cbranch_vccz .LBB143_1159
; %bb.1146:
	v_cmp_eq_u16_e32 vcc, 15, v13
	s_mov_b64 s[0:1], -1
	s_cbranch_vccz .LBB143_1158
; %bb.1147:
	v_mov_b32_e32 v0, 0x80
	v_cmp_lt_i16_sdwa s[0:1], s61, v0 src0_sel:BYTE_0 src1_sel:DWORD
	s_and_b64 vcc, exec, s[0:1]
	s_cbranch_vccnz .LBB143_1150
; %bb.1148:
	v_cmp_eq_u16_sdwa s[0:1], s61, v0 src0_sel:BYTE_0 src1_sel:DWORD
	s_and_b64 vcc, exec, s[0:1]
	s_cbranch_vccz .LBB143_1151
; %bb.1149:
	s_mov_b64 s[0:1], 0
	s_mov_b32 s10, 0x7f800001
	s_branch .LBB143_1153
.LBB143_1150:
	s_mov_b64 s[8:9], -1
	s_mov_b64 s[0:1], 0
	s_branch .LBB143_1152
.LBB143_1151:
	s_mov_b64 s[0:1], -1
.LBB143_1152:
                                        ; implicit-def: $sgpr10
.LBB143_1153:
	s_and_b64 vcc, exec, s[8:9]
	s_cbranch_vccz .LBB143_1155
; %bb.1154:
	v_mov_b32_e32 v0, 0
	s_mov_b32 s10, 0
	v_cmp_ne_u16_sdwa s[0:1], s61, v0 src0_sel:BYTE_0 src1_sel:DWORD
.LBB143_1155:
	s_andn2_b64 vcc, exec, s[0:1]
	s_cbranch_vccnz .LBB143_1157
; %bb.1156:
	s_mov_b32 s10, s62
.LBB143_1157:
	s_bfe_u32 s0, s10, 0x10010
	s_add_i32 s0, s10, s0
	s_addk_i32 s0, 0x7fff
	s_lshr_b32 s8, s0, 16
	v_cmp_o_f32_e64 s[0:1], s10, s10
	s_and_b64 s[0:1], s[0:1], exec
	s_cselect_b32 s0, s8, 0x7fc0
	v_mov_b32_e32 v0, s0
	global_store_short v[10:11], v0, off
	s_mov_b64 s[0:1], 0
.LBB143_1158:
	s_mov_b64 s[10:11], 0
.LBB143_1159:
	s_mov_b64 s[8:9], 0
	s_and_b64 vcc, exec, s[10:11]
	s_cbranch_vccz .LBB143_1161
; %bb.1160:
	v_cmp_ne_u16_e32 vcc, 11, v13
	s_andn2_b64 s[0:1], s[0:1], exec
	s_and_b64 s[10:11], vcc, exec
	s_mov_b64 s[8:9], -1
	s_or_b64 s[0:1], s[0:1], s[10:11]
.LBB143_1161:
	s_and_b64 s[12:13], s[2:3], exec
	s_andn2_b64 s[2:3], s[56:57], exec
	s_and_b64 s[0:1], s[0:1], exec
	s_and_b64 s[8:9], s[8:9], exec
	s_or_b64 s[10:11], s[2:3], s[0:1]
.LBB143_1162:
	s_or_b64 exec, exec, s[58:59]
	s_andn2_b64 s[0:1], s[56:57], exec
	s_and_b64 s[2:3], s[10:11], exec
	s_and_b64 s[12:13], s[12:13], exec
	;; [unrolled: 1-line block ×3, first 2 shown]
	s_or_b64 s[56:57], s[0:1], s[2:3]
.LBB143_1163:
	s_or_b64 exec, exec, s[54:55]
	s_andn2_b64 s[0:1], s[50:51], exec
	s_and_b64 s[2:3], s[56:57], exec
	s_and_b64 s[12:13], s[12:13], exec
	;; [unrolled: 1-line block ×3, first 2 shown]
	s_or_b64 s[50:51], s[0:1], s[2:3]
.LBB143_1164:
	s_or_b64 exec, exec, s[52:53]
	s_andn2_b64 s[0:1], s[46:47], exec
	s_and_b64 s[2:3], s[50:51], exec
	s_and_b64 s[8:9], s[12:13], exec
	;; [unrolled: 1-line block ×3, first 2 shown]
	s_or_b64 s[46:47], s[0:1], s[2:3]
	s_or_b64 exec, exec, s[48:49]
	s_mov_b64 s[0:1], 0
	s_and_saveexec_b64 s[2:3], s[46:47]
	s_cbranch_execz .LBB143_332
.LBB143_1165:
	s_mov_b64 s[0:1], exec
	s_andn2_b64 s[52:53], s[52:53], exec
	s_trap 2
	s_or_b64 exec, exec, s[2:3]
	s_and_saveexec_b64 s[2:3], s[52:53]
	s_cbranch_execnz .LBB143_333
.LBB143_1166:
	s_or_b64 exec, exec, s[2:3]
	s_and_saveexec_b64 s[2:3], s[8:9]
	s_xor_b64 s[2:3], exec, s[2:3]
	s_cbranch_execz .LBB143_1299
.LBB143_1167:
	v_cmp_gt_i16_e32 vcc, 5, v13
	s_mov_b64 s[6:7], -1
	s_cbranch_vccnz .LBB143_1248
; %bb.1168:
	v_cmp_gt_i16_e32 vcc, 8, v13
	s_cbranch_vccnz .LBB143_1208
; %bb.1169:
	v_cmp_gt_i16_e32 vcc, 9, v13
	s_cbranch_vccnz .LBB143_1195
; %bb.1170:
	v_cmp_lt_i16_e32 vcc, 9, v13
	s_cbranch_vccz .LBB143_1182
; %bb.1171:
	v_mov_b32_e32 v0, 0x80
	v_cmp_lt_i16_sdwa s[6:7], s61, v0 src0_sel:BYTE_0 src1_sel:DWORD
	s_and_b64 vcc, exec, s[6:7]
	s_cbranch_vccnz .LBB143_1174
; %bb.1172:
	v_cmp_eq_u16_sdwa s[6:7], s61, v0 src0_sel:BYTE_0 src1_sel:DWORD
	s_and_b64 vcc, exec, s[6:7]
	s_cbranch_vccz .LBB143_1175
; %bb.1173:
	s_mov_b64 s[6:7], 0
	s_mov_b32 s9, 0x7ff80000
	s_brev_b32 s8, 4
	s_branch .LBB143_1176
.LBB143_1174:
	s_mov_b64 s[10:11], -1
	s_mov_b64 s[6:7], 0
                                        ; implicit-def: $sgpr8_sgpr9
	s_branch .LBB143_1177
.LBB143_1175:
	s_mov_b64 s[6:7], -1
                                        ; implicit-def: $sgpr8_sgpr9
.LBB143_1176:
	s_mov_b64 s[10:11], 0
.LBB143_1177:
	s_and_b64 vcc, exec, s[10:11]
	s_cbranch_vccz .LBB143_1179
; %bb.1178:
	v_mov_b32_e32 v0, 0
	v_cmp_ne_u16_sdwa s[6:7], s61, v0 src0_sel:BYTE_0 src1_sel:DWORD
	s_mov_b64 s[8:9], 0
.LBB143_1179:
	s_andn2_b64 vcc, exec, s[6:7]
	v_pk_mov_b32 v[0:1], s[8:9], s[8:9] op_sel:[0,1]
	s_cbranch_vccnz .LBB143_1181
; %bb.1180:
	v_pk_mov_b32 v[0:1], v[6:7], v[6:7] op_sel:[0,1]
.LBB143_1181:
	v_mov_b32_e32 v2, 0
	v_mov_b32_e32 v3, v2
	global_store_dwordx4 v[10:11], v[0:3], off
	s_mov_b64 s[6:7], 0
.LBB143_1182:
	s_and_b64 vcc, exec, s[6:7]
	s_cbranch_vccz .LBB143_1194
; %bb.1183:
	v_mov_b32_e32 v0, 0x80
	v_cmp_lt_i16_sdwa s[6:7], s61, v0 src0_sel:BYTE_0 src1_sel:DWORD
	s_and_b64 vcc, exec, s[6:7]
	s_cbranch_vccnz .LBB143_1186
; %bb.1184:
	v_cmp_eq_u16_sdwa s[6:7], s61, v0 src0_sel:BYTE_0 src1_sel:DWORD
	s_and_b64 vcc, exec, s[6:7]
	s_cbranch_vccz .LBB143_1187
; %bb.1185:
	s_mov_b64 s[6:7], 0
	s_mov_b32 s10, 0x7f800001
	s_branch .LBB143_1188
.LBB143_1186:
	s_mov_b64 s[8:9], -1
	s_mov_b64 s[6:7], 0
                                        ; implicit-def: $sgpr10
	s_branch .LBB143_1189
.LBB143_1187:
	s_mov_b64 s[6:7], -1
                                        ; implicit-def: $sgpr10
.LBB143_1188:
	s_mov_b64 s[8:9], 0
.LBB143_1189:
	s_and_b64 vcc, exec, s[8:9]
	v_mov_b32_e32 v0, s10
	s_cbranch_vccz .LBB143_1191
; %bb.1190:
	s_mov_b32 s6, 0xffff
	v_mov_b32_e32 v0, s61
	v_mov_b32_e32 v1, 0
	v_and_b32_sdwa v0, s6, v0 dst_sel:DWORD dst_unused:UNUSED_PAD src0_sel:DWORD src1_sel:BYTE_0
	v_cmp_ne_u16_sdwa s[6:7], s61, v1 src0_sel:BYTE_0 src1_sel:DWORD
.LBB143_1191:
	s_andn2_b64 vcc, exec, s[6:7]
	s_cbranch_vccnz .LBB143_1193
; %bb.1192:
	v_mov_b32_e32 v0, s62
.LBB143_1193:
	v_mov_b32_e32 v1, 0
	global_store_dwordx2 v[10:11], v[0:1], off
.LBB143_1194:
	s_mov_b64 s[6:7], 0
.LBB143_1195:
	s_andn2_b64 vcc, exec, s[6:7]
	s_cbranch_vccnz .LBB143_1207
; %bb.1196:
	v_mov_b32_e32 v0, 0x80
	v_cmp_lt_i16_sdwa s[6:7], s61, v0 src0_sel:BYTE_0 src1_sel:DWORD
	s_and_b64 vcc, exec, s[6:7]
	s_cbranch_vccnz .LBB143_1199
; %bb.1197:
	v_cmp_eq_u16_sdwa s[6:7], s61, v0 src0_sel:BYTE_0 src1_sel:DWORD
	s_and_b64 vcc, exec, s[6:7]
	s_cbranch_vccz .LBB143_1200
; %bb.1198:
	s_mov_b64 s[6:7], 0
	s_movk_i32 s10, 0x7e00
	s_branch .LBB143_1201
.LBB143_1199:
	s_mov_b64 s[8:9], -1
	s_mov_b64 s[6:7], 0
                                        ; implicit-def: $sgpr10
	s_branch .LBB143_1202
.LBB143_1200:
	s_mov_b64 s[6:7], -1
                                        ; implicit-def: $sgpr10
.LBB143_1201:
	s_mov_b64 s[8:9], 0
.LBB143_1202:
	s_and_b64 vcc, exec, s[8:9]
	v_mov_b32_e32 v0, s10
	s_cbranch_vccz .LBB143_1204
; %bb.1203:
	s_mov_b32 s6, 0xffff
	v_mov_b32_e32 v0, s61
	v_mov_b32_e32 v1, 0
	v_and_b32_sdwa v0, s6, v0 dst_sel:DWORD dst_unused:UNUSED_PAD src0_sel:DWORD src1_sel:BYTE_0
	v_cmp_ne_u16_sdwa s[6:7], s61, v1 src0_sel:BYTE_0 src1_sel:DWORD
.LBB143_1204:
	s_andn2_b64 vcc, exec, s[6:7]
	s_cbranch_vccnz .LBB143_1206
; %bb.1205:
	v_mov_b32_e32 v0, v14
.LBB143_1206:
	global_store_dword v[10:11], v0, off
.LBB143_1207:
	s_mov_b64 s[6:7], 0
.LBB143_1208:
	s_andn2_b64 vcc, exec, s[6:7]
	s_cbranch_vccnz .LBB143_1247
; %bb.1209:
	v_cmp_gt_i16_e32 vcc, 6, v13
	s_mov_b64 s[6:7], -1
	s_cbranch_vccnz .LBB143_1235
; %bb.1210:
	v_cmp_lt_i16_e32 vcc, 6, v13
	s_cbranch_vccz .LBB143_1222
; %bb.1211:
	v_mov_b32_e32 v0, 0x80
	v_cmp_lt_i16_sdwa s[6:7], s61, v0 src0_sel:BYTE_0 src1_sel:DWORD
	s_and_b64 vcc, exec, s[6:7]
	s_cbranch_vccnz .LBB143_1214
; %bb.1212:
	v_cmp_eq_u16_sdwa s[6:7], s61, v0 src0_sel:BYTE_0 src1_sel:DWORD
	s_and_b64 vcc, exec, s[6:7]
	s_cbranch_vccz .LBB143_1215
; %bb.1213:
	s_mov_b64 s[6:7], 0
	s_mov_b32 s9, 0x7ff80000
	s_brev_b32 s8, 4
	s_branch .LBB143_1216
.LBB143_1214:
	s_mov_b64 s[10:11], -1
	s_mov_b64 s[6:7], 0
                                        ; implicit-def: $sgpr8_sgpr9
	s_branch .LBB143_1217
.LBB143_1215:
	s_mov_b64 s[6:7], -1
                                        ; implicit-def: $sgpr8_sgpr9
.LBB143_1216:
	s_mov_b64 s[10:11], 0
.LBB143_1217:
	s_and_b64 vcc, exec, s[10:11]
	s_cbranch_vccz .LBB143_1219
; %bb.1218:
	v_mov_b32_e32 v0, 0
	v_cmp_ne_u16_sdwa s[6:7], s61, v0 src0_sel:BYTE_0 src1_sel:DWORD
	s_mov_b64 s[8:9], 0
.LBB143_1219:
	s_andn2_b64 vcc, exec, s[6:7]
	v_pk_mov_b32 v[0:1], s[8:9], s[8:9] op_sel:[0,1]
	s_cbranch_vccnz .LBB143_1221
; %bb.1220:
	v_pk_mov_b32 v[0:1], v[6:7], v[6:7] op_sel:[0,1]
.LBB143_1221:
	global_store_dwordx2 v[10:11], v[0:1], off
	s_mov_b64 s[6:7], 0
.LBB143_1222:
	s_and_b64 vcc, exec, s[6:7]
	s_cbranch_vccz .LBB143_1234
; %bb.1223:
	v_mov_b32_e32 v0, 0x80
	v_cmp_lt_i16_sdwa s[6:7], s61, v0 src0_sel:BYTE_0 src1_sel:DWORD
	s_and_b64 vcc, exec, s[6:7]
	s_cbranch_vccnz .LBB143_1226
; %bb.1224:
	v_cmp_eq_u16_sdwa s[6:7], s61, v0 src0_sel:BYTE_0 src1_sel:DWORD
	s_and_b64 vcc, exec, s[6:7]
	s_cbranch_vccz .LBB143_1227
; %bb.1225:
	s_mov_b64 s[6:7], 0
	s_mov_b32 s10, 0x7f800001
	s_branch .LBB143_1228
.LBB143_1226:
	s_mov_b64 s[8:9], -1
	s_mov_b64 s[6:7], 0
                                        ; implicit-def: $sgpr10
	s_branch .LBB143_1229
.LBB143_1227:
	s_mov_b64 s[6:7], -1
                                        ; implicit-def: $sgpr10
.LBB143_1228:
	s_mov_b64 s[8:9], 0
.LBB143_1229:
	s_and_b64 vcc, exec, s[8:9]
	s_cbranch_vccz .LBB143_1231
; %bb.1230:
	v_mov_b32_e32 v0, 0
	s_mov_b32 s10, 0
	v_cmp_ne_u16_sdwa s[6:7], s61, v0 src0_sel:BYTE_0 src1_sel:DWORD
.LBB143_1231:
	s_andn2_b64 vcc, exec, s[6:7]
	s_cbranch_vccnz .LBB143_1233
; %bb.1232:
	s_mov_b32 s10, s62
.LBB143_1233:
	v_mov_b32_e32 v0, s10
	global_store_dword v[10:11], v0, off
.LBB143_1234:
	s_mov_b64 s[6:7], 0
.LBB143_1235:
	s_andn2_b64 vcc, exec, s[6:7]
	s_cbranch_vccnz .LBB143_1247
; %bb.1236:
	v_mov_b32_e32 v0, 0xff
	v_and_b32_e32 v0, s61, v0
	s_movk_i32 s6, 0x80
	v_cmp_gt_i16_e32 vcc, s6, v0
	s_cbranch_vccnz .LBB143_1239
; %bb.1237:
	v_cmp_eq_u16_e32 vcc, s6, v0
	s_cbranch_vccz .LBB143_1240
; %bb.1238:
	s_mov_b64 s[6:7], 0
	s_movk_i32 s10, 0x7e00
	s_branch .LBB143_1241
.LBB143_1239:
	s_mov_b64 s[8:9], -1
	s_mov_b64 s[6:7], 0
                                        ; implicit-def: $sgpr10
	s_branch .LBB143_1242
.LBB143_1240:
	s_mov_b64 s[6:7], -1
                                        ; implicit-def: $sgpr10
.LBB143_1241:
	s_mov_b64 s[8:9], 0
.LBB143_1242:
	s_and_b64 vcc, exec, s[8:9]
	v_mov_b32_e32 v1, s10
	s_cbranch_vccz .LBB143_1244
; %bb.1243:
	v_cmp_ne_u16_e64 s[6:7], 0, v0
	v_mov_b32_e32 v1, v0
.LBB143_1244:
	s_andn2_b64 vcc, exec, s[6:7]
	s_cbranch_vccnz .LBB143_1246
; %bb.1245:
	v_mov_b32_e32 v1, v14
.LBB143_1246:
	global_store_short v[10:11], v1, off
.LBB143_1247:
	s_mov_b64 s[6:7], 0
.LBB143_1248:
	s_andn2_b64 vcc, exec, s[6:7]
	s_cbranch_vccnz .LBB143_1299
; %bb.1249:
	v_cmp_gt_i16_e32 vcc, 2, v13
	s_mov_b64 s[6:7], -1
	s_cbranch_vccnz .LBB143_1280
; %bb.1250:
	v_cmp_gt_i16_e32 vcc, 3, v13
	s_cbranch_vccnz .LBB143_1270
; %bb.1251:
	v_cmp_lt_i16_e32 vcc, 3, v13
	s_cbranch_vccz .LBB143_1260
; %bb.1252:
	v_mov_b32_e32 v0, 0x80
	v_cmp_lt_i16_sdwa s[6:7], s61, v0 src0_sel:BYTE_0 src1_sel:DWORD
	s_and_b64 vcc, exec, s[6:7]
	s_cbranch_vccnz .LBB143_1254
; %bb.1253:
	v_cmp_ne_u16_sdwa s[6:7], s61, v0 src0_sel:BYTE_0 src1_sel:DWORD
	s_mov_b64 s[10:11], 0
	s_mov_b64 s[8:9], 0
	s_branch .LBB143_1255
.LBB143_1254:
	s_mov_b64 s[10:11], -1
	s_mov_b64 s[6:7], 0
                                        ; implicit-def: $sgpr8_sgpr9
.LBB143_1255:
	s_andn2_b64 vcc, exec, s[10:11]
	s_cbranch_vccnz .LBB143_1257
; %bb.1256:
	v_mov_b32_e32 v0, 0
	v_cmp_ne_u16_sdwa s[6:7], s61, v0 src0_sel:BYTE_0 src1_sel:DWORD
	s_mov_b64 s[8:9], 0
.LBB143_1257:
	s_andn2_b64 vcc, exec, s[6:7]
	v_pk_mov_b32 v[0:1], s[8:9], s[8:9] op_sel:[0,1]
	s_cbranch_vccnz .LBB143_1259
; %bb.1258:
	v_pk_mov_b32 v[0:1], v[4:5], v[4:5] op_sel:[0,1]
.LBB143_1259:
	global_store_dwordx2 v[10:11], v[0:1], off
	s_mov_b64 s[6:7], 0
.LBB143_1260:
	s_and_b64 vcc, exec, s[6:7]
	s_cbranch_vccz .LBB143_1269
; %bb.1261:
	v_mov_b32_e32 v0, 0x80
	v_cmp_lt_i16_sdwa s[6:7], s61, v0 src0_sel:BYTE_0 src1_sel:DWORD
	s_and_b64 vcc, exec, s[6:7]
	s_cbranch_vccnz .LBB143_1263
; %bb.1262:
	v_cmp_ne_u16_sdwa s[6:7], s61, v0 src0_sel:BYTE_0 src1_sel:DWORD
	s_mov_b64 s[8:9], 0
	s_mov_b32 s10, 0
	s_branch .LBB143_1264
.LBB143_1263:
	s_mov_b64 s[8:9], -1
	s_mov_b64 s[6:7], 0
                                        ; implicit-def: $sgpr10
.LBB143_1264:
	s_andn2_b64 vcc, exec, s[8:9]
	s_cbranch_vccnz .LBB143_1266
; %bb.1265:
	v_mov_b32_e32 v0, 0
	s_mov_b32 s10, 0
	v_cmp_ne_u16_sdwa s[6:7], s61, v0 src0_sel:BYTE_0 src1_sel:DWORD
.LBB143_1266:
	s_andn2_b64 vcc, exec, s[6:7]
	v_mov_b32_e32 v0, s10
	s_cbranch_vccnz .LBB143_1268
; %bb.1267:
	v_mov_b32_e32 v0, v12
.LBB143_1268:
	global_store_dword v[10:11], v0, off
.LBB143_1269:
	s_mov_b64 s[6:7], 0
.LBB143_1270:
	s_andn2_b64 vcc, exec, s[6:7]
	s_cbranch_vccnz .LBB143_1279
; %bb.1271:
	v_mov_b32_e32 v0, 0x80
	v_cmp_lt_i16_sdwa s[6:7], s61, v0 src0_sel:BYTE_0 src1_sel:DWORD
	s_and_b64 vcc, exec, s[6:7]
	s_cbranch_vccnz .LBB143_1273
; %bb.1272:
	v_cmp_ne_u16_sdwa s[6:7], s61, v0 src0_sel:BYTE_0 src1_sel:DWORD
	s_mov_b64 s[8:9], 0
	s_mov_b32 s10, 0
	s_branch .LBB143_1274
.LBB143_1273:
	s_mov_b64 s[8:9], -1
	s_mov_b64 s[6:7], 0
                                        ; implicit-def: $sgpr10
.LBB143_1274:
	s_andn2_b64 vcc, exec, s[8:9]
	s_cbranch_vccnz .LBB143_1276
; %bb.1275:
	v_mov_b32_e32 v0, 0
	s_mov_b32 s10, 0
	v_cmp_ne_u16_sdwa s[6:7], s61, v0 src0_sel:BYTE_0 src1_sel:DWORD
.LBB143_1276:
	s_andn2_b64 vcc, exec, s[6:7]
	v_mov_b32_e32 v0, s10
	s_cbranch_vccnz .LBB143_1278
; %bb.1277:
	v_mov_b32_e32 v0, v12
.LBB143_1278:
	global_store_short v[10:11], v0, off
.LBB143_1279:
	s_mov_b64 s[6:7], 0
.LBB143_1280:
	s_andn2_b64 vcc, exec, s[6:7]
	s_cbranch_vccnz .LBB143_1299
; %bb.1281:
	v_cmp_lt_i16_e32 vcc, 0, v13
	s_mov_b64 s[6:7], -1
	s_cbranch_vccz .LBB143_1290
; %bb.1282:
	v_mov_b32_e32 v0, 0x80
	v_cmp_lt_i16_sdwa s[6:7], s61, v0 src0_sel:BYTE_0 src1_sel:DWORD
	s_and_b64 vcc, exec, s[6:7]
	s_cbranch_vccnz .LBB143_1284
; %bb.1283:
	v_cmp_ne_u16_sdwa s[6:7], s61, v0 src0_sel:BYTE_0 src1_sel:DWORD
	s_mov_b64 s[8:9], 0
	s_mov_b32 s10, 0
	s_branch .LBB143_1285
.LBB143_1284:
	s_mov_b64 s[8:9], -1
	s_mov_b64 s[6:7], 0
                                        ; implicit-def: $sgpr10
.LBB143_1285:
	s_andn2_b64 vcc, exec, s[8:9]
	s_cbranch_vccnz .LBB143_1287
; %bb.1286:
	v_mov_b32_e32 v0, 0
	s_mov_b32 s10, 0
	v_cmp_ne_u16_sdwa s[6:7], s61, v0 src0_sel:BYTE_0 src1_sel:DWORD
.LBB143_1287:
	s_andn2_b64 vcc, exec, s[6:7]
	v_mov_b32_e32 v0, s10
	s_cbranch_vccnz .LBB143_1289
; %bb.1288:
	v_mov_b32_e32 v0, v12
.LBB143_1289:
	global_store_byte v[10:11], v0, off
	s_mov_b64 s[6:7], 0
.LBB143_1290:
	s_and_b64 vcc, exec, s[6:7]
	s_cbranch_vccz .LBB143_1299
; %bb.1291:
	v_mov_b32_e32 v0, 0x80
	v_cmp_lt_i16_sdwa s[6:7], s61, v0 src0_sel:BYTE_0 src1_sel:DWORD
	s_and_b64 vcc, exec, s[6:7]
	s_cbranch_vccnz .LBB143_1293
; %bb.1292:
	v_cmp_ne_u16_sdwa s[6:7], s61, v0 src0_sel:BYTE_0 src1_sel:DWORD
	s_mov_b64 s[8:9], 0
	s_mov_b32 s10, 0
	s_branch .LBB143_1294
.LBB143_1293:
	s_mov_b64 s[8:9], -1
	s_mov_b64 s[6:7], 0
                                        ; implicit-def: $sgpr10
.LBB143_1294:
	s_andn2_b64 vcc, exec, s[8:9]
	s_cbranch_vccnz .LBB143_1296
; %bb.1295:
	v_mov_b32_e32 v0, 0
	s_mov_b32 s10, 0
	v_cmp_ne_u16_sdwa s[6:7], s61, v0 src0_sel:BYTE_0 src1_sel:DWORD
.LBB143_1296:
	s_andn2_b64 vcc, exec, s[6:7]
	v_mov_b32_e32 v0, s10
	s_cbranch_vccnz .LBB143_1298
; %bb.1297:
	v_mov_b32_e32 v0, v4
.LBB143_1298:
	global_store_byte v[10:11], v0, off
.LBB143_1299:
	s_or_b64 exec, exec, s[2:3]
	s_and_b64 s[6:7], s[0:1], exec
                                        ; implicit-def: $vgpr2
                                        ; implicit-def: $vgpr15
.LBB143_1300:
	s_or_saveexec_b64 s[26:27], s[26:27]
	s_mov_b64 s[2:3], 0
                                        ; implicit-def: $vgpr4_vgpr5
                                        ; implicit-def: $vgpr6
                                        ; implicit-def: $sgpr16
	s_xor_b64 exec, exec, s[26:27]
	s_cbranch_execz .LBB143_2288
; %bb.1301:
	v_cndmask_b32_e64 v0, 0, 1, s[30:31]
	v_cmp_ne_u32_e64 s[0:1], 1, v0
	s_andn2_b64 vcc, exec, s[30:31]
	s_cbranch_vccnz .LBB143_1307
; %bb.1302:
	s_mov_b32 s30, 0
	s_cmp_eq_u32 s33, 0
	v_mov_b32_e32 v0, 0
	s_cbranch_scc1 .LBB143_1311
; %bb.1303:
	s_min_u32 s31, s60, 15
	s_add_i32 s31, s31, 1
	s_cmp_eq_u32 s60, 2
	v_mov_b32_e32 v0, 0
	s_cbranch_scc1 .LBB143_1308
; %bb.1304:
	s_add_u32 s2, s24, 0xc4
	s_addc_u32 s3, s25, 0
	s_and_b32 s30, s31, 28
	s_mov_b32 s34, 0
	v_mov_b32_e32 v0, 0
	s_mov_b64 s[28:29], s[24:25]
	v_mov_b32_e32 v3, v15
.LBB143_1305:                           ; =>This Inner Loop Header: Depth=1
	s_load_dwordx8 s[8:15], s[28:29], 0x4
	s_load_dwordx4 s[16:19], s[28:29], 0x24
	s_load_dwordx4 s[20:23], s[2:3], 0x0
	s_add_u32 s28, s28, 48
	s_addc_u32 s29, s29, 0
	s_waitcnt lgkmcnt(0)
	v_mul_hi_u32 v1, s9, v3
	v_add_u32_e32 v1, v3, v1
	v_lshrrev_b32_e32 v1, s10, v1
	v_mul_lo_u32 v4, v1, s8
	v_mul_hi_u32 v5, s12, v1
	v_sub_u32_e32 v3, v3, v4
	v_add_u32_e32 v4, v1, v5
	v_lshrrev_b32_e32 v4, s13, v4
	v_mul_lo_u32 v5, v4, s11
	v_mul_hi_u32 v6, s15, v4
	v_sub_u32_e32 v1, v1, v5
	v_add_u32_e32 v5, v4, v6
	v_mul_lo_u32 v3, v3, s20
	v_mul_lo_u32 v1, v1, s21
	v_lshrrev_b32_e32 v5, s16, v5
	v_add3_u32 v0, v3, v0, v1
	v_mul_hi_u32 v3, s18, v5
	v_add_u32_e32 v3, v5, v3
	v_mul_lo_u32 v1, v5, s14
	v_lshrrev_b32_e32 v3, s19, v3
	s_add_i32 s34, s34, 4
	v_sub_u32_e32 v1, v4, v1
	v_mul_lo_u32 v4, v3, s17
	s_add_u32 s2, s2, 16
	v_sub_u32_e32 v4, v5, v4
	s_addc_u32 s3, s3, 0
	v_mul_lo_u32 v1, v1, s22
	v_mul_lo_u32 v4, v4, s23
	s_cmp_lg_u32 s30, s34
	v_add3_u32 v0, v1, v0, v4
	s_cbranch_scc1 .LBB143_1305
; %bb.1306:
	s_and_b32 s10, s31, 3
	s_cmp_eq_u32 s10, 0
	s_cbranch_scc0 .LBB143_1309
	s_branch .LBB143_1311
.LBB143_1307:
                                        ; implicit-def: $vgpr0
	s_branch .LBB143_1312
.LBB143_1308:
	v_mov_b32_e32 v3, v15
	s_and_b32 s10, s31, 3
	s_cmp_eq_u32 s10, 0
	s_cbranch_scc1 .LBB143_1311
.LBB143_1309:
	s_lshl_b32 s2, s30, 2
	s_add_u32 s2, s2, s24
	s_addc_u32 s3, 0, s25
	s_add_u32 s2, s2, 0xc4
	s_addc_u32 s3, s3, 0
	s_mul_i32 s8, s30, 12
	s_add_u32 s8, s24, s8
	s_addc_u32 s9, 0, s25
.LBB143_1310:                           ; =>This Inner Loop Header: Depth=1
	s_load_dwordx2 s[12:13], s[8:9], 0x4
	s_load_dword s11, s[8:9], 0xc
	s_load_dword s14, s[2:3], 0x0
	s_add_u32 s8, s8, 12
	s_addc_u32 s9, s9, 0
	s_waitcnt lgkmcnt(0)
	v_mul_hi_u32 v1, s13, v3
	v_add_u32_e32 v1, v3, v1
	v_lshrrev_b32_e32 v1, s11, v1
	s_add_u32 s2, s2, 4
	v_mul_lo_u32 v4, v1, s12
	s_addc_u32 s3, s3, 0
	s_add_i32 s10, s10, -1
	v_sub_u32_e32 v4, v3, v4
	s_cmp_lg_u32 s10, 0
	v_mov_b32_e32 v3, v1
	v_mad_u64_u32 v[0:1], s[12:13], v4, s14, v[0:1]
	s_cbranch_scc1 .LBB143_1310
.LBB143_1311:
	s_cbranch_execnz .LBB143_1314
.LBB143_1312:
	s_load_dwordx4 s[8:11], s[24:25], 0x4
	s_load_dword s2, s[24:25], 0xc4
	s_cmp_lt_u32 s33, 2
	s_waitcnt lgkmcnt(0)
	v_mul_hi_u32 v0, s9, v15
	v_add_u32_e32 v0, v15, v0
	v_lshrrev_b32_e32 v1, s10, v0
	v_mul_lo_u32 v0, v1, s8
	v_sub_u32_e32 v0, v15, v0
	v_mul_lo_u32 v0, v0, s2
	s_cbranch_scc1 .LBB143_1314
; %bb.1313:
	s_load_dwordx4 s[8:11], s[24:25], 0x10
	s_load_dword s2, s[24:25], 0xc8
	s_waitcnt lgkmcnt(0)
	v_mul_hi_u32 v3, s9, v1
	v_add_u32_e32 v3, v1, v3
	v_lshrrev_b32_e32 v3, s10, v3
	v_mul_lo_u32 v3, v3, s8
	v_sub_u32_e32 v1, v1, v3
	v_mad_u64_u32 v[0:1], s[2:3], v1, s2, v[0:1]
.LBB143_1314:
	s_and_b64 vcc, exec, s[0:1]
	v_add_u32_e32 v1, 0x80, v15
	s_cbranch_vccnz .LBB143_1320
; %bb.1315:
	s_mov_b32 s30, 0
	s_cmp_eq_u32 s33, 0
	v_mov_b32_e32 v8, 0
	s_cbranch_scc1 .LBB143_1324
; %bb.1316:
	s_min_u32 s31, s60, 15
	s_add_i32 s31, s31, 1
	s_cmp_eq_u32 s60, 2
	v_mov_b32_e32 v8, 0
	s_cbranch_scc1 .LBB143_1321
; %bb.1317:
	s_add_u32 s2, s24, 0xc4
	s_addc_u32 s3, s25, 0
	s_and_b32 s30, s31, 28
	s_mov_b32 s34, 0
	v_mov_b32_e32 v8, 0
	s_mov_b64 s[28:29], s[24:25]
	v_mov_b32_e32 v3, v1
.LBB143_1318:                           ; =>This Inner Loop Header: Depth=1
	s_load_dwordx8 s[8:15], s[28:29], 0x4
	s_load_dwordx4 s[16:19], s[28:29], 0x24
	s_load_dwordx4 s[20:23], s[2:3], 0x0
	s_add_u32 s28, s28, 48
	s_addc_u32 s29, s29, 0
	s_waitcnt lgkmcnt(0)
	v_mul_hi_u32 v4, s9, v3
	v_add_u32_e32 v4, v3, v4
	v_lshrrev_b32_e32 v4, s10, v4
	v_mul_lo_u32 v5, v4, s8
	v_mul_hi_u32 v6, s12, v4
	v_sub_u32_e32 v3, v3, v5
	v_add_u32_e32 v5, v4, v6
	v_lshrrev_b32_e32 v5, s13, v5
	v_mul_lo_u32 v6, v5, s11
	v_mul_hi_u32 v7, s15, v5
	v_sub_u32_e32 v4, v4, v6
	v_add_u32_e32 v6, v5, v7
	v_mul_lo_u32 v3, v3, s20
	v_mul_lo_u32 v4, v4, s21
	v_lshrrev_b32_e32 v6, s16, v6
	v_add3_u32 v4, v3, v8, v4
	v_mul_lo_u32 v3, v6, s14
	v_mul_hi_u32 v7, s18, v6
	v_sub_u32_e32 v3, v5, v3
	v_add_u32_e32 v5, v6, v7
	v_mul_lo_u32 v7, v3, s22
	v_lshrrev_b32_e32 v3, s19, v5
	s_add_i32 s34, s34, 4
	v_mul_lo_u32 v5, v3, s17
	s_add_u32 s2, s2, 16
	v_sub_u32_e32 v5, v6, v5
	s_addc_u32 s3, s3, 0
	v_mul_lo_u32 v5, v5, s23
	s_cmp_lg_u32 s30, s34
	v_add3_u32 v8, v7, v4, v5
	s_cbranch_scc1 .LBB143_1318
; %bb.1319:
	s_and_b32 s10, s31, 3
	s_cmp_eq_u32 s10, 0
	s_cbranch_scc0 .LBB143_1322
	s_branch .LBB143_1324
.LBB143_1320:
                                        ; implicit-def: $vgpr8
	s_branch .LBB143_1325
.LBB143_1321:
	v_mov_b32_e32 v3, v1
	s_and_b32 s10, s31, 3
	s_cmp_eq_u32 s10, 0
	s_cbranch_scc1 .LBB143_1324
.LBB143_1322:
	s_lshl_b32 s2, s30, 2
	s_add_u32 s2, s2, s24
	s_addc_u32 s3, 0, s25
	s_add_u32 s2, s2, 0xc4
	s_addc_u32 s3, s3, 0
	s_mul_i32 s8, s30, 12
	s_add_u32 s8, s24, s8
	s_addc_u32 s9, 0, s25
.LBB143_1323:                           ; =>This Inner Loop Header: Depth=1
	s_load_dwordx2 s[12:13], s[8:9], 0x4
	s_load_dword s11, s[8:9], 0xc
	s_load_dword s14, s[2:3], 0x0
	s_add_u32 s8, s8, 12
	s_addc_u32 s9, s9, 0
	s_waitcnt lgkmcnt(0)
	v_mul_hi_u32 v4, s13, v3
	v_add_u32_e32 v4, v3, v4
	v_lshrrev_b32_e32 v4, s11, v4
	s_add_u32 s2, s2, 4
	v_mul_lo_u32 v5, v4, s12
	s_addc_u32 s3, s3, 0
	s_add_i32 s10, s10, -1
	v_sub_u32_e32 v5, v3, v5
	s_cmp_lg_u32 s10, 0
	v_mov_b32_e32 v3, v4
	v_mad_u64_u32 v[8:9], s[12:13], v5, s14, v[8:9]
	s_cbranch_scc1 .LBB143_1323
.LBB143_1324:
	s_cbranch_execnz .LBB143_1327
.LBB143_1325:
	s_load_dwordx4 s[8:11], s[24:25], 0x4
	s_load_dword s2, s[24:25], 0xc4
	s_cmp_lt_u32 s33, 2
	s_waitcnt lgkmcnt(0)
	v_mul_hi_u32 v3, s9, v1
	v_add_u32_e32 v3, v1, v3
	v_lshrrev_b32_e32 v3, s10, v3
	v_mul_lo_u32 v4, v3, s8
	v_sub_u32_e32 v1, v1, v4
	v_mul_lo_u32 v8, v1, s2
	s_cbranch_scc1 .LBB143_1327
; %bb.1326:
	s_load_dwordx4 s[8:11], s[24:25], 0x10
	s_load_dword s2, s[24:25], 0xc8
	s_waitcnt lgkmcnt(0)
	v_mul_hi_u32 v1, s9, v3
	v_add_u32_e32 v1, v3, v1
	v_lshrrev_b32_e32 v1, s10, v1
	v_mul_lo_u32 v1, v1, s8
	v_sub_u32_e32 v1, v3, v1
	v_mad_u64_u32 v[8:9], s[2:3], v1, s2, v[8:9]
.LBB143_1327:
	s_and_b64 vcc, exec, s[0:1]
	v_add_u32_e32 v1, 0x100, v15
	s_cbranch_vccnz .LBB143_1333
; %bb.1328:
	s_mov_b32 s30, 0
	s_cmp_eq_u32 s33, 0
	v_mov_b32_e32 v6, 0
	s_cbranch_scc1 .LBB143_1337
; %bb.1329:
	s_min_u32 s31, s60, 15
	s_add_i32 s31, s31, 1
	s_cmp_eq_u32 s60, 2
	v_mov_b32_e32 v6, 0
	s_cbranch_scc1 .LBB143_1334
; %bb.1330:
	s_add_u32 s2, s24, 0xc4
	s_addc_u32 s3, s25, 0
	s_and_b32 s30, s31, 28
	s_mov_b32 s34, 0
	v_mov_b32_e32 v6, 0
	s_mov_b64 s[28:29], s[24:25]
	v_mov_b32_e32 v3, v1
.LBB143_1331:                           ; =>This Inner Loop Header: Depth=1
	s_load_dwordx8 s[8:15], s[28:29], 0x4
	s_load_dwordx4 s[16:19], s[28:29], 0x24
	s_load_dwordx4 s[20:23], s[2:3], 0x0
	s_add_u32 s28, s28, 48
	s_addc_u32 s29, s29, 0
	s_waitcnt lgkmcnt(0)
	v_mul_hi_u32 v4, s9, v3
	v_add_u32_e32 v4, v3, v4
	v_lshrrev_b32_e32 v4, s10, v4
	v_mul_lo_u32 v5, v4, s8
	v_mul_hi_u32 v7, s12, v4
	v_sub_u32_e32 v3, v3, v5
	v_add_u32_e32 v5, v4, v7
	v_lshrrev_b32_e32 v5, s13, v5
	v_mul_lo_u32 v7, v5, s11
	v_mul_hi_u32 v9, s15, v5
	v_sub_u32_e32 v4, v4, v7
	v_add_u32_e32 v7, v5, v9
	v_mul_lo_u32 v3, v3, s20
	v_mul_lo_u32 v4, v4, s21
	v_lshrrev_b32_e32 v7, s16, v7
	v_add3_u32 v4, v3, v6, v4
	v_mul_lo_u32 v3, v7, s14
	v_mul_hi_u32 v6, s18, v7
	v_sub_u32_e32 v3, v5, v3
	v_add_u32_e32 v5, v7, v6
	v_mul_lo_u32 v6, v3, s22
	v_lshrrev_b32_e32 v3, s19, v5
	s_add_i32 s34, s34, 4
	v_mul_lo_u32 v5, v3, s17
	s_add_u32 s2, s2, 16
	v_sub_u32_e32 v5, v7, v5
	s_addc_u32 s3, s3, 0
	v_mul_lo_u32 v5, v5, s23
	s_cmp_lg_u32 s30, s34
	v_add3_u32 v6, v6, v4, v5
	s_cbranch_scc1 .LBB143_1331
; %bb.1332:
	s_and_b32 s10, s31, 3
	s_cmp_eq_u32 s10, 0
	s_cbranch_scc0 .LBB143_1335
	s_branch .LBB143_1337
.LBB143_1333:
                                        ; implicit-def: $vgpr6
	s_branch .LBB143_1338
.LBB143_1334:
	v_mov_b32_e32 v3, v1
	s_and_b32 s10, s31, 3
	s_cmp_eq_u32 s10, 0
	s_cbranch_scc1 .LBB143_1337
.LBB143_1335:
	s_lshl_b32 s2, s30, 2
	s_add_u32 s2, s2, s24
	s_addc_u32 s3, 0, s25
	s_add_u32 s2, s2, 0xc4
	s_addc_u32 s3, s3, 0
	s_mul_i32 s8, s30, 12
	s_add_u32 s8, s24, s8
	s_addc_u32 s9, 0, s25
.LBB143_1336:                           ; =>This Inner Loop Header: Depth=1
	s_load_dwordx2 s[12:13], s[8:9], 0x4
	s_load_dword s11, s[8:9], 0xc
	s_load_dword s14, s[2:3], 0x0
	s_add_u32 s8, s8, 12
	s_addc_u32 s9, s9, 0
	s_waitcnt lgkmcnt(0)
	v_mul_hi_u32 v4, s13, v3
	v_add_u32_e32 v4, v3, v4
	v_lshrrev_b32_e32 v4, s11, v4
	s_add_u32 s2, s2, 4
	v_mul_lo_u32 v5, v4, s12
	s_addc_u32 s3, s3, 0
	s_add_i32 s10, s10, -1
	v_sub_u32_e32 v5, v3, v5
	s_cmp_lg_u32 s10, 0
	v_mov_b32_e32 v3, v4
	v_mad_u64_u32 v[6:7], s[12:13], v5, s14, v[6:7]
	s_cbranch_scc1 .LBB143_1336
.LBB143_1337:
	s_cbranch_execnz .LBB143_1340
.LBB143_1338:
	s_load_dwordx4 s[8:11], s[24:25], 0x4
	s_load_dword s2, s[24:25], 0xc4
	s_cmp_lt_u32 s33, 2
	s_waitcnt lgkmcnt(0)
	v_mul_hi_u32 v3, s9, v1
	v_add_u32_e32 v3, v1, v3
	v_lshrrev_b32_e32 v3, s10, v3
	v_mul_lo_u32 v4, v3, s8
	v_sub_u32_e32 v1, v1, v4
	v_mul_lo_u32 v6, v1, s2
	s_cbranch_scc1 .LBB143_1340
; %bb.1339:
	s_load_dwordx4 s[8:11], s[24:25], 0x10
	s_load_dword s2, s[24:25], 0xc8
	s_waitcnt lgkmcnt(0)
	v_mul_hi_u32 v1, s9, v3
	v_add_u32_e32 v1, v3, v1
	v_lshrrev_b32_e32 v1, s10, v1
	v_mul_lo_u32 v1, v1, s8
	v_sub_u32_e32 v1, v3, v1
	v_mad_u64_u32 v[6:7], s[2:3], v1, s2, v[6:7]
.LBB143_1340:
	s_and_b64 vcc, exec, s[0:1]
	s_cbranch_vccnz .LBB143_1346
; %bb.1341:
	s_mov_b32 s28, 0
	s_cmp_eq_u32 s33, 0
	v_mov_b32_e32 v4, 0
	s_cbranch_scc1 .LBB143_1350
; %bb.1342:
	s_min_u32 s29, s60, 15
	s_add_i32 s29, s29, 1
	s_cmp_eq_u32 s60, 2
	v_mov_b32_e32 v4, 0
	s_cbranch_scc1 .LBB143_1347
; %bb.1343:
	s_add_u32 s20, s24, 0xc4
	s_addc_u32 s21, s25, 0
	s_and_b32 s28, s29, 28
	s_mov_b32 s30, 0
	v_mov_b32_e32 v4, 0
	s_mov_b64 s[22:23], s[24:25]
	v_mov_b32_e32 v1, v2
.LBB143_1344:                           ; =>This Inner Loop Header: Depth=1
	s_load_dwordx8 s[8:15], s[22:23], 0x4
	s_load_dwordx4 s[0:3], s[22:23], 0x24
	s_load_dwordx4 s[16:19], s[20:21], 0x0
	s_add_u32 s22, s22, 48
	s_addc_u32 s23, s23, 0
	s_waitcnt lgkmcnt(0)
	v_mul_hi_u32 v3, s9, v1
	v_add_u32_e32 v3, v1, v3
	v_lshrrev_b32_e32 v3, s10, v3
	v_mul_lo_u32 v5, v3, s8
	v_mul_hi_u32 v7, s12, v3
	v_sub_u32_e32 v1, v1, v5
	v_add_u32_e32 v5, v3, v7
	v_lshrrev_b32_e32 v5, s13, v5
	v_mul_lo_u32 v7, v5, s11
	v_mul_hi_u32 v9, s15, v5
	v_sub_u32_e32 v3, v3, v7
	v_add_u32_e32 v7, v5, v9
	v_mul_lo_u32 v1, v1, s16
	v_mul_lo_u32 v3, v3, s17
	v_lshrrev_b32_e32 v7, s0, v7
	v_add3_u32 v3, v1, v4, v3
	v_mul_lo_u32 v1, v7, s14
	v_mul_hi_u32 v4, s2, v7
	v_sub_u32_e32 v1, v5, v1
	v_add_u32_e32 v4, v7, v4
	v_mul_lo_u32 v5, v1, s18
	v_lshrrev_b32_e32 v1, s3, v4
	s_add_i32 s30, s30, 4
	v_mul_lo_u32 v4, v1, s1
	s_add_u32 s20, s20, 16
	v_sub_u32_e32 v4, v7, v4
	s_addc_u32 s21, s21, 0
	v_mul_lo_u32 v4, v4, s19
	s_cmp_lg_u32 s28, s30
	v_add3_u32 v4, v5, v3, v4
	s_cbranch_scc1 .LBB143_1344
; %bb.1345:
	s_and_b32 s8, s29, 3
	s_cmp_eq_u32 s8, 0
	s_cbranch_scc0 .LBB143_1348
	s_branch .LBB143_1350
.LBB143_1346:
                                        ; implicit-def: $vgpr4
	s_branch .LBB143_1351
.LBB143_1347:
	v_mov_b32_e32 v1, v2
	s_and_b32 s8, s29, 3
	s_cmp_eq_u32 s8, 0
	s_cbranch_scc1 .LBB143_1350
.LBB143_1348:
	s_lshl_b32 s0, s28, 2
	s_add_u32 s0, s0, s24
	s_addc_u32 s1, 0, s25
	s_add_u32 s0, s0, 0xc4
	s_addc_u32 s1, s1, 0
	s_mul_i32 s2, s28, 12
	s_add_u32 s2, s24, s2
	s_addc_u32 s3, 0, s25
.LBB143_1349:                           ; =>This Inner Loop Header: Depth=1
	s_load_dwordx2 s[10:11], s[2:3], 0x4
	s_load_dword s9, s[2:3], 0xc
	s_load_dword s12, s[0:1], 0x0
	s_add_u32 s2, s2, 12
	s_addc_u32 s3, s3, 0
	s_waitcnt lgkmcnt(0)
	v_mul_hi_u32 v3, s11, v1
	v_add_u32_e32 v3, v1, v3
	v_lshrrev_b32_e32 v3, s9, v3
	s_add_u32 s0, s0, 4
	v_mul_lo_u32 v5, v3, s10
	s_addc_u32 s1, s1, 0
	s_add_i32 s8, s8, -1
	v_sub_u32_e32 v5, v1, v5
	s_cmp_lg_u32 s8, 0
	v_mov_b32_e32 v1, v3
	v_mad_u64_u32 v[4:5], s[10:11], v5, s12, v[4:5]
	s_cbranch_scc1 .LBB143_1349
.LBB143_1350:
	s_cbranch_execnz .LBB143_1353
.LBB143_1351:
	s_load_dwordx4 s[0:3], s[24:25], 0x4
	s_waitcnt lgkmcnt(0)
	s_load_dword s3, s[24:25], 0xc4
	s_cmp_lt_u32 s33, 2
	v_mul_hi_u32 v1, s1, v2
	v_add_u32_e32 v1, v2, v1
	v_lshrrev_b32_e32 v1, s2, v1
	v_mul_lo_u32 v3, v1, s0
	v_sub_u32_e32 v2, v2, v3
	s_waitcnt lgkmcnt(0)
	v_mul_lo_u32 v4, v2, s3
	s_cbranch_scc1 .LBB143_1353
; %bb.1352:
	s_load_dwordx4 s[0:3], s[24:25], 0x10
	s_waitcnt lgkmcnt(0)
	s_load_dword s3, s[24:25], 0xc8
	v_mul_hi_u32 v2, s1, v1
	v_add_u32_e32 v2, v1, v2
	v_lshrrev_b32_e32 v2, s2, v2
	v_mul_lo_u32 v2, v2, s0
	v_sub_u32_e32 v1, v1, v2
	s_waitcnt lgkmcnt(0)
	v_mad_u64_u32 v[4:5], s[0:1], v1, s3, v[4:5]
.LBB143_1353:
	s_load_dwordx2 s[2:3], s[24:25], 0x108
	s_load_dword s16, s[24:25], 0x110
	s_waitcnt lgkmcnt(0)
	v_mov_b32_e32 v1, s3
	v_add_co_u32_e32 v10, vcc, s2, v0
	v_mov_b32_e32 v0, 11
	v_addc_co_u32_e32 v11, vcc, 0, v1, vcc
	v_cmp_lt_i16_sdwa s[0:1], s16, v0 src0_sel:BYTE_1 src1_sel:DWORD
	s_and_b64 vcc, exec, s[0:1]
	s_cbranch_vccnz .LBB143_1362
; %bb.1354:
	v_mov_b32_e32 v0, 25
	v_cmp_gt_i16_sdwa s[0:1], s16, v0 src0_sel:BYTE_1 src1_sel:DWORD
	s_mov_b64 s[12:13], -1
	s_mov_b64 s[8:9], 0
	s_and_b64 vcc, exec, s[0:1]
	s_mov_b64 s[10:11], 0
	s_mov_b64 s[0:1], 0
	s_cbranch_vccz .LBB143_1426
; %bb.1355:
	v_mov_b32_e32 v0, 28
	v_cmp_gt_i16_sdwa s[0:1], s16, v0 src0_sel:BYTE_1 src1_sel:DWORD
	s_and_b64 vcc, exec, s[0:1]
	s_cbranch_vccz .LBB143_1364
; %bb.1356:
	v_mov_b32_e32 v0, 43
	v_cmp_gt_i16_sdwa s[0:1], s16, v0 src0_sel:BYTE_1 src1_sel:DWORD
	s_and_b64 vcc, exec, s[0:1]
	s_cbranch_vccz .LBB143_1365
; %bb.1357:
	v_mov_b32_e32 v0, 45
	v_cmp_gt_i16_sdwa s[0:1], s16, v0 src0_sel:BYTE_1 src1_sel:DWORD
	s_and_b64 vcc, exec, s[0:1]
	s_cbranch_vccz .LBB143_1366
; %bb.1358:
	v_mov_b32_e32 v0, 46
	v_cmp_eq_u16_sdwa s[10:11], s16, v0 src0_sel:BYTE_1 src1_sel:DWORD
	s_mov_b64 s[0:1], -1
	s_mov_b64 s[12:13], 0
	s_and_b64 vcc, exec, s[10:11]
	s_mov_b64 s[10:11], 0
	s_cbranch_vccz .LBB143_1375
; %bb.1359:
	v_mov_b32_e32 v0, 0x80
	v_cmp_lt_i16_sdwa s[0:1], s16, v0 src0_sel:BYTE_0 src1_sel:DWORD
	s_and_b64 vcc, exec, s[0:1]
	s_cbranch_vccnz .LBB143_1367
; %bb.1360:
	v_cmp_eq_u16_sdwa s[0:1], s16, v0 src0_sel:BYTE_0 src1_sel:DWORD
	s_and_b64 vcc, exec, s[0:1]
	s_cbranch_vccz .LBB143_1368
; %bb.1361:
	s_mov_b64 s[0:1], 0
	s_mov_b32 s14, 0x7f800001
	s_branch .LBB143_1370
.LBB143_1362:
	s_mov_b64 s[10:11], 0
	s_mov_b64 s[0:1], s[6:7]
	s_cbranch_execnz .LBB143_1525
.LBB143_1363:
	s_andn2_b64 vcc, exec, s[10:11]
	s_cbranch_vccz .LBB143_1659
	s_branch .LBB143_2286
.LBB143_1364:
	s_mov_b64 s[0:1], 0
	s_and_b64 vcc, exec, s[12:13]
	s_cbranch_vccnz .LBB143_1402
	s_branch .LBB143_1425
.LBB143_1365:
	s_mov_b64 s[0:1], 0
	s_branch .LBB143_1389
.LBB143_1366:
	s_mov_b64 s[0:1], 0
	s_branch .LBB143_1375
.LBB143_1367:
	s_mov_b64 s[10:11], -1
	s_mov_b64 s[0:1], 0
	s_branch .LBB143_1369
.LBB143_1368:
	s_mov_b64 s[0:1], -1
.LBB143_1369:
                                        ; implicit-def: $sgpr14
.LBB143_1370:
	s_and_b64 vcc, exec, s[10:11]
	s_cbranch_vccz .LBB143_1372
; %bb.1371:
	v_mov_b32_e32 v0, 0
	s_mov_b32 s14, 0
	v_cmp_ne_u16_sdwa s[0:1], s16, v0 src0_sel:BYTE_0 src1_sel:DWORD
.LBB143_1372:
	s_andn2_b64 vcc, exec, s[0:1]
	s_cbranch_vccnz .LBB143_1374
; %bb.1373:
	s_and_b32 s1, s16, 7
	s_flbit_i32_b32 s11, s1
	s_min_u32 s11, s11, 32
	v_lshrrev_b16_e64 v0, 3, s16
	s_sub_i32 s14, s11, 28
	v_readfirstlane_b32 s10, v0
	s_lshl_b32 s14, s16, s14
	s_lshl_b32 s0, s16, 24
	s_and_b32 s10, s10, 15
	s_sub_i32 s11, 29, s11
	s_and_b32 s14, s14, 7
	s_cmp_eq_u32 s10, 0
	s_cselect_b32 s10, s11, s10
	s_cselect_b32 s1, s14, s1
	s_lshl_b32 s10, s10, 23
	s_and_b32 s0, s0, 0x80000000
	s_add_i32 s10, s10, 0x3b800000
	s_lshl_b32 s1, s1, 20
	s_or_b32 s0, s0, s10
	s_or_b32 s14, s0, s1
.LBB143_1374:
	s_bfe_u32 s0, s14, 0x10010
	s_add_i32 s0, s14, s0
	s_addk_i32 s0, 0x7fff
	s_lshr_b32 s10, s0, 16
	v_cmp_o_f32_e64 s[0:1], s14, s14
	s_and_b64 s[0:1], s[0:1], exec
	s_cselect_b32 s0, s10, 0x7fc0
	v_mov_b32_e32 v0, s0
	global_store_dword v[10:11], v0, off
	s_mov_b64 s[0:1], 0
	s_mov_b64 s[10:11], -1
.LBB143_1375:
	s_and_b64 vcc, exec, s[12:13]
	s_cbranch_vccz .LBB143_1388
; %bb.1376:
	v_mov_b32_e32 v0, 44
	v_cmp_eq_u16_sdwa s[12:13], s16, v0 src0_sel:BYTE_1 src1_sel:DWORD
	s_mov_b64 s[0:1], -1
	s_and_b64 vcc, exec, s[12:13]
	s_cbranch_vccz .LBB143_1388
; %bb.1377:
	v_mov_b32_e32 v0, 0xff
	v_and_b32_e32 v0, s16, v0
	s_movk_i32 s0, 0x80
	v_cmp_gt_i16_e32 vcc, s0, v0
	v_readfirstlane_b32 s13, v0
	s_cbranch_vccnz .LBB143_1380
; %bb.1378:
	v_mov_b32_e32 v0, 0x80
	v_cmp_eq_u16_e32 vcc, s13, v0
	s_cbranch_vccz .LBB143_1381
; %bb.1379:
	s_mov_b64 s[0:1], 0
	s_mov_b32 s12, 0x7f800001
	s_branch .LBB143_1382
.LBB143_1380:
	s_mov_b64 s[10:11], -1
	s_mov_b64 s[0:1], 0
                                        ; implicit-def: $sgpr12
	s_branch .LBB143_1383
.LBB143_1381:
	s_mov_b64 s[0:1], -1
                                        ; implicit-def: $sgpr12
.LBB143_1382:
	s_mov_b64 s[10:11], 0
.LBB143_1383:
	s_and_b64 vcc, exec, s[10:11]
	s_cbranch_vccz .LBB143_1393
; %bb.1384:
	s_and_b32 s12, 0xffff, s13
	v_cmp_ne_u16_e64 s[0:1], s13, 0
	s_andn2_b64 vcc, exec, s[0:1]
	s_cbranch_vccz .LBB143_1394
.LBB143_1385:
	s_bfe_u32 s0, s12, 0x80017
	s_cmpk_eq_i32 s0, 0xff
	v_mov_b32_e32 v0, 0xff
	s_cbranch_scc1 .LBB143_1387
.LBB143_1386:
	s_lshr_b32 s13, s12, 23
	s_bitcmp1_b32 s12, 22
	s_cselect_b64 s[10:11], -1, 0
	s_and_b32 s1, s12, 0x3fffff
	s_or_b32 s0, s0, s1
	s_cmp_lg_u32 s0, 0
	s_cselect_b64 s[0:1], -1, 0
	s_and_b64 s[0:1], s[10:11], s[0:1]
	v_cndmask_b32_e64 v0, 0, 1, s[0:1]
	v_add_u32_e32 v0, s13, v0
.LBB143_1387:
	s_mov_b64 s[0:1], 0
	s_mov_b64 s[10:11], -1
	global_store_byte v[10:11], v0, off
.LBB143_1388:
	s_mov_b64 s[12:13], 0
.LBB143_1389:
	s_and_b64 vcc, exec, s[12:13]
	s_cbranch_vccz .LBB143_1401
; %bb.1390:
	v_mov_b32_e32 v0, 29
	v_cmp_eq_u16_sdwa s[12:13], s16, v0 src0_sel:BYTE_1 src1_sel:DWORD
	s_mov_b64 s[0:1], -1
	s_and_b64 vcc, exec, s[12:13]
	s_cbranch_vccz .LBB143_1401
; %bb.1391:
	v_mov_b32_e32 v0, 0x80
	v_cmp_lt_i16_sdwa s[0:1], s16, v0 src0_sel:BYTE_0 src1_sel:DWORD
	s_and_b64 vcc, exec, s[0:1]
	s_cbranch_vccnz .LBB143_1395
; %bb.1392:
	v_cmp_ne_u16_sdwa s[0:1], s16, v0 src0_sel:BYTE_0 src1_sel:DWORD
	s_mov_b64 s[12:13], 0
	s_mov_b64 s[10:11], 0
	s_branch .LBB143_1396
.LBB143_1393:
	s_andn2_b64 vcc, exec, s[0:1]
	s_cbranch_vccnz .LBB143_1385
.LBB143_1394:
	s_and_b32 s0, s16, 7
	s_flbit_i32_b32 s10, s0
	s_min_u32 s10, s10, 32
	v_lshrrev_b16_e64 v0, 3, s16
	s_sub_i32 s11, s10, 28
	v_readfirstlane_b32 s1, v0
	s_lshl_b32 s11, s16, s11
	s_and_b32 s1, s1, 15
	s_sub_i32 s10, 29, s10
	s_and_b32 s11, s11, 7
	s_cmp_eq_u32 s1, 0
	s_cselect_b32 s1, s10, s1
	s_cselect_b32 s0, s11, s0
	s_lshl_b32 s0, s0, 20
	s_lshl_b32 s1, s1, 23
	s_or_b32 s0, s1, s0
	s_add_i32 s12, s0, 0x3b800000
	s_bfe_u32 s0, s12, 0x80017
	s_cmpk_eq_i32 s0, 0xff
	v_mov_b32_e32 v0, 0xff
	s_cbranch_scc0 .LBB143_1386
	s_branch .LBB143_1387
.LBB143_1395:
	s_mov_b64 s[12:13], -1
	s_mov_b64 s[0:1], 0
                                        ; implicit-def: $sgpr10_sgpr11
.LBB143_1396:
	s_andn2_b64 vcc, exec, s[12:13]
	s_cbranch_vccnz .LBB143_1398
; %bb.1397:
	v_mov_b32_e32 v0, 0
	v_cmp_ne_u16_sdwa s[0:1], s16, v0 src0_sel:BYTE_0 src1_sel:DWORD
	s_mov_b64 s[10:11], 0
.LBB143_1398:
	s_andn2_b64 vcc, exec, s[0:1]
	v_pk_mov_b32 v[0:1], s[10:11], s[10:11] op_sel:[0,1]
	s_cbranch_vccnz .LBB143_1400
; %bb.1399:
	s_and_b32 s1, s16, 7
	s_flbit_i32_b32 s11, s1
	s_min_u32 s11, s11, 32
	v_lshrrev_b16_e64 v0, 3, s16
	s_sub_i32 s12, s11, 28
	v_readfirstlane_b32 s10, v0
	s_lshl_b32 s12, s16, s12
	s_lshl_b32 s0, s16, 24
	s_and_b32 s10, s10, 15
	s_sub_i32 s11, 29, s11
	s_and_b32 s12, s12, 7
	s_cmp_eq_u32 s10, 0
	s_cselect_b32 s10, s11, s10
	s_cselect_b32 s1, s12, s1
	s_lshl_b32 s10, s10, 23
	s_and_b32 s0, s0, 0x80000000
	s_add_i32 s10, s10, 0x3b800000
	s_lshl_b32 s1, s1, 20
	s_or_b32 s0, s0, s10
	s_or_b32 s0, s0, s1
	v_trunc_f32_e32 v0, s0
	v_mul_f32_e32 v1, 0x2f800000, v0
	v_floor_f32_e32 v1, v1
	v_fmac_f32_e32 v0, 0xcf800000, v1
	v_cvt_u32_f32_e32 v0, v0
	v_cvt_u32_f32_e32 v1, v1
.LBB143_1400:
	global_store_dwordx2 v[10:11], v[0:1], off
	s_mov_b64 s[0:1], 0
	s_mov_b64 s[10:11], -1
.LBB143_1401:
	s_branch .LBB143_1425
.LBB143_1402:
	v_mov_b32_e32 v0, 27
	v_cmp_lt_i16_sdwa s[12:13], s16, v0 src0_sel:BYTE_1 src1_sel:DWORD
	s_mov_b64 s[10:11], -1
	s_and_b64 vcc, exec, s[12:13]
	s_cbranch_vccnz .LBB143_1422
; %bb.1403:
	v_cmp_gt_i16_sdwa s[12:13], s16, v0 src0_sel:BYTE_1 src1_sel:DWORD
	s_and_b64 vcc, exec, s[12:13]
	s_cbranch_vccz .LBB143_1412
; %bb.1404:
	v_mov_b32_e32 v0, 0x80
	v_cmp_lt_i16_sdwa s[10:11], s16, v0 src0_sel:BYTE_0 src1_sel:DWORD
	s_and_b64 vcc, exec, s[10:11]
	s_cbranch_vccnz .LBB143_1406
; %bb.1405:
	v_cmp_ne_u16_sdwa s[10:11], s16, v0 src0_sel:BYTE_0 src1_sel:DWORD
	s_mov_b64 s[12:13], 0
	s_mov_b32 s14, 0
	s_branch .LBB143_1407
.LBB143_1406:
	s_mov_b64 s[12:13], -1
	s_mov_b64 s[10:11], 0
                                        ; implicit-def: $sgpr14
.LBB143_1407:
	s_andn2_b64 vcc, exec, s[12:13]
	s_cbranch_vccnz .LBB143_1409
; %bb.1408:
	v_mov_b32_e32 v0, 0
	s_mov_b32 s14, 0
	v_cmp_ne_u16_sdwa s[10:11], s16, v0 src0_sel:BYTE_0 src1_sel:DWORD
.LBB143_1409:
	s_andn2_b64 vcc, exec, s[10:11]
	v_mov_b32_e32 v0, s14
	s_cbranch_vccnz .LBB143_1411
; %bb.1410:
	s_and_b32 s11, s16, 7
	s_flbit_i32_b32 s13, s11
	s_min_u32 s13, s13, 32
	v_lshrrev_b16_e64 v0, 3, s16
	s_sub_i32 s14, s13, 28
	v_readfirstlane_b32 s12, v0
	s_lshl_b32 s14, s16, s14
	s_lshl_b32 s10, s16, 24
	s_and_b32 s12, s12, 15
	s_sub_i32 s13, 29, s13
	s_and_b32 s14, s14, 7
	s_cmp_eq_u32 s12, 0
	s_cselect_b32 s12, s13, s12
	s_cselect_b32 s11, s14, s11
	s_lshl_b32 s12, s12, 23
	s_and_b32 s10, s10, 0x80000000
	s_add_i32 s12, s12, 0x3b800000
	s_lshl_b32 s11, s11, 20
	s_or_b32 s10, s10, s12
	s_or_b32 s10, s10, s11
	v_cvt_u32_f32_e32 v0, s10
.LBB143_1411:
	global_store_dword v[10:11], v0, off
	s_mov_b64 s[10:11], 0
.LBB143_1412:
	s_and_b64 vcc, exec, s[10:11]
	s_cbranch_vccz .LBB143_1421
; %bb.1413:
	v_mov_b32_e32 v0, 0x80
	v_cmp_lt_i16_sdwa s[10:11], s16, v0 src0_sel:BYTE_0 src1_sel:DWORD
	s_and_b64 vcc, exec, s[10:11]
	s_cbranch_vccnz .LBB143_1415
; %bb.1414:
	v_cmp_ne_u16_sdwa s[10:11], s16, v0 src0_sel:BYTE_0 src1_sel:DWORD
	s_mov_b64 s[12:13], 0
	s_mov_b32 s14, 0
	s_branch .LBB143_1416
.LBB143_1415:
	s_mov_b64 s[12:13], -1
	s_mov_b64 s[10:11], 0
                                        ; implicit-def: $sgpr14
.LBB143_1416:
	s_andn2_b64 vcc, exec, s[12:13]
	s_cbranch_vccnz .LBB143_1418
; %bb.1417:
	v_mov_b32_e32 v0, 0
	s_mov_b32 s14, 0
	v_cmp_ne_u16_sdwa s[10:11], s16, v0 src0_sel:BYTE_0 src1_sel:DWORD
.LBB143_1418:
	s_andn2_b64 vcc, exec, s[10:11]
	v_mov_b32_e32 v0, s14
	s_cbranch_vccnz .LBB143_1420
; %bb.1419:
	s_and_b32 s11, s16, 7
	s_flbit_i32_b32 s13, s11
	s_min_u32 s13, s13, 32
	v_lshrrev_b16_e64 v0, 3, s16
	s_sub_i32 s14, s13, 28
	v_readfirstlane_b32 s12, v0
	s_lshl_b32 s14, s16, s14
	s_lshl_b32 s10, s16, 24
	s_and_b32 s12, s12, 15
	s_sub_i32 s13, 29, s13
	s_and_b32 s14, s14, 7
	s_cmp_eq_u32 s12, 0
	s_cselect_b32 s12, s13, s12
	s_cselect_b32 s11, s14, s11
	s_lshl_b32 s12, s12, 23
	s_and_b32 s10, s10, 0x80000000
	s_add_i32 s12, s12, 0x3b800000
	s_lshl_b32 s11, s11, 20
	s_or_b32 s10, s10, s12
	s_or_b32 s10, s10, s11
	v_cvt_u32_f32_e32 v0, s10
.LBB143_1420:
	global_store_short v[10:11], v0, off
.LBB143_1421:
	s_mov_b64 s[10:11], 0
.LBB143_1422:
	s_andn2_b64 vcc, exec, s[10:11]
	s_cbranch_vccnz .LBB143_1424
; %bb.1423:
	v_mov_b32_e32 v0, s16
	global_store_byte v[10:11], v0, off
.LBB143_1424:
	s_mov_b64 s[10:11], -1
.LBB143_1425:
	s_mov_b64 s[12:13], 0
.LBB143_1426:
	s_and_b64 vcc, exec, s[12:13]
	s_cbranch_vccz .LBB143_1512
; %bb.1427:
	v_mov_b32_e32 v0, 22
	v_cmp_gt_i16_sdwa s[12:13], s16, v0 src0_sel:BYTE_1 src1_sel:DWORD
	s_mov_b64 s[8:9], -1
	s_and_b64 vcc, exec, s[12:13]
	s_cbranch_vccz .LBB143_1495
; %bb.1428:
	v_mov_b32_e32 v0, 24
	v_cmp_lt_i16_sdwa s[10:11], s16, v0 src0_sel:BYTE_1 src1_sel:DWORD
	s_and_b64 vcc, exec, s[10:11]
	s_cbranch_vccnz .LBB143_1472
; %bb.1429:
	v_cmp_gt_i16_sdwa s[10:11], s16, v0 src0_sel:BYTE_1 src1_sel:DWORD
	s_and_b64 vcc, exec, s[10:11]
	s_cbranch_vccz .LBB143_1449
; %bb.1430:
	v_mov_b32_e32 v0, 0x80
	v_cmp_lt_i16_sdwa s[8:9], s16, v0 src0_sel:BYTE_0 src1_sel:DWORD
	s_and_b64 vcc, exec, s[8:9]
	s_cbranch_vccnz .LBB143_1433
; %bb.1431:
	v_cmp_eq_u16_sdwa s[8:9], s16, v0 src0_sel:BYTE_0 src1_sel:DWORD
	s_and_b64 vcc, exec, s[8:9]
	s_cbranch_vccz .LBB143_1434
; %bb.1432:
	s_mov_b64 s[8:9], 0
	s_mov_b32 s12, 0x7f800001
	s_branch .LBB143_1435
.LBB143_1433:
	s_mov_b64 s[10:11], -1
	s_mov_b64 s[8:9], 0
                                        ; implicit-def: $sgpr12
	s_branch .LBB143_1436
.LBB143_1434:
	s_mov_b64 s[8:9], -1
                                        ; implicit-def: $sgpr12
.LBB143_1435:
	s_mov_b64 s[10:11], 0
.LBB143_1436:
	s_and_b64 vcc, exec, s[10:11]
	s_cbranch_vccz .LBB143_1439
; %bb.1437:
	v_mov_b32_e32 v0, 0
	s_mov_b32 s12, 0
	v_cmp_ne_u16_sdwa s[8:9], s16, v0 src0_sel:BYTE_0 src1_sel:DWORD
	s_andn2_b64 vcc, exec, s[8:9]
	s_cbranch_vccz .LBB143_1440
.LBB143_1438:
	s_and_b32 s8, s12, 0x7fffffff
	s_cmp_gt_u32 s8, 0x477fffff
	v_mov_b32_e32 v1, 0x80
	s_cbranch_scc0 .LBB143_1441
	s_branch .LBB143_1448
.LBB143_1439:
	s_andn2_b64 vcc, exec, s[8:9]
	s_cbranch_vccnz .LBB143_1438
.LBB143_1440:
	s_and_b32 s9, s16, 7
	s_flbit_i32_b32 s11, s9
	s_min_u32 s11, s11, 32
	v_lshrrev_b16_e64 v0, 3, s16
	s_sub_i32 s12, s11, 28
	v_readfirstlane_b32 s10, v0
	s_lshl_b32 s12, s16, s12
	s_lshl_b32 s8, s16, 24
	s_and_b32 s10, s10, 15
	s_sub_i32 s11, 29, s11
	s_and_b32 s12, s12, 7
	s_cmp_eq_u32 s10, 0
	s_cselect_b32 s10, s11, s10
	s_cselect_b32 s9, s12, s9
	s_lshl_b32 s10, s10, 23
	s_and_b32 s8, s8, 0x80000000
	s_add_i32 s10, s10, 0x3b800000
	s_lshl_b32 s9, s9, 20
	s_or_b32 s8, s8, s10
	s_or_b32 s12, s8, s9
	s_and_b32 s8, s12, 0x7fffffff
	s_cmp_gt_u32 s8, 0x477fffff
	v_mov_b32_e32 v1, 0x80
	s_cbranch_scc1 .LBB143_1448
.LBB143_1441:
	s_cmp_gt_u32 s8, 0x37ffffff
	s_cbranch_scc0 .LBB143_1443
; %bb.1442:
	s_bfe_u32 s8, s12, 0x10015
	s_add_i32 s8, s12, s8
	s_add_i32 s8, s8, 0x88fffff
	s_lshr_b32 s13, s8, 21
	s_mov_b64 s[10:11], 0
	s_mov_b64 s[8:9], -1
	s_branch .LBB143_1444
.LBB143_1443:
	s_mov_b64 s[10:11], -1
	s_mov_b64 s[8:9], 0
                                        ; implicit-def: $sgpr13
.LBB143_1444:
	s_andn2_b64 vcc, exec, s[10:11]
	v_mov_b32_e32 v0, s13
                                        ; implicit-def: $sgpr10
	s_cbranch_vccnz .LBB143_1446
; %bb.1445:
	v_mov_b32_e32 v0, 0x42800000
	v_add_f32_e64 v0, |s12|, v0
	v_and_b32_e32 v0, 0xff, v0
	s_mov_b32 s10, 0
	v_cmp_ne_u32_e64 s[8:9], 0, v0
.LBB143_1446:
	s_andn2_b64 vcc, exec, s[8:9]
	v_mov_b32_e32 v1, s10
	s_cbranch_vccnz .LBB143_1448
; %bb.1447:
	s_lshr_b32 s8, s12, 24
	s_and_b32 s8, s8, 0x80
	v_or_b32_e32 v1, s8, v0
.LBB143_1448:
	global_store_byte v[10:11], v1, off
	s_mov_b64 s[8:9], 0
.LBB143_1449:
	s_and_b64 vcc, exec, s[8:9]
	s_cbranch_vccz .LBB143_1471
; %bb.1450:
	v_mov_b32_e32 v0, 0x80
	v_cmp_lt_i16_sdwa s[8:9], s16, v0 src0_sel:BYTE_0 src1_sel:DWORD
	s_and_b64 vcc, exec, s[8:9]
	s_cbranch_vccnz .LBB143_1453
; %bb.1451:
	v_cmp_eq_u16_sdwa s[8:9], s16, v0 src0_sel:BYTE_0 src1_sel:DWORD
	s_and_b64 vcc, exec, s[8:9]
	s_cbranch_vccz .LBB143_1454
; %bb.1452:
	s_mov_b64 s[8:9], 0
	s_mov_b32 s12, 0x7f800001
	s_branch .LBB143_1455
.LBB143_1453:
	s_mov_b64 s[10:11], -1
	s_mov_b64 s[8:9], 0
                                        ; implicit-def: $sgpr12
	s_branch .LBB143_1456
.LBB143_1454:
	s_mov_b64 s[8:9], -1
                                        ; implicit-def: $sgpr12
.LBB143_1455:
	s_mov_b64 s[10:11], 0
.LBB143_1456:
	s_and_b64 vcc, exec, s[10:11]
	s_cbranch_vccz .LBB143_1461
; %bb.1457:
	v_mov_b32_e32 v0, 0
	s_mov_b32 s12, 0
	v_cmp_ne_u16_sdwa s[8:9], s16, v0 src0_sel:BYTE_0 src1_sel:DWORD
	s_andn2_b64 vcc, exec, s[8:9]
	s_cbranch_vccz .LBB143_1462
.LBB143_1458:
	s_and_b32 s10, s12, 0x7fffffff
	s_cmp_lt_u32 s10, 0x43f00000
	s_cbranch_scc0 .LBB143_1463
.LBB143_1459:
	s_cmp_gt_u32 s10, 0x3c7fffff
	s_cbranch_scc0 .LBB143_1464
; %bb.1460:
	s_bfe_u32 s8, s12, 0x10014
	s_add_i32 s8, s12, s8
	s_add_i32 s8, s8, 0x407ffff
	s_lshr_b32 s9, s8, 20
	s_and_b32 s8, s8, 0xff00000
	s_cmp_lg_u32 s8, 0x7f00000
	s_cselect_b32 s11, s9, 0x7e
	s_mov_b64 s[8:9], 0
	s_branch .LBB143_1465
.LBB143_1461:
	s_andn2_b64 vcc, exec, s[8:9]
	s_cbranch_vccnz .LBB143_1458
.LBB143_1462:
	s_and_b32 s9, s16, 7
	s_flbit_i32_b32 s11, s9
	s_min_u32 s11, s11, 32
	v_lshrrev_b16_e64 v0, 3, s16
	s_sub_i32 s12, s11, 28
	v_readfirstlane_b32 s10, v0
	s_lshl_b32 s12, s16, s12
	s_lshl_b32 s8, s16, 24
	s_and_b32 s10, s10, 15
	s_sub_i32 s11, 29, s11
	s_and_b32 s12, s12, 7
	s_cmp_eq_u32 s10, 0
	s_cselect_b32 s10, s11, s10
	s_cselect_b32 s9, s12, s9
	s_lshl_b32 s10, s10, 23
	s_and_b32 s8, s8, 0x80000000
	s_add_i32 s10, s10, 0x3b800000
	s_lshl_b32 s9, s9, 20
	s_or_b32 s8, s8, s10
	s_or_b32 s12, s8, s9
	s_and_b32 s10, s12, 0x7fffffff
	s_cmp_lt_u32 s10, 0x43f00000
	s_cbranch_scc1 .LBB143_1459
.LBB143_1463:
	s_mov_b64 s[8:9], -1
                                        ; implicit-def: $vgpr0
	s_branch .LBB143_1468
.LBB143_1464:
	s_mov_b64 s[8:9], -1
                                        ; implicit-def: $sgpr11
.LBB143_1465:
	s_andn2_b64 vcc, exec, s[8:9]
	v_mov_b32_e32 v0, s11
	s_cbranch_vccnz .LBB143_1467
; %bb.1466:
	v_mov_b32_e32 v0, 0x46800000
	v_add_f32_e64 v0, |s12|, v0
.LBB143_1467:
	s_mov_b64 s[8:9], 0
.LBB143_1468:
	s_andn2_b64 vcc, exec, s[8:9]
	s_cbranch_vccnz .LBB143_1470
; %bb.1469:
	s_cmp_gt_u32 s10, 0x7f800000
	s_movk_i32 s8, 0x7f
	s_cselect_b32 s8, s8, 0x7e
	v_mov_b32_e32 v0, s8
.LBB143_1470:
	s_lshr_b32 s8, s12, 24
	s_and_b32 s8, s8, 0x80
	v_or_b32_e32 v0, s8, v0
	global_store_byte v[10:11], v0, off
.LBB143_1471:
	s_mov_b64 s[8:9], 0
.LBB143_1472:
	s_andn2_b64 vcc, exec, s[8:9]
	s_cbranch_vccnz .LBB143_1494
; %bb.1473:
	v_mov_b32_e32 v0, 0x80
	v_cmp_lt_i16_sdwa s[8:9], s16, v0 src0_sel:BYTE_0 src1_sel:DWORD
	s_and_b64 vcc, exec, s[8:9]
	s_cbranch_vccnz .LBB143_1476
; %bb.1474:
	v_cmp_eq_u16_sdwa s[8:9], s16, v0 src0_sel:BYTE_0 src1_sel:DWORD
	s_and_b64 vcc, exec, s[8:9]
	s_cbranch_vccz .LBB143_1477
; %bb.1475:
	s_mov_b64 s[8:9], 0
	s_mov_b32 s12, 0x7f800001
	s_branch .LBB143_1478
.LBB143_1476:
	s_mov_b64 s[10:11], -1
	s_mov_b64 s[8:9], 0
                                        ; implicit-def: $sgpr12
	s_branch .LBB143_1479
.LBB143_1477:
	s_mov_b64 s[8:9], -1
                                        ; implicit-def: $sgpr12
.LBB143_1478:
	s_mov_b64 s[10:11], 0
.LBB143_1479:
	s_and_b64 vcc, exec, s[10:11]
	s_cbranch_vccz .LBB143_1484
; %bb.1480:
	v_mov_b32_e32 v0, 0
	s_mov_b32 s12, 0
	v_cmp_ne_u16_sdwa s[8:9], s16, v0 src0_sel:BYTE_0 src1_sel:DWORD
	s_andn2_b64 vcc, exec, s[8:9]
	s_cbranch_vccz .LBB143_1485
.LBB143_1481:
	s_and_b32 s10, s12, 0x7fffffff
	s_cmp_lt_u32 s10, 0x47800000
	s_cbranch_scc0 .LBB143_1486
.LBB143_1482:
	s_cmp_gt_u32 s10, 0x387fffff
	s_cbranch_scc0 .LBB143_1487
; %bb.1483:
	s_bfe_u32 s8, s12, 0x10015
	s_add_i32 s8, s12, s8
	s_add_i32 s8, s8, 0x80fffff
	s_lshr_b32 s11, s8, 21
	s_mov_b64 s[8:9], 0
	s_branch .LBB143_1488
.LBB143_1484:
	s_andn2_b64 vcc, exec, s[8:9]
	s_cbranch_vccnz .LBB143_1481
.LBB143_1485:
	s_and_b32 s9, s16, 7
	s_flbit_i32_b32 s11, s9
	s_min_u32 s11, s11, 32
	v_lshrrev_b16_e64 v0, 3, s16
	s_sub_i32 s12, s11, 28
	v_readfirstlane_b32 s10, v0
	s_lshl_b32 s12, s16, s12
	s_lshl_b32 s8, s16, 24
	s_and_b32 s10, s10, 15
	s_sub_i32 s11, 29, s11
	s_and_b32 s12, s12, 7
	s_cmp_eq_u32 s10, 0
	s_cselect_b32 s10, s11, s10
	s_cselect_b32 s9, s12, s9
	s_lshl_b32 s10, s10, 23
	s_and_b32 s8, s8, 0x80000000
	s_add_i32 s10, s10, 0x3b800000
	s_lshl_b32 s9, s9, 20
	s_or_b32 s8, s8, s10
	s_or_b32 s12, s8, s9
	s_and_b32 s10, s12, 0x7fffffff
	s_cmp_lt_u32 s10, 0x47800000
	s_cbranch_scc1 .LBB143_1482
.LBB143_1486:
	s_mov_b64 s[8:9], -1
                                        ; implicit-def: $vgpr0
	s_branch .LBB143_1491
.LBB143_1487:
	s_mov_b64 s[8:9], -1
                                        ; implicit-def: $sgpr11
.LBB143_1488:
	s_andn2_b64 vcc, exec, s[8:9]
	v_mov_b32_e32 v0, s11
	s_cbranch_vccnz .LBB143_1490
; %bb.1489:
	v_mov_b32_e32 v0, 0x43000000
	v_add_f32_e64 v0, |s12|, v0
.LBB143_1490:
	s_mov_b64 s[8:9], 0
.LBB143_1491:
	s_andn2_b64 vcc, exec, s[8:9]
	s_cbranch_vccnz .LBB143_1493
; %bb.1492:
	s_cmp_gt_u32 s10, 0x7f800000
	s_movk_i32 s8, 0x7f
	s_cselect_b32 s8, s8, 0x7c
	v_mov_b32_e32 v0, s8
.LBB143_1493:
	s_lshr_b32 s8, s12, 24
	s_and_b32 s8, s8, 0x80
	v_or_b32_e32 v0, s8, v0
	global_store_byte v[10:11], v0, off
.LBB143_1494:
	s_mov_b64 s[8:9], 0
	s_mov_b64 s[10:11], -1
.LBB143_1495:
	s_andn2_b64 vcc, exec, s[8:9]
	s_mov_b64 s[8:9], 0
	s_cbranch_vccnz .LBB143_1512
; %bb.1496:
	v_mov_b32_e32 v0, 14
	v_cmp_gt_i16_sdwa s[8:9], s16, v0 src0_sel:BYTE_1 src1_sel:DWORD
	s_mov_b64 s[12:13], -1
	s_and_b64 vcc, exec, s[8:9]
	s_cbranch_vccz .LBB143_1510
; %bb.1497:
	v_mov_b32_e32 v0, 15
	v_cmp_eq_u16_sdwa s[8:9], s16, v0 src0_sel:BYTE_1 src1_sel:DWORD
	s_mov_b64 s[0:1], -1
	s_and_b64 vcc, exec, s[8:9]
	s_cbranch_vccz .LBB143_1509
; %bb.1498:
	v_mov_b32_e32 v0, 0x80
	v_cmp_lt_i16_sdwa s[0:1], s16, v0 src0_sel:BYTE_0 src1_sel:DWORD
	s_and_b64 vcc, exec, s[0:1]
	s_cbranch_vccnz .LBB143_1501
; %bb.1499:
	v_cmp_eq_u16_sdwa s[0:1], s16, v0 src0_sel:BYTE_0 src1_sel:DWORD
	s_and_b64 vcc, exec, s[0:1]
	s_cbranch_vccz .LBB143_1502
; %bb.1500:
	s_mov_b64 s[0:1], 0
	s_mov_b32 s10, 0x7f800001
	s_branch .LBB143_1503
.LBB143_1501:
	s_mov_b64 s[8:9], -1
	s_mov_b64 s[0:1], 0
                                        ; implicit-def: $sgpr10
	s_branch .LBB143_1504
.LBB143_1502:
	s_mov_b64 s[0:1], -1
                                        ; implicit-def: $sgpr10
.LBB143_1503:
	s_mov_b64 s[8:9], 0
.LBB143_1504:
	s_and_b64 vcc, exec, s[8:9]
	s_cbranch_vccz .LBB143_1506
; %bb.1505:
	v_mov_b32_e32 v0, 0
	s_mov_b32 s10, 0
	v_cmp_ne_u16_sdwa s[0:1], s16, v0 src0_sel:BYTE_0 src1_sel:DWORD
.LBB143_1506:
	s_andn2_b64 vcc, exec, s[0:1]
	s_cbranch_vccnz .LBB143_1508
; %bb.1507:
	s_and_b32 s1, s16, 7
	s_flbit_i32_b32 s9, s1
	s_min_u32 s9, s9, 32
	v_lshrrev_b16_e64 v0, 3, s16
	s_sub_i32 s10, s9, 28
	v_readfirstlane_b32 s8, v0
	s_lshl_b32 s10, s16, s10
	s_lshl_b32 s0, s16, 24
	s_and_b32 s8, s8, 15
	s_sub_i32 s9, 29, s9
	s_and_b32 s10, s10, 7
	s_cmp_eq_u32 s8, 0
	s_cselect_b32 s8, s9, s8
	s_cselect_b32 s1, s10, s1
	s_lshl_b32 s8, s8, 23
	s_and_b32 s0, s0, 0x80000000
	s_add_i32 s8, s8, 0x3b800000
	s_lshl_b32 s1, s1, 20
	s_or_b32 s0, s0, s8
	s_or_b32 s10, s0, s1
.LBB143_1508:
	s_bfe_u32 s0, s10, 0x10010
	s_add_i32 s0, s10, s0
	s_addk_i32 s0, 0x7fff
	s_lshr_b32 s8, s0, 16
	v_cmp_o_f32_e64 s[0:1], s10, s10
	s_and_b64 s[0:1], s[0:1], exec
	s_cselect_b32 s0, s8, 0x7fc0
	v_mov_b32_e32 v0, s0
	global_store_short v[10:11], v0, off
	s_mov_b64 s[0:1], 0
	s_mov_b64 s[10:11], -1
.LBB143_1509:
	s_mov_b64 s[12:13], 0
.LBB143_1510:
	s_mov_b64 s[8:9], 0
	s_and_b64 vcc, exec, s[12:13]
	s_cbranch_vccz .LBB143_1512
; %bb.1511:
	v_mov_b32_e32 v0, 11
	v_cmp_ne_u16_sdwa s[0:1], s16, v0 src0_sel:BYTE_1 src1_sel:DWORD
	s_mov_b64 s[8:9], -1
.LBB143_1512:
	s_and_b64 vcc, exec, s[0:1]
	s_mov_b64 s[0:1], s[6:7]
	s_cbranch_vccnz .LBB143_1532
; %bb.1513:
	s_andn2_b64 vcc, exec, s[8:9]
	s_cbranch_vccnz .LBB143_1524
.LBB143_1514:
	v_mov_b32_e32 v0, 0x80
	v_cmp_lt_i16_sdwa s[8:9], s16, v0 src0_sel:BYTE_0 src1_sel:DWORD
	s_and_b64 vcc, exec, s[8:9]
	s_cbranch_vccnz .LBB143_1517
; %bb.1515:
	v_cmp_eq_u16_sdwa s[8:9], s16, v0 src0_sel:BYTE_0 src1_sel:DWORD
	s_and_b64 vcc, exec, s[8:9]
	s_cbranch_vccz .LBB143_1518
; %bb.1516:
	s_mov_b64 s[10:11], 0
	s_mov_b64 s[8:9], -1
	s_branch .LBB143_1519
.LBB143_1517:
	s_mov_b64 s[10:11], 0
                                        ; implicit-def: $sgpr8_sgpr9
	s_cbranch_execnz .LBB143_1520
	s_branch .LBB143_1521
.LBB143_1518:
	s_mov_b64 s[10:11], -1
                                        ; implicit-def: $sgpr8_sgpr9
.LBB143_1519:
	s_branch .LBB143_1521
.LBB143_1520:
	v_mov_b32_e32 v0, 0
	v_cmp_ne_u16_sdwa s[10:11], s16, v0 src0_sel:BYTE_0 src1_sel:DWORD
	s_mov_b64 s[8:9], 0
.LBB143_1521:
	s_andn2_b64 vcc, exec, s[10:11]
	s_cbranch_vccnz .LBB143_1523
; %bb.1522:
	s_and_b32 s8, s16, 7
	s_flbit_i32_b32 s10, s8
	s_min_u32 s10, s10, 32
	v_lshrrev_b16_e64 v0, 3, s16
	s_sub_i32 s11, s10, 28
	v_readfirstlane_b32 s9, v0
	s_lshl_b32 s11, s16, s11
	s_and_b32 s9, s9, 15
	s_sub_i32 s10, 29, s10
	s_and_b32 s11, s11, 7
	s_cmp_eq_u32 s9, 0
	s_cselect_b32 s9, s10, s9
	s_cselect_b32 s8, s11, s8
	s_lshl_b32 s9, s9, 23
	s_add_i32 s9, s9, 0x3b800000
	s_lshl_b32 s8, s8, 20
	s_and_b32 s9, s9, 0x7f800000
	s_or_b32 s8, s9, s8
	s_cmp_lg_u32 s8, 0
	s_cselect_b64 s[8:9], -1, 0
.LBB143_1523:
	v_cndmask_b32_e64 v0, 0, 1, s[8:9]
	global_store_byte v[10:11], v0, off
	s_mov_b64 s[10:11], -1
.LBB143_1524:
	s_branch .LBB143_1363
.LBB143_1525:
	v_mov_b32_e32 v0, 5
	v_cmp_lt_i16_sdwa s[10:11], s16, v0 src0_sel:BYTE_1 src1_sel:DWORD
	s_mov_b64 s[8:9], -1
	s_and_b64 vcc, exec, s[10:11]
	s_cbranch_vccnz .LBB143_1607
; %bb.1526:
	v_mov_b32_e32 v0, 8
	v_cmp_lt_i16_sdwa s[10:11], s16, v0 src0_sel:BYTE_1 src1_sel:DWORD
	s_and_b64 vcc, exec, s[10:11]
	s_cbranch_vccnz .LBB143_1567
; %bb.1527:
	v_mov_b32_e32 v0, 9
	v_cmp_lt_i16_sdwa s[10:11], s16, v0 src0_sel:BYTE_1 src1_sel:DWORD
	s_and_b64 vcc, exec, s[10:11]
	s_cbranch_vccnz .LBB143_1554
; %bb.1528:
	v_cmp_gt_i16_sdwa s[10:11], s16, v0 src0_sel:BYTE_1 src1_sel:DWORD
	s_and_b64 vcc, exec, s[10:11]
	s_cbranch_vccz .LBB143_1541
; %bb.1529:
	v_mov_b32_e32 v0, 0x80
	v_cmp_lt_i16_sdwa s[8:9], s16, v0 src0_sel:BYTE_0 src1_sel:DWORD
	s_and_b64 vcc, exec, s[8:9]
	s_cbranch_vccnz .LBB143_1533
; %bb.1530:
	v_cmp_eq_u16_sdwa s[8:9], s16, v0 src0_sel:BYTE_0 src1_sel:DWORD
	s_and_b64 vcc, exec, s[8:9]
	s_cbranch_vccz .LBB143_1534
; %bb.1531:
	s_mov_b64 s[8:9], 0
	s_mov_b32 s11, 0x7ff80000
	s_brev_b32 s10, 4
	s_branch .LBB143_1535
.LBB143_1532:
	s_or_b64 s[0:1], s[6:7], exec
	s_trap 2
	s_cbranch_execz .LBB143_1514
	s_branch .LBB143_1524
.LBB143_1533:
	s_mov_b64 s[12:13], -1
	s_mov_b64 s[8:9], 0
                                        ; implicit-def: $sgpr10_sgpr11
	s_branch .LBB143_1536
.LBB143_1534:
	s_mov_b64 s[8:9], -1
                                        ; implicit-def: $sgpr10_sgpr11
.LBB143_1535:
	s_mov_b64 s[12:13], 0
.LBB143_1536:
	s_and_b64 vcc, exec, s[12:13]
	s_cbranch_vccz .LBB143_1538
; %bb.1537:
	v_mov_b32_e32 v0, 0
	v_cmp_ne_u16_sdwa s[8:9], s16, v0 src0_sel:BYTE_0 src1_sel:DWORD
	s_mov_b64 s[10:11], 0
.LBB143_1538:
	s_andn2_b64 vcc, exec, s[8:9]
	v_pk_mov_b32 v[0:1], s[10:11], s[10:11] op_sel:[0,1]
	s_cbranch_vccnz .LBB143_1540
; %bb.1539:
	s_and_b32 s9, s16, 7
	s_flbit_i32_b32 s11, s9
	s_min_u32 s11, s11, 32
	v_lshrrev_b16_e64 v0, 3, s16
	s_sub_i32 s12, s11, 28
	v_readfirstlane_b32 s10, v0
	s_lshl_b32 s12, s16, s12
	s_lshl_b32 s8, s16, 24
	s_and_b32 s10, s10, 15
	s_sub_i32 s11, 29, s11
	s_and_b32 s12, s12, 7
	s_cmp_eq_u32 s10, 0
	s_cselect_b32 s10, s11, s10
	s_cselect_b32 s9, s12, s9
	s_lshl_b32 s10, s10, 23
	s_and_b32 s8, s8, 0x80000000
	s_add_i32 s10, s10, 0x3b800000
	s_lshl_b32 s9, s9, 20
	s_or_b32 s8, s8, s10
	s_or_b32 s8, s8, s9
	v_cvt_f64_f32_e32 v[0:1], s8
.LBB143_1540:
	v_mov_b32_e32 v2, 0
	v_mov_b32_e32 v3, v2
	s_mov_b64 s[8:9], 0
	global_store_dwordx4 v[10:11], v[0:3], off
.LBB143_1541:
	s_and_b64 vcc, exec, s[8:9]
	s_cbranch_vccz .LBB143_1553
; %bb.1542:
	v_mov_b32_e32 v0, 0x80
	v_cmp_lt_i16_sdwa s[8:9], s16, v0 src0_sel:BYTE_0 src1_sel:DWORD
	s_and_b64 vcc, exec, s[8:9]
	s_cbranch_vccnz .LBB143_1545
; %bb.1543:
	v_cmp_eq_u16_sdwa s[8:9], s16, v0 src0_sel:BYTE_0 src1_sel:DWORD
	s_and_b64 vcc, exec, s[8:9]
	s_cbranch_vccz .LBB143_1546
; %bb.1544:
	s_mov_b64 s[8:9], 0
	s_mov_b32 s12, 0x7f800001
	s_branch .LBB143_1547
.LBB143_1545:
	s_mov_b64 s[10:11], -1
	s_mov_b64 s[8:9], 0
                                        ; implicit-def: $sgpr12
	s_branch .LBB143_1548
.LBB143_1546:
	s_mov_b64 s[8:9], -1
                                        ; implicit-def: $sgpr12
.LBB143_1547:
	s_mov_b64 s[10:11], 0
.LBB143_1548:
	s_and_b64 vcc, exec, s[10:11]
	v_mov_b32_e32 v0, s12
	s_cbranch_vccz .LBB143_1550
; %bb.1549:
	s_mov_b32 s8, 0xffff
	v_mov_b32_e32 v0, s16
	v_mov_b32_e32 v1, 0
	v_and_b32_sdwa v0, s8, v0 dst_sel:DWORD dst_unused:UNUSED_PAD src0_sel:DWORD src1_sel:BYTE_0
	v_cmp_ne_u16_sdwa s[8:9], s16, v1 src0_sel:BYTE_0 src1_sel:DWORD
.LBB143_1550:
	s_andn2_b64 vcc, exec, s[8:9]
	s_cbranch_vccnz .LBB143_1552
; %bb.1551:
	s_and_b32 s9, s16, 7
	s_flbit_i32_b32 s11, s9
	s_min_u32 s11, s11, 32
	v_lshrrev_b16_e64 v0, 3, s16
	s_sub_i32 s12, s11, 28
	v_readfirstlane_b32 s10, v0
	s_lshl_b32 s12, s16, s12
	s_lshl_b32 s8, s16, 24
	s_and_b32 s10, s10, 15
	s_sub_i32 s11, 29, s11
	s_and_b32 s12, s12, 7
	s_cmp_eq_u32 s10, 0
	s_cselect_b32 s10, s11, s10
	s_cselect_b32 s9, s12, s9
	s_lshl_b32 s10, s10, 23
	s_and_b32 s8, s8, 0x80000000
	s_add_i32 s10, s10, 0x3b800000
	s_lshl_b32 s9, s9, 20
	s_or_b32 s8, s8, s10
	s_or_b32 s8, s8, s9
	v_mov_b32_e32 v0, s8
.LBB143_1552:
	v_mov_b32_e32 v1, 0
	global_store_dwordx2 v[10:11], v[0:1], off
.LBB143_1553:
	s_mov_b64 s[8:9], 0
.LBB143_1554:
	s_andn2_b64 vcc, exec, s[8:9]
	s_cbranch_vccnz .LBB143_1566
; %bb.1555:
	v_mov_b32_e32 v0, 0x80
	v_cmp_lt_i16_sdwa s[8:9], s16, v0 src0_sel:BYTE_0 src1_sel:DWORD
	s_and_b64 vcc, exec, s[8:9]
	s_cbranch_vccnz .LBB143_1558
; %bb.1556:
	v_cmp_eq_u16_sdwa s[8:9], s16, v0 src0_sel:BYTE_0 src1_sel:DWORD
	s_and_b64 vcc, exec, s[8:9]
	s_cbranch_vccz .LBB143_1559
; %bb.1557:
	s_mov_b64 s[8:9], 0
	s_movk_i32 s12, 0x7e00
	s_branch .LBB143_1560
.LBB143_1558:
	s_mov_b64 s[10:11], -1
	s_mov_b64 s[8:9], 0
                                        ; implicit-def: $sgpr12
	s_branch .LBB143_1561
.LBB143_1559:
	s_mov_b64 s[8:9], -1
                                        ; implicit-def: $sgpr12
.LBB143_1560:
	s_mov_b64 s[10:11], 0
.LBB143_1561:
	s_and_b64 vcc, exec, s[10:11]
	v_mov_b32_e32 v0, s12
	s_cbranch_vccz .LBB143_1563
; %bb.1562:
	s_mov_b32 s8, 0xffff
	v_mov_b32_e32 v0, s16
	v_mov_b32_e32 v1, 0
	v_and_b32_sdwa v0, s8, v0 dst_sel:DWORD dst_unused:UNUSED_PAD src0_sel:DWORD src1_sel:BYTE_0
	v_cmp_ne_u16_sdwa s[8:9], s16, v1 src0_sel:BYTE_0 src1_sel:DWORD
.LBB143_1563:
	s_andn2_b64 vcc, exec, s[8:9]
	s_cbranch_vccnz .LBB143_1565
; %bb.1564:
	s_and_b32 s9, s16, 7
	s_flbit_i32_b32 s11, s9
	s_min_u32 s11, s11, 32
	v_lshrrev_b16_e64 v0, 3, s16
	s_sub_i32 s12, s11, 28
	v_readfirstlane_b32 s10, v0
	s_lshl_b32 s12, s16, s12
	s_lshl_b32 s8, s16, 24
	s_and_b32 s10, s10, 15
	s_sub_i32 s11, 29, s11
	s_and_b32 s12, s12, 7
	s_cmp_eq_u32 s10, 0
	s_cselect_b32 s10, s11, s10
	s_cselect_b32 s9, s12, s9
	s_lshl_b32 s10, s10, 23
	s_and_b32 s8, s8, 0x80000000
	s_add_i32 s10, s10, 0x3b800000
	s_lshl_b32 s9, s9, 20
	s_or_b32 s8, s8, s10
	s_or_b32 s8, s8, s9
	v_cvt_f16_f32_e32 v0, s8
.LBB143_1565:
	global_store_dword v[10:11], v0, off
.LBB143_1566:
	s_mov_b64 s[8:9], 0
.LBB143_1567:
	s_andn2_b64 vcc, exec, s[8:9]
	s_cbranch_vccnz .LBB143_1606
; %bb.1568:
	v_mov_b32_e32 v0, 6
	v_cmp_lt_i16_sdwa s[10:11], s16, v0 src0_sel:BYTE_1 src1_sel:DWORD
	s_mov_b64 s[8:9], -1
	s_and_b64 vcc, exec, s[10:11]
	s_cbranch_vccnz .LBB143_1594
; %bb.1569:
	v_cmp_gt_i16_sdwa s[10:11], s16, v0 src0_sel:BYTE_1 src1_sel:DWORD
	s_and_b64 vcc, exec, s[10:11]
	s_cbranch_vccz .LBB143_1581
; %bb.1570:
	v_mov_b32_e32 v0, 0x80
	v_cmp_lt_i16_sdwa s[8:9], s16, v0 src0_sel:BYTE_0 src1_sel:DWORD
	s_and_b64 vcc, exec, s[8:9]
	s_cbranch_vccnz .LBB143_1573
; %bb.1571:
	v_cmp_eq_u16_sdwa s[8:9], s16, v0 src0_sel:BYTE_0 src1_sel:DWORD
	s_and_b64 vcc, exec, s[8:9]
	s_cbranch_vccz .LBB143_1574
; %bb.1572:
	s_mov_b64 s[8:9], 0
	s_mov_b32 s11, 0x7ff80000
	s_brev_b32 s10, 4
	s_branch .LBB143_1575
.LBB143_1573:
	s_mov_b64 s[12:13], -1
	s_mov_b64 s[8:9], 0
                                        ; implicit-def: $sgpr10_sgpr11
	s_branch .LBB143_1576
.LBB143_1574:
	s_mov_b64 s[8:9], -1
                                        ; implicit-def: $sgpr10_sgpr11
.LBB143_1575:
	s_mov_b64 s[12:13], 0
.LBB143_1576:
	s_and_b64 vcc, exec, s[12:13]
	s_cbranch_vccz .LBB143_1578
; %bb.1577:
	v_mov_b32_e32 v0, 0
	v_cmp_ne_u16_sdwa s[8:9], s16, v0 src0_sel:BYTE_0 src1_sel:DWORD
	s_mov_b64 s[10:11], 0
.LBB143_1578:
	s_andn2_b64 vcc, exec, s[8:9]
	v_pk_mov_b32 v[0:1], s[10:11], s[10:11] op_sel:[0,1]
	s_cbranch_vccnz .LBB143_1580
; %bb.1579:
	s_and_b32 s9, s16, 7
	s_flbit_i32_b32 s11, s9
	s_min_u32 s11, s11, 32
	v_lshrrev_b16_e64 v0, 3, s16
	s_sub_i32 s12, s11, 28
	v_readfirstlane_b32 s10, v0
	s_lshl_b32 s12, s16, s12
	s_lshl_b32 s8, s16, 24
	s_and_b32 s10, s10, 15
	s_sub_i32 s11, 29, s11
	s_and_b32 s12, s12, 7
	s_cmp_eq_u32 s10, 0
	s_cselect_b32 s10, s11, s10
	s_cselect_b32 s9, s12, s9
	s_lshl_b32 s10, s10, 23
	s_and_b32 s8, s8, 0x80000000
	s_add_i32 s10, s10, 0x3b800000
	s_lshl_b32 s9, s9, 20
	s_or_b32 s8, s8, s10
	s_or_b32 s8, s8, s9
	v_cvt_f64_f32_e32 v[0:1], s8
.LBB143_1580:
	global_store_dwordx2 v[10:11], v[0:1], off
	s_mov_b64 s[8:9], 0
.LBB143_1581:
	s_and_b64 vcc, exec, s[8:9]
	s_cbranch_vccz .LBB143_1593
; %bb.1582:
	v_mov_b32_e32 v0, 0x80
	v_cmp_lt_i16_sdwa s[8:9], s16, v0 src0_sel:BYTE_0 src1_sel:DWORD
	s_and_b64 vcc, exec, s[8:9]
	s_cbranch_vccnz .LBB143_1585
; %bb.1583:
	v_cmp_eq_u16_sdwa s[8:9], s16, v0 src0_sel:BYTE_0 src1_sel:DWORD
	s_and_b64 vcc, exec, s[8:9]
	s_cbranch_vccz .LBB143_1586
; %bb.1584:
	s_mov_b64 s[8:9], 0
	s_mov_b32 s12, 0x7f800001
	s_branch .LBB143_1587
.LBB143_1585:
	s_mov_b64 s[10:11], -1
	s_mov_b64 s[8:9], 0
                                        ; implicit-def: $sgpr12
	s_branch .LBB143_1588
.LBB143_1586:
	s_mov_b64 s[8:9], -1
                                        ; implicit-def: $sgpr12
.LBB143_1587:
	s_mov_b64 s[10:11], 0
.LBB143_1588:
	s_and_b64 vcc, exec, s[10:11]
	v_mov_b32_e32 v0, s12
	s_cbranch_vccz .LBB143_1590
; %bb.1589:
	s_mov_b32 s8, 0xffff
	v_mov_b32_e32 v0, s16
	v_mov_b32_e32 v1, 0
	v_and_b32_sdwa v0, s8, v0 dst_sel:DWORD dst_unused:UNUSED_PAD src0_sel:DWORD src1_sel:BYTE_0
	v_cmp_ne_u16_sdwa s[8:9], s16, v1 src0_sel:BYTE_0 src1_sel:DWORD
.LBB143_1590:
	s_andn2_b64 vcc, exec, s[8:9]
	s_cbranch_vccnz .LBB143_1592
; %bb.1591:
	s_and_b32 s9, s16, 7
	s_flbit_i32_b32 s11, s9
	s_min_u32 s11, s11, 32
	v_lshrrev_b16_e64 v0, 3, s16
	s_sub_i32 s12, s11, 28
	v_readfirstlane_b32 s10, v0
	s_lshl_b32 s12, s16, s12
	s_lshl_b32 s8, s16, 24
	s_and_b32 s10, s10, 15
	s_sub_i32 s11, 29, s11
	s_and_b32 s12, s12, 7
	s_cmp_eq_u32 s10, 0
	s_cselect_b32 s10, s11, s10
	s_cselect_b32 s9, s12, s9
	s_lshl_b32 s10, s10, 23
	s_and_b32 s8, s8, 0x80000000
	s_add_i32 s10, s10, 0x3b800000
	s_lshl_b32 s9, s9, 20
	s_or_b32 s8, s8, s10
	s_or_b32 s8, s8, s9
	v_mov_b32_e32 v0, s8
.LBB143_1592:
	global_store_dword v[10:11], v0, off
.LBB143_1593:
	s_mov_b64 s[8:9], 0
.LBB143_1594:
	s_andn2_b64 vcc, exec, s[8:9]
	s_cbranch_vccnz .LBB143_1606
; %bb.1595:
	v_mov_b32_e32 v0, 0xff
	v_and_b32_e32 v0, s16, v0
	s_movk_i32 s8, 0x80
	v_cmp_gt_i16_e32 vcc, s8, v0
	s_cbranch_vccnz .LBB143_1598
; %bb.1596:
	v_cmp_eq_u16_e32 vcc, s8, v0
	s_cbranch_vccz .LBB143_1599
; %bb.1597:
	s_mov_b64 s[8:9], 0
	s_movk_i32 s12, 0x7e00
	s_branch .LBB143_1600
.LBB143_1598:
	s_mov_b64 s[10:11], -1
	s_mov_b64 s[8:9], 0
                                        ; implicit-def: $sgpr12
	s_branch .LBB143_1601
.LBB143_1599:
	s_mov_b64 s[8:9], -1
                                        ; implicit-def: $sgpr12
.LBB143_1600:
	s_mov_b64 s[10:11], 0
.LBB143_1601:
	s_and_b64 vcc, exec, s[10:11]
	v_mov_b32_e32 v1, s12
	s_cbranch_vccz .LBB143_1603
; %bb.1602:
	v_cmp_ne_u16_e64 s[8:9], 0, v0
	v_mov_b32_e32 v1, v0
.LBB143_1603:
	s_andn2_b64 vcc, exec, s[8:9]
	s_cbranch_vccnz .LBB143_1605
; %bb.1604:
	s_and_b32 s9, s16, 7
	s_flbit_i32_b32 s11, s9
	s_min_u32 s11, s11, 32
	v_lshrrev_b16_e64 v0, 3, s16
	s_sub_i32 s12, s11, 28
	v_readfirstlane_b32 s10, v0
	s_lshl_b32 s12, s16, s12
	s_lshl_b32 s8, s16, 24
	s_and_b32 s10, s10, 15
	s_sub_i32 s11, 29, s11
	s_and_b32 s12, s12, 7
	s_cmp_eq_u32 s10, 0
	s_cselect_b32 s10, s11, s10
	s_cselect_b32 s9, s12, s9
	s_lshl_b32 s10, s10, 23
	s_and_b32 s8, s8, 0x80000000
	s_add_i32 s10, s10, 0x3b800000
	s_lshl_b32 s9, s9, 20
	s_or_b32 s8, s8, s10
	s_or_b32 s8, s8, s9
	v_cvt_f16_f32_e32 v1, s8
.LBB143_1605:
	global_store_short v[10:11], v1, off
.LBB143_1606:
	s_mov_b64 s[8:9], 0
.LBB143_1607:
	s_andn2_b64 vcc, exec, s[8:9]
	s_cbranch_vccnz .LBB143_1658
; %bb.1608:
	v_mov_b32_e32 v0, 2
	v_cmp_lt_i16_sdwa s[10:11], s16, v0 src0_sel:BYTE_1 src1_sel:DWORD
	s_mov_b64 s[8:9], -1
	s_and_b64 vcc, exec, s[10:11]
	s_cbranch_vccnz .LBB143_1639
; %bb.1609:
	v_mov_b32_e32 v0, 3
	v_cmp_lt_i16_sdwa s[10:11], s16, v0 src0_sel:BYTE_1 src1_sel:DWORD
	s_and_b64 vcc, exec, s[10:11]
	s_cbranch_vccnz .LBB143_1629
; %bb.1610:
	v_cmp_gt_i16_sdwa s[10:11], s16, v0 src0_sel:BYTE_1 src1_sel:DWORD
	s_and_b64 vcc, exec, s[10:11]
	s_cbranch_vccz .LBB143_1619
; %bb.1611:
	v_mov_b32_e32 v0, 0x80
	v_cmp_lt_i16_sdwa s[8:9], s16, v0 src0_sel:BYTE_0 src1_sel:DWORD
	s_and_b64 vcc, exec, s[8:9]
	s_cbranch_vccnz .LBB143_1613
; %bb.1612:
	v_cmp_ne_u16_sdwa s[8:9], s16, v0 src0_sel:BYTE_0 src1_sel:DWORD
	s_mov_b64 s[12:13], 0
	s_mov_b64 s[10:11], 0
	s_branch .LBB143_1614
.LBB143_1613:
	s_mov_b64 s[12:13], -1
	s_mov_b64 s[8:9], 0
                                        ; implicit-def: $sgpr10_sgpr11
.LBB143_1614:
	s_andn2_b64 vcc, exec, s[12:13]
	s_cbranch_vccnz .LBB143_1616
; %bb.1615:
	v_mov_b32_e32 v0, 0
	v_cmp_ne_u16_sdwa s[8:9], s16, v0 src0_sel:BYTE_0 src1_sel:DWORD
	s_mov_b64 s[10:11], 0
.LBB143_1616:
	s_andn2_b64 vcc, exec, s[8:9]
	v_pk_mov_b32 v[0:1], s[10:11], s[10:11] op_sel:[0,1]
	s_cbranch_vccnz .LBB143_1618
; %bb.1617:
	s_and_b32 s9, s16, 7
	s_flbit_i32_b32 s11, s9
	s_min_u32 s11, s11, 32
	v_lshrrev_b16_e64 v0, 3, s16
	s_sub_i32 s12, s11, 28
	v_readfirstlane_b32 s10, v0
	s_lshl_b32 s12, s16, s12
	s_lshl_b32 s8, s16, 24
	s_and_b32 s10, s10, 15
	s_sub_i32 s11, 29, s11
	s_and_b32 s12, s12, 7
	s_cmp_eq_u32 s10, 0
	s_cselect_b32 s10, s11, s10
	s_cselect_b32 s9, s12, s9
	s_lshl_b32 s10, s10, 23
	s_and_b32 s8, s8, 0x80000000
	s_add_i32 s10, s10, 0x3b800000
	s_lshl_b32 s9, s9, 20
	s_or_b32 s8, s8, s10
	s_or_b32 s8, s8, s9
	v_trunc_f32_e32 v0, s8
	s_mov_b32 s8, 0x2f800000
	v_mul_f32_e64 v1, |v0|, s8
	v_floor_f32_e32 v1, v1
	s_mov_b32 s8, 0xcf800000
	v_fma_f32 v2, v1, s8, |v0|
	v_cvt_u32_f32_e32 v2, v2
	v_cvt_u32_f32_e32 v1, v1
	v_ashrrev_i32_e32 v3, 31, v0
	v_xor_b32_e32 v0, v2, v3
	v_xor_b32_e32 v1, v1, v3
	v_sub_co_u32_e32 v0, vcc, v0, v3
	v_subb_co_u32_e32 v1, vcc, v1, v3, vcc
.LBB143_1618:
	global_store_dwordx2 v[10:11], v[0:1], off
	s_mov_b64 s[8:9], 0
.LBB143_1619:
	s_and_b64 vcc, exec, s[8:9]
	s_cbranch_vccz .LBB143_1628
; %bb.1620:
	v_mov_b32_e32 v0, 0x80
	v_cmp_lt_i16_sdwa s[8:9], s16, v0 src0_sel:BYTE_0 src1_sel:DWORD
	s_and_b64 vcc, exec, s[8:9]
	s_cbranch_vccnz .LBB143_1622
; %bb.1621:
	v_cmp_ne_u16_sdwa s[8:9], s16, v0 src0_sel:BYTE_0 src1_sel:DWORD
	s_mov_b64 s[10:11], 0
	s_mov_b32 s12, 0
	s_branch .LBB143_1623
.LBB143_1622:
	s_mov_b64 s[10:11], -1
	s_mov_b64 s[8:9], 0
                                        ; implicit-def: $sgpr12
.LBB143_1623:
	s_andn2_b64 vcc, exec, s[10:11]
	s_cbranch_vccnz .LBB143_1625
; %bb.1624:
	v_mov_b32_e32 v0, 0
	s_mov_b32 s12, 0
	v_cmp_ne_u16_sdwa s[8:9], s16, v0 src0_sel:BYTE_0 src1_sel:DWORD
.LBB143_1625:
	s_andn2_b64 vcc, exec, s[8:9]
	v_mov_b32_e32 v0, s12
	s_cbranch_vccnz .LBB143_1627
; %bb.1626:
	s_and_b32 s9, s16, 7
	s_flbit_i32_b32 s11, s9
	s_min_u32 s11, s11, 32
	v_lshrrev_b16_e64 v0, 3, s16
	s_sub_i32 s12, s11, 28
	v_readfirstlane_b32 s10, v0
	s_lshl_b32 s12, s16, s12
	s_lshl_b32 s8, s16, 24
	s_and_b32 s10, s10, 15
	s_sub_i32 s11, 29, s11
	s_and_b32 s12, s12, 7
	s_cmp_eq_u32 s10, 0
	s_cselect_b32 s10, s11, s10
	s_cselect_b32 s9, s12, s9
	s_lshl_b32 s10, s10, 23
	s_and_b32 s8, s8, 0x80000000
	s_add_i32 s10, s10, 0x3b800000
	s_lshl_b32 s9, s9, 20
	s_or_b32 s8, s8, s10
	s_or_b32 s8, s8, s9
	v_cvt_i32_f32_e32 v0, s8
.LBB143_1627:
	global_store_dword v[10:11], v0, off
.LBB143_1628:
	s_mov_b64 s[8:9], 0
.LBB143_1629:
	s_andn2_b64 vcc, exec, s[8:9]
	s_cbranch_vccnz .LBB143_1638
; %bb.1630:
	v_mov_b32_e32 v0, 0x80
	v_cmp_lt_i16_sdwa s[8:9], s16, v0 src0_sel:BYTE_0 src1_sel:DWORD
	s_and_b64 vcc, exec, s[8:9]
	s_cbranch_vccnz .LBB143_1632
; %bb.1631:
	v_cmp_ne_u16_sdwa s[8:9], s16, v0 src0_sel:BYTE_0 src1_sel:DWORD
	s_mov_b64 s[10:11], 0
	s_mov_b32 s12, 0
	s_branch .LBB143_1633
.LBB143_1632:
	s_mov_b64 s[10:11], -1
	s_mov_b64 s[8:9], 0
                                        ; implicit-def: $sgpr12
.LBB143_1633:
	s_andn2_b64 vcc, exec, s[10:11]
	s_cbranch_vccnz .LBB143_1635
; %bb.1634:
	v_mov_b32_e32 v0, 0
	s_mov_b32 s12, 0
	v_cmp_ne_u16_sdwa s[8:9], s16, v0 src0_sel:BYTE_0 src1_sel:DWORD
.LBB143_1635:
	s_andn2_b64 vcc, exec, s[8:9]
	v_mov_b32_e32 v0, s12
	s_cbranch_vccnz .LBB143_1637
; %bb.1636:
	s_and_b32 s9, s16, 7
	s_flbit_i32_b32 s11, s9
	s_min_u32 s11, s11, 32
	v_lshrrev_b16_e64 v0, 3, s16
	s_sub_i32 s12, s11, 28
	v_readfirstlane_b32 s10, v0
	s_lshl_b32 s12, s16, s12
	s_lshl_b32 s8, s16, 24
	s_and_b32 s10, s10, 15
	s_sub_i32 s11, 29, s11
	s_and_b32 s12, s12, 7
	s_cmp_eq_u32 s10, 0
	s_cselect_b32 s10, s11, s10
	s_cselect_b32 s9, s12, s9
	s_lshl_b32 s10, s10, 23
	s_and_b32 s8, s8, 0x80000000
	s_add_i32 s10, s10, 0x3b800000
	s_lshl_b32 s9, s9, 20
	s_or_b32 s8, s8, s10
	s_or_b32 s8, s8, s9
	v_cvt_i32_f32_e32 v0, s8
.LBB143_1637:
	global_store_short v[10:11], v0, off
.LBB143_1638:
	s_mov_b64 s[8:9], 0
.LBB143_1639:
	s_andn2_b64 vcc, exec, s[8:9]
	s_cbranch_vccnz .LBB143_1658
; %bb.1640:
	v_mov_b32_e32 v0, 0
	v_cmp_gt_i16_sdwa s[10:11], s16, v0 src0_sel:BYTE_1 src1_sel:DWORD
	s_mov_b64 s[8:9], -1
	s_and_b64 vcc, exec, s[10:11]
	s_cbranch_vccz .LBB143_1649
; %bb.1641:
	v_mov_b32_e32 v0, 0x80
	v_cmp_lt_i16_sdwa s[8:9], s16, v0 src0_sel:BYTE_0 src1_sel:DWORD
	s_and_b64 vcc, exec, s[8:9]
	s_cbranch_vccnz .LBB143_1643
; %bb.1642:
	v_cmp_ne_u16_sdwa s[8:9], s16, v0 src0_sel:BYTE_0 src1_sel:DWORD
	s_mov_b64 s[10:11], 0
	s_mov_b32 s12, 0
	s_branch .LBB143_1644
.LBB143_1643:
	s_mov_b64 s[10:11], -1
	s_mov_b64 s[8:9], 0
                                        ; implicit-def: $sgpr12
.LBB143_1644:
	s_andn2_b64 vcc, exec, s[10:11]
	s_cbranch_vccnz .LBB143_1646
; %bb.1645:
	v_mov_b32_e32 v0, 0
	s_mov_b32 s12, 0
	v_cmp_ne_u16_sdwa s[8:9], s16, v0 src0_sel:BYTE_0 src1_sel:DWORD
.LBB143_1646:
	s_andn2_b64 vcc, exec, s[8:9]
	v_mov_b32_e32 v0, s12
	s_cbranch_vccnz .LBB143_1648
; %bb.1647:
	s_and_b32 s9, s16, 7
	s_flbit_i32_b32 s11, s9
	s_min_u32 s11, s11, 32
	v_lshrrev_b16_e64 v0, 3, s16
	s_sub_i32 s12, s11, 28
	v_readfirstlane_b32 s10, v0
	s_lshl_b32 s12, s16, s12
	s_lshl_b32 s8, s16, 24
	s_and_b32 s10, s10, 15
	s_sub_i32 s11, 29, s11
	s_and_b32 s12, s12, 7
	s_cmp_eq_u32 s10, 0
	s_cselect_b32 s10, s11, s10
	s_cselect_b32 s9, s12, s9
	s_lshl_b32 s10, s10, 23
	s_and_b32 s8, s8, 0x80000000
	s_add_i32 s10, s10, 0x3b800000
	s_lshl_b32 s9, s9, 20
	s_or_b32 s8, s8, s10
	s_or_b32 s8, s8, s9
	v_cvt_i32_f32_e32 v0, s8
.LBB143_1648:
	global_store_byte v[10:11], v0, off
	s_mov_b64 s[8:9], 0
.LBB143_1649:
	s_and_b64 vcc, exec, s[8:9]
	s_cbranch_vccz .LBB143_1658
; %bb.1650:
	v_mov_b32_e32 v0, 0x80
	v_cmp_lt_i16_sdwa s[8:9], s16, v0 src0_sel:BYTE_0 src1_sel:DWORD
	s_and_b64 vcc, exec, s[8:9]
	s_cbranch_vccnz .LBB143_1652
; %bb.1651:
	v_cmp_ne_u16_sdwa s[8:9], s16, v0 src0_sel:BYTE_0 src1_sel:DWORD
	s_mov_b64 s[10:11], 0
	s_mov_b32 s12, 0
	s_branch .LBB143_1653
.LBB143_1652:
	s_mov_b64 s[10:11], -1
	s_mov_b64 s[8:9], 0
                                        ; implicit-def: $sgpr12
.LBB143_1653:
	s_andn2_b64 vcc, exec, s[10:11]
	s_cbranch_vccnz .LBB143_1655
; %bb.1654:
	v_mov_b32_e32 v0, 0
	s_mov_b32 s12, 0
	v_cmp_ne_u16_sdwa s[8:9], s16, v0 src0_sel:BYTE_0 src1_sel:DWORD
.LBB143_1655:
	s_andn2_b64 vcc, exec, s[8:9]
	v_mov_b32_e32 v0, s12
	s_cbranch_vccnz .LBB143_1657
; %bb.1656:
	s_and_b32 s9, s16, 7
	s_flbit_i32_b32 s11, s9
	s_min_u32 s11, s11, 32
	v_lshrrev_b16_e64 v0, 3, s16
	s_sub_i32 s12, s11, 28
	v_readfirstlane_b32 s10, v0
	s_lshl_b32 s12, s16, s12
	s_lshl_b32 s8, s16, 24
	s_and_b32 s10, s10, 15
	s_sub_i32 s11, 29, s11
	s_and_b32 s12, s12, 7
	s_cmp_eq_u32 s10, 0
	s_cselect_b32 s10, s11, s10
	s_cselect_b32 s9, s12, s9
	s_lshl_b32 s10, s10, 23
	s_and_b32 s8, s8, 0x80000000
	s_add_i32 s10, s10, 0x3b800000
	s_lshl_b32 s9, s9, 20
	s_or_b32 s8, s8, s10
	s_or_b32 s8, s8, s9
	v_trunc_f32_e32 v0, s8
	s_mov_b32 s8, 0x2f800000
	v_mul_f32_e64 v1, |v0|, s8
	v_floor_f32_e32 v1, v1
	s_mov_b32 s8, 0xcf800000
	v_fma_f32 v1, v1, s8, |v0|
	v_cvt_u32_f32_e32 v1, v1
	v_ashrrev_i32_e32 v0, 31, v0
	v_xor_b32_e32 v1, v1, v0
	v_sub_u32_e32 v0, v1, v0
.LBB143_1657:
	global_store_byte v[10:11], v0, off
.LBB143_1658:
.LBB143_1659:
	v_mov_b32_e32 v0, s3
	v_add_co_u32_e32 v8, vcc, s2, v8
	v_addc_co_u32_e32 v9, vcc, 0, v0, vcc
	v_mov_b32_e32 v0, 11
	v_cmp_lt_i16_sdwa s[8:9], s16, v0 src0_sel:BYTE_1 src1_sel:DWORD
	s_and_b64 vcc, exec, s[8:9]
	s_cbranch_vccnz .LBB143_1668
; %bb.1660:
	v_mov_b32_e32 v0, 25
	v_cmp_gt_i16_sdwa s[8:9], s16, v0 src0_sel:BYTE_1 src1_sel:DWORD
	s_mov_b64 s[14:15], -1
	s_mov_b64 s[10:11], 0
	s_and_b64 vcc, exec, s[8:9]
	s_mov_b64 s[12:13], 0
	s_mov_b64 s[8:9], 0
	s_cbranch_vccz .LBB143_1865
; %bb.1661:
	v_mov_b32_e32 v0, 28
	v_cmp_gt_i16_sdwa s[8:9], s16, v0 src0_sel:BYTE_1 src1_sel:DWORD
	s_and_b64 vcc, exec, s[8:9]
	s_cbranch_vccz .LBB143_1676
; %bb.1662:
	v_mov_b32_e32 v0, 43
	v_cmp_gt_i16_sdwa s[8:9], s16, v0 src0_sel:BYTE_1 src1_sel:DWORD
	s_and_b64 vcc, exec, s[8:9]
	;; [unrolled: 5-line block ×3, first 2 shown]
	s_cbranch_vccz .LBB143_1678
; %bb.1664:
	v_mov_b32_e32 v0, 46
	v_cmp_eq_u16_sdwa s[12:13], s16, v0 src0_sel:BYTE_1 src1_sel:DWORD
	s_mov_b64 s[8:9], -1
	s_mov_b64 s[14:15], 0
	s_and_b64 vcc, exec, s[12:13]
	s_mov_b64 s[12:13], 0
	s_cbranch_vccz .LBB143_1813
; %bb.1665:
	v_mov_b32_e32 v0, 0x80
	v_cmp_lt_i16_sdwa s[8:9], s16, v0 src0_sel:BYTE_0 src1_sel:DWORD
	s_and_b64 vcc, exec, s[8:9]
	s_cbranch_vccnz .LBB143_1680
; %bb.1666:
	v_cmp_eq_u16_sdwa s[8:9], s16, v0 src0_sel:BYTE_0 src1_sel:DWORD
	s_and_b64 vcc, exec, s[8:9]
	s_cbranch_vccz .LBB143_1806
; %bb.1667:
	s_mov_b64 s[8:9], 0
	s_mov_b32 s17, 0x7f800001
	s_branch .LBB143_1808
.LBB143_1668:
	s_mov_b64 s[12:13], 0
	s_cbranch_execz .LBB143_1966
; %bb.1669:
	v_mov_b32_e32 v0, 5
	v_cmp_lt_i16_sdwa s[10:11], s16, v0 src0_sel:BYTE_1 src1_sel:DWORD
	s_mov_b64 s[8:9], -1
	s_and_b64 vcc, exec, s[10:11]
	s_cbranch_vccnz .LBB143_1754
; %bb.1670:
	v_mov_b32_e32 v0, 8
	v_cmp_lt_i16_sdwa s[10:11], s16, v0 src0_sel:BYTE_1 src1_sel:DWORD
	s_and_b64 vcc, exec, s[10:11]
	s_cbranch_vccnz .LBB143_1714
; %bb.1671:
	v_mov_b32_e32 v0, 9
	v_cmp_lt_i16_sdwa s[10:11], s16, v0 src0_sel:BYTE_1 src1_sel:DWORD
	s_and_b64 vcc, exec, s[10:11]
	s_cbranch_vccnz .LBB143_1701
; %bb.1672:
	v_cmp_gt_i16_sdwa s[10:11], s16, v0 src0_sel:BYTE_1 src1_sel:DWORD
	s_and_b64 vcc, exec, s[10:11]
	s_cbranch_vccz .LBB143_1688
; %bb.1673:
	v_mov_b32_e32 v0, 0x80
	v_cmp_lt_i16_sdwa s[8:9], s16, v0 src0_sel:BYTE_0 src1_sel:DWORD
	s_and_b64 vcc, exec, s[8:9]
	s_cbranch_vccnz .LBB143_1679
; %bb.1674:
	v_cmp_eq_u16_sdwa s[8:9], s16, v0 src0_sel:BYTE_0 src1_sel:DWORD
	s_and_b64 vcc, exec, s[8:9]
	s_cbranch_vccz .LBB143_1681
; %bb.1675:
	s_mov_b64 s[8:9], 0
	s_mov_b32 s11, 0x7ff80000
	s_brev_b32 s10, 4
	s_branch .LBB143_1682
.LBB143_1676:
	s_mov_b64 s[8:9], 0
	s_branch .LBB143_1840
.LBB143_1677:
	s_mov_b64 s[8:9], 0
	s_branch .LBB143_1827
.LBB143_1678:
	s_mov_b64 s[8:9], 0
	s_branch .LBB143_1813
.LBB143_1679:
	s_mov_b64 s[12:13], -1
	s_mov_b64 s[8:9], 0
                                        ; implicit-def: $sgpr10_sgpr11
	s_branch .LBB143_1683
.LBB143_1680:
	s_mov_b64 s[12:13], -1
	s_mov_b64 s[8:9], 0
	s_branch .LBB143_1807
.LBB143_1681:
	s_mov_b64 s[8:9], -1
                                        ; implicit-def: $sgpr10_sgpr11
.LBB143_1682:
	s_mov_b64 s[12:13], 0
.LBB143_1683:
	s_and_b64 vcc, exec, s[12:13]
	s_cbranch_vccz .LBB143_1685
; %bb.1684:
	v_mov_b32_e32 v0, 0
	v_cmp_ne_u16_sdwa s[8:9], s16, v0 src0_sel:BYTE_0 src1_sel:DWORD
	s_mov_b64 s[10:11], 0
.LBB143_1685:
	s_andn2_b64 vcc, exec, s[8:9]
	v_pk_mov_b32 v[0:1], s[10:11], s[10:11] op_sel:[0,1]
	s_cbranch_vccnz .LBB143_1687
; %bb.1686:
	s_and_b32 s9, s16, 7
	s_flbit_i32_b32 s11, s9
	s_min_u32 s11, s11, 32
	v_lshrrev_b16_e64 v0, 3, s16
	s_sub_i32 s12, s11, 28
	v_readfirstlane_b32 s10, v0
	s_lshl_b32 s12, s16, s12
	s_lshl_b32 s8, s16, 24
	s_and_b32 s10, s10, 15
	s_sub_i32 s11, 29, s11
	s_and_b32 s12, s12, 7
	s_cmp_eq_u32 s10, 0
	s_cselect_b32 s10, s11, s10
	s_cselect_b32 s9, s12, s9
	s_lshl_b32 s10, s10, 23
	s_and_b32 s8, s8, 0x80000000
	s_add_i32 s10, s10, 0x3b800000
	s_lshl_b32 s9, s9, 20
	s_or_b32 s8, s8, s10
	s_or_b32 s8, s8, s9
	v_cvt_f64_f32_e32 v[0:1], s8
.LBB143_1687:
	v_mov_b32_e32 v2, 0
	v_mov_b32_e32 v3, v2
	global_store_dwordx4 v[8:9], v[0:3], off
	s_mov_b64 s[8:9], 0
.LBB143_1688:
	s_and_b64 vcc, exec, s[8:9]
	s_cbranch_vccz .LBB143_1700
; %bb.1689:
	v_mov_b32_e32 v0, 0x80
	v_cmp_lt_i16_sdwa s[8:9], s16, v0 src0_sel:BYTE_0 src1_sel:DWORD
	s_and_b64 vcc, exec, s[8:9]
	s_cbranch_vccnz .LBB143_1692
; %bb.1690:
	v_cmp_eq_u16_sdwa s[8:9], s16, v0 src0_sel:BYTE_0 src1_sel:DWORD
	s_and_b64 vcc, exec, s[8:9]
	s_cbranch_vccz .LBB143_1693
; %bb.1691:
	s_mov_b64 s[8:9], 0
	s_mov_b32 s12, 0x7f800001
	s_branch .LBB143_1694
.LBB143_1692:
	s_mov_b64 s[10:11], -1
	s_mov_b64 s[8:9], 0
                                        ; implicit-def: $sgpr12
	s_branch .LBB143_1695
.LBB143_1693:
	s_mov_b64 s[8:9], -1
                                        ; implicit-def: $sgpr12
.LBB143_1694:
	s_mov_b64 s[10:11], 0
.LBB143_1695:
	s_and_b64 vcc, exec, s[10:11]
	v_mov_b32_e32 v0, s12
	s_cbranch_vccz .LBB143_1697
; %bb.1696:
	s_mov_b32 s8, 0xffff
	v_mov_b32_e32 v0, s16
	v_mov_b32_e32 v1, 0
	v_and_b32_sdwa v0, s8, v0 dst_sel:DWORD dst_unused:UNUSED_PAD src0_sel:DWORD src1_sel:BYTE_0
	v_cmp_ne_u16_sdwa s[8:9], s16, v1 src0_sel:BYTE_0 src1_sel:DWORD
.LBB143_1697:
	s_andn2_b64 vcc, exec, s[8:9]
	s_cbranch_vccnz .LBB143_1699
; %bb.1698:
	s_and_b32 s9, s16, 7
	s_flbit_i32_b32 s11, s9
	s_min_u32 s11, s11, 32
	v_lshrrev_b16_e64 v0, 3, s16
	s_sub_i32 s12, s11, 28
	v_readfirstlane_b32 s10, v0
	s_lshl_b32 s12, s16, s12
	s_lshl_b32 s8, s16, 24
	s_and_b32 s10, s10, 15
	s_sub_i32 s11, 29, s11
	s_and_b32 s12, s12, 7
	s_cmp_eq_u32 s10, 0
	s_cselect_b32 s10, s11, s10
	s_cselect_b32 s9, s12, s9
	s_lshl_b32 s10, s10, 23
	s_and_b32 s8, s8, 0x80000000
	s_add_i32 s10, s10, 0x3b800000
	s_lshl_b32 s9, s9, 20
	s_or_b32 s8, s8, s10
	s_or_b32 s8, s8, s9
	v_mov_b32_e32 v0, s8
.LBB143_1699:
	v_mov_b32_e32 v1, 0
	global_store_dwordx2 v[8:9], v[0:1], off
.LBB143_1700:
	s_mov_b64 s[8:9], 0
.LBB143_1701:
	s_andn2_b64 vcc, exec, s[8:9]
	s_cbranch_vccnz .LBB143_1713
; %bb.1702:
	v_mov_b32_e32 v0, 0x80
	v_cmp_lt_i16_sdwa s[8:9], s16, v0 src0_sel:BYTE_0 src1_sel:DWORD
	s_and_b64 vcc, exec, s[8:9]
	s_cbranch_vccnz .LBB143_1705
; %bb.1703:
	v_cmp_eq_u16_sdwa s[8:9], s16, v0 src0_sel:BYTE_0 src1_sel:DWORD
	s_and_b64 vcc, exec, s[8:9]
	s_cbranch_vccz .LBB143_1706
; %bb.1704:
	s_mov_b64 s[8:9], 0
	s_movk_i32 s12, 0x7e00
	s_branch .LBB143_1707
.LBB143_1705:
	s_mov_b64 s[10:11], -1
	s_mov_b64 s[8:9], 0
                                        ; implicit-def: $sgpr12
	s_branch .LBB143_1708
.LBB143_1706:
	s_mov_b64 s[8:9], -1
                                        ; implicit-def: $sgpr12
.LBB143_1707:
	s_mov_b64 s[10:11], 0
.LBB143_1708:
	s_and_b64 vcc, exec, s[10:11]
	v_mov_b32_e32 v0, s12
	s_cbranch_vccz .LBB143_1710
; %bb.1709:
	s_mov_b32 s8, 0xffff
	v_mov_b32_e32 v0, s16
	v_mov_b32_e32 v1, 0
	v_and_b32_sdwa v0, s8, v0 dst_sel:DWORD dst_unused:UNUSED_PAD src0_sel:DWORD src1_sel:BYTE_0
	v_cmp_ne_u16_sdwa s[8:9], s16, v1 src0_sel:BYTE_0 src1_sel:DWORD
.LBB143_1710:
	s_andn2_b64 vcc, exec, s[8:9]
	s_cbranch_vccnz .LBB143_1712
; %bb.1711:
	s_and_b32 s9, s16, 7
	s_flbit_i32_b32 s11, s9
	s_min_u32 s11, s11, 32
	v_lshrrev_b16_e64 v0, 3, s16
	s_sub_i32 s12, s11, 28
	v_readfirstlane_b32 s10, v0
	s_lshl_b32 s12, s16, s12
	s_lshl_b32 s8, s16, 24
	s_and_b32 s10, s10, 15
	s_sub_i32 s11, 29, s11
	s_and_b32 s12, s12, 7
	s_cmp_eq_u32 s10, 0
	s_cselect_b32 s10, s11, s10
	s_cselect_b32 s9, s12, s9
	s_lshl_b32 s10, s10, 23
	s_and_b32 s8, s8, 0x80000000
	s_add_i32 s10, s10, 0x3b800000
	s_lshl_b32 s9, s9, 20
	s_or_b32 s8, s8, s10
	s_or_b32 s8, s8, s9
	v_cvt_f16_f32_e32 v0, s8
.LBB143_1712:
	global_store_dword v[8:9], v0, off
.LBB143_1713:
	s_mov_b64 s[8:9], 0
.LBB143_1714:
	s_andn2_b64 vcc, exec, s[8:9]
	s_cbranch_vccnz .LBB143_1753
; %bb.1715:
	v_mov_b32_e32 v0, 6
	v_cmp_lt_i16_sdwa s[10:11], s16, v0 src0_sel:BYTE_1 src1_sel:DWORD
	s_mov_b64 s[8:9], -1
	s_and_b64 vcc, exec, s[10:11]
	s_cbranch_vccnz .LBB143_1741
; %bb.1716:
	v_cmp_gt_i16_sdwa s[10:11], s16, v0 src0_sel:BYTE_1 src1_sel:DWORD
	s_and_b64 vcc, exec, s[10:11]
	s_cbranch_vccz .LBB143_1728
; %bb.1717:
	v_mov_b32_e32 v0, 0x80
	v_cmp_lt_i16_sdwa s[8:9], s16, v0 src0_sel:BYTE_0 src1_sel:DWORD
	s_and_b64 vcc, exec, s[8:9]
	s_cbranch_vccnz .LBB143_1720
; %bb.1718:
	v_cmp_eq_u16_sdwa s[8:9], s16, v0 src0_sel:BYTE_0 src1_sel:DWORD
	s_and_b64 vcc, exec, s[8:9]
	s_cbranch_vccz .LBB143_1721
; %bb.1719:
	s_mov_b64 s[8:9], 0
	s_mov_b32 s11, 0x7ff80000
	s_brev_b32 s10, 4
	s_branch .LBB143_1722
.LBB143_1720:
	s_mov_b64 s[12:13], -1
	s_mov_b64 s[8:9], 0
                                        ; implicit-def: $sgpr10_sgpr11
	s_branch .LBB143_1723
.LBB143_1721:
	s_mov_b64 s[8:9], -1
                                        ; implicit-def: $sgpr10_sgpr11
.LBB143_1722:
	s_mov_b64 s[12:13], 0
.LBB143_1723:
	s_and_b64 vcc, exec, s[12:13]
	s_cbranch_vccz .LBB143_1725
; %bb.1724:
	v_mov_b32_e32 v0, 0
	v_cmp_ne_u16_sdwa s[8:9], s16, v0 src0_sel:BYTE_0 src1_sel:DWORD
	s_mov_b64 s[10:11], 0
.LBB143_1725:
	s_andn2_b64 vcc, exec, s[8:9]
	v_pk_mov_b32 v[0:1], s[10:11], s[10:11] op_sel:[0,1]
	s_cbranch_vccnz .LBB143_1727
; %bb.1726:
	s_and_b32 s9, s16, 7
	s_flbit_i32_b32 s11, s9
	s_min_u32 s11, s11, 32
	v_lshrrev_b16_e64 v0, 3, s16
	s_sub_i32 s12, s11, 28
	v_readfirstlane_b32 s10, v0
	s_lshl_b32 s12, s16, s12
	s_lshl_b32 s8, s16, 24
	s_and_b32 s10, s10, 15
	s_sub_i32 s11, 29, s11
	s_and_b32 s12, s12, 7
	s_cmp_eq_u32 s10, 0
	s_cselect_b32 s10, s11, s10
	s_cselect_b32 s9, s12, s9
	s_lshl_b32 s10, s10, 23
	s_and_b32 s8, s8, 0x80000000
	s_add_i32 s10, s10, 0x3b800000
	s_lshl_b32 s9, s9, 20
	s_or_b32 s8, s8, s10
	s_or_b32 s8, s8, s9
	v_cvt_f64_f32_e32 v[0:1], s8
.LBB143_1727:
	global_store_dwordx2 v[8:9], v[0:1], off
	s_mov_b64 s[8:9], 0
.LBB143_1728:
	s_and_b64 vcc, exec, s[8:9]
	s_cbranch_vccz .LBB143_1740
; %bb.1729:
	v_mov_b32_e32 v0, 0x80
	v_cmp_lt_i16_sdwa s[8:9], s16, v0 src0_sel:BYTE_0 src1_sel:DWORD
	s_and_b64 vcc, exec, s[8:9]
	s_cbranch_vccnz .LBB143_1732
; %bb.1730:
	v_cmp_eq_u16_sdwa s[8:9], s16, v0 src0_sel:BYTE_0 src1_sel:DWORD
	s_and_b64 vcc, exec, s[8:9]
	s_cbranch_vccz .LBB143_1733
; %bb.1731:
	s_mov_b64 s[8:9], 0
	s_mov_b32 s12, 0x7f800001
	s_branch .LBB143_1734
.LBB143_1732:
	s_mov_b64 s[10:11], -1
	s_mov_b64 s[8:9], 0
                                        ; implicit-def: $sgpr12
	s_branch .LBB143_1735
.LBB143_1733:
	s_mov_b64 s[8:9], -1
                                        ; implicit-def: $sgpr12
.LBB143_1734:
	s_mov_b64 s[10:11], 0
.LBB143_1735:
	s_and_b64 vcc, exec, s[10:11]
	v_mov_b32_e32 v0, s12
	s_cbranch_vccz .LBB143_1737
; %bb.1736:
	s_mov_b32 s8, 0xffff
	v_mov_b32_e32 v0, s16
	v_mov_b32_e32 v1, 0
	v_and_b32_sdwa v0, s8, v0 dst_sel:DWORD dst_unused:UNUSED_PAD src0_sel:DWORD src1_sel:BYTE_0
	v_cmp_ne_u16_sdwa s[8:9], s16, v1 src0_sel:BYTE_0 src1_sel:DWORD
.LBB143_1737:
	s_andn2_b64 vcc, exec, s[8:9]
	s_cbranch_vccnz .LBB143_1739
; %bb.1738:
	s_and_b32 s9, s16, 7
	s_flbit_i32_b32 s11, s9
	s_min_u32 s11, s11, 32
	v_lshrrev_b16_e64 v0, 3, s16
	s_sub_i32 s12, s11, 28
	v_readfirstlane_b32 s10, v0
	s_lshl_b32 s12, s16, s12
	s_lshl_b32 s8, s16, 24
	s_and_b32 s10, s10, 15
	s_sub_i32 s11, 29, s11
	s_and_b32 s12, s12, 7
	s_cmp_eq_u32 s10, 0
	s_cselect_b32 s10, s11, s10
	s_cselect_b32 s9, s12, s9
	s_lshl_b32 s10, s10, 23
	s_and_b32 s8, s8, 0x80000000
	s_add_i32 s10, s10, 0x3b800000
	s_lshl_b32 s9, s9, 20
	s_or_b32 s8, s8, s10
	s_or_b32 s8, s8, s9
	v_mov_b32_e32 v0, s8
.LBB143_1739:
	global_store_dword v[8:9], v0, off
.LBB143_1740:
	s_mov_b64 s[8:9], 0
.LBB143_1741:
	s_andn2_b64 vcc, exec, s[8:9]
	s_cbranch_vccnz .LBB143_1753
; %bb.1742:
	v_mov_b32_e32 v0, 0xff
	v_and_b32_e32 v0, s16, v0
	s_movk_i32 s8, 0x80
	v_cmp_gt_i16_e32 vcc, s8, v0
	s_cbranch_vccnz .LBB143_1745
; %bb.1743:
	v_cmp_eq_u16_e32 vcc, s8, v0
	s_cbranch_vccz .LBB143_1746
; %bb.1744:
	s_mov_b64 s[8:9], 0
	s_movk_i32 s12, 0x7e00
	s_branch .LBB143_1747
.LBB143_1745:
	s_mov_b64 s[10:11], -1
	s_mov_b64 s[8:9], 0
                                        ; implicit-def: $sgpr12
	s_branch .LBB143_1748
.LBB143_1746:
	s_mov_b64 s[8:9], -1
                                        ; implicit-def: $sgpr12
.LBB143_1747:
	s_mov_b64 s[10:11], 0
.LBB143_1748:
	s_and_b64 vcc, exec, s[10:11]
	v_mov_b32_e32 v1, s12
	s_cbranch_vccz .LBB143_1750
; %bb.1749:
	v_cmp_ne_u16_e64 s[8:9], 0, v0
	v_mov_b32_e32 v1, v0
.LBB143_1750:
	s_andn2_b64 vcc, exec, s[8:9]
	s_cbranch_vccnz .LBB143_1752
; %bb.1751:
	s_and_b32 s9, s16, 7
	s_flbit_i32_b32 s11, s9
	s_min_u32 s11, s11, 32
	v_lshrrev_b16_e64 v0, 3, s16
	s_sub_i32 s12, s11, 28
	v_readfirstlane_b32 s10, v0
	s_lshl_b32 s12, s16, s12
	s_lshl_b32 s8, s16, 24
	s_and_b32 s10, s10, 15
	s_sub_i32 s11, 29, s11
	s_and_b32 s12, s12, 7
	s_cmp_eq_u32 s10, 0
	s_cselect_b32 s10, s11, s10
	s_cselect_b32 s9, s12, s9
	s_lshl_b32 s10, s10, 23
	s_and_b32 s8, s8, 0x80000000
	s_add_i32 s10, s10, 0x3b800000
	s_lshl_b32 s9, s9, 20
	s_or_b32 s8, s8, s10
	s_or_b32 s8, s8, s9
	v_cvt_f16_f32_e32 v1, s8
.LBB143_1752:
	global_store_short v[8:9], v1, off
.LBB143_1753:
	s_mov_b64 s[8:9], 0
.LBB143_1754:
	s_andn2_b64 vcc, exec, s[8:9]
	s_cbranch_vccnz .LBB143_1805
; %bb.1755:
	v_mov_b32_e32 v0, 2
	v_cmp_lt_i16_sdwa s[10:11], s16, v0 src0_sel:BYTE_1 src1_sel:DWORD
	s_mov_b64 s[8:9], -1
	s_and_b64 vcc, exec, s[10:11]
	s_cbranch_vccnz .LBB143_1786
; %bb.1756:
	v_mov_b32_e32 v0, 3
	v_cmp_lt_i16_sdwa s[10:11], s16, v0 src0_sel:BYTE_1 src1_sel:DWORD
	s_and_b64 vcc, exec, s[10:11]
	s_cbranch_vccnz .LBB143_1776
; %bb.1757:
	v_cmp_gt_i16_sdwa s[10:11], s16, v0 src0_sel:BYTE_1 src1_sel:DWORD
	s_and_b64 vcc, exec, s[10:11]
	s_cbranch_vccz .LBB143_1766
; %bb.1758:
	v_mov_b32_e32 v0, 0x80
	v_cmp_lt_i16_sdwa s[8:9], s16, v0 src0_sel:BYTE_0 src1_sel:DWORD
	s_and_b64 vcc, exec, s[8:9]
	s_cbranch_vccnz .LBB143_1760
; %bb.1759:
	v_cmp_ne_u16_sdwa s[8:9], s16, v0 src0_sel:BYTE_0 src1_sel:DWORD
	s_mov_b64 s[12:13], 0
	s_mov_b64 s[10:11], 0
	s_branch .LBB143_1761
.LBB143_1760:
	s_mov_b64 s[12:13], -1
	s_mov_b64 s[8:9], 0
                                        ; implicit-def: $sgpr10_sgpr11
.LBB143_1761:
	s_andn2_b64 vcc, exec, s[12:13]
	s_cbranch_vccnz .LBB143_1763
; %bb.1762:
	v_mov_b32_e32 v0, 0
	v_cmp_ne_u16_sdwa s[8:9], s16, v0 src0_sel:BYTE_0 src1_sel:DWORD
	s_mov_b64 s[10:11], 0
.LBB143_1763:
	s_andn2_b64 vcc, exec, s[8:9]
	v_pk_mov_b32 v[0:1], s[10:11], s[10:11] op_sel:[0,1]
	s_cbranch_vccnz .LBB143_1765
; %bb.1764:
	s_and_b32 s9, s16, 7
	s_flbit_i32_b32 s11, s9
	s_min_u32 s11, s11, 32
	v_lshrrev_b16_e64 v0, 3, s16
	s_sub_i32 s12, s11, 28
	v_readfirstlane_b32 s10, v0
	s_lshl_b32 s12, s16, s12
	s_lshl_b32 s8, s16, 24
	s_and_b32 s10, s10, 15
	s_sub_i32 s11, 29, s11
	s_and_b32 s12, s12, 7
	s_cmp_eq_u32 s10, 0
	s_cselect_b32 s10, s11, s10
	s_cselect_b32 s9, s12, s9
	s_lshl_b32 s10, s10, 23
	s_and_b32 s8, s8, 0x80000000
	s_add_i32 s10, s10, 0x3b800000
	s_lshl_b32 s9, s9, 20
	s_or_b32 s8, s8, s10
	s_or_b32 s8, s8, s9
	v_trunc_f32_e32 v0, s8
	s_mov_b32 s8, 0x2f800000
	v_mul_f32_e64 v1, |v0|, s8
	v_floor_f32_e32 v1, v1
	s_mov_b32 s8, 0xcf800000
	v_fma_f32 v2, v1, s8, |v0|
	v_cvt_u32_f32_e32 v2, v2
	v_cvt_u32_f32_e32 v1, v1
	v_ashrrev_i32_e32 v3, 31, v0
	v_xor_b32_e32 v0, v2, v3
	v_xor_b32_e32 v1, v1, v3
	v_sub_co_u32_e32 v0, vcc, v0, v3
	v_subb_co_u32_e32 v1, vcc, v1, v3, vcc
.LBB143_1765:
	global_store_dwordx2 v[8:9], v[0:1], off
	s_mov_b64 s[8:9], 0
.LBB143_1766:
	s_and_b64 vcc, exec, s[8:9]
	s_cbranch_vccz .LBB143_1775
; %bb.1767:
	v_mov_b32_e32 v0, 0x80
	v_cmp_lt_i16_sdwa s[8:9], s16, v0 src0_sel:BYTE_0 src1_sel:DWORD
	s_and_b64 vcc, exec, s[8:9]
	s_cbranch_vccnz .LBB143_1769
; %bb.1768:
	v_cmp_ne_u16_sdwa s[8:9], s16, v0 src0_sel:BYTE_0 src1_sel:DWORD
	s_mov_b64 s[10:11], 0
	s_mov_b32 s12, 0
	s_branch .LBB143_1770
.LBB143_1769:
	s_mov_b64 s[10:11], -1
	s_mov_b64 s[8:9], 0
                                        ; implicit-def: $sgpr12
.LBB143_1770:
	s_andn2_b64 vcc, exec, s[10:11]
	s_cbranch_vccnz .LBB143_1772
; %bb.1771:
	v_mov_b32_e32 v0, 0
	s_mov_b32 s12, 0
	v_cmp_ne_u16_sdwa s[8:9], s16, v0 src0_sel:BYTE_0 src1_sel:DWORD
.LBB143_1772:
	s_andn2_b64 vcc, exec, s[8:9]
	v_mov_b32_e32 v0, s12
	s_cbranch_vccnz .LBB143_1774
; %bb.1773:
	s_and_b32 s9, s16, 7
	s_flbit_i32_b32 s11, s9
	s_min_u32 s11, s11, 32
	v_lshrrev_b16_e64 v0, 3, s16
	s_sub_i32 s12, s11, 28
	v_readfirstlane_b32 s10, v0
	s_lshl_b32 s12, s16, s12
	s_lshl_b32 s8, s16, 24
	s_and_b32 s10, s10, 15
	s_sub_i32 s11, 29, s11
	s_and_b32 s12, s12, 7
	s_cmp_eq_u32 s10, 0
	s_cselect_b32 s10, s11, s10
	s_cselect_b32 s9, s12, s9
	s_lshl_b32 s10, s10, 23
	s_and_b32 s8, s8, 0x80000000
	s_add_i32 s10, s10, 0x3b800000
	s_lshl_b32 s9, s9, 20
	s_or_b32 s8, s8, s10
	s_or_b32 s8, s8, s9
	v_cvt_i32_f32_e32 v0, s8
.LBB143_1774:
	global_store_dword v[8:9], v0, off
.LBB143_1775:
	s_mov_b64 s[8:9], 0
.LBB143_1776:
	s_andn2_b64 vcc, exec, s[8:9]
	s_cbranch_vccnz .LBB143_1785
; %bb.1777:
	v_mov_b32_e32 v0, 0x80
	v_cmp_lt_i16_sdwa s[8:9], s16, v0 src0_sel:BYTE_0 src1_sel:DWORD
	s_and_b64 vcc, exec, s[8:9]
	s_cbranch_vccnz .LBB143_1779
; %bb.1778:
	v_cmp_ne_u16_sdwa s[8:9], s16, v0 src0_sel:BYTE_0 src1_sel:DWORD
	s_mov_b64 s[10:11], 0
	s_mov_b32 s12, 0
	s_branch .LBB143_1780
.LBB143_1779:
	s_mov_b64 s[10:11], -1
	s_mov_b64 s[8:9], 0
                                        ; implicit-def: $sgpr12
.LBB143_1780:
	s_andn2_b64 vcc, exec, s[10:11]
	s_cbranch_vccnz .LBB143_1782
; %bb.1781:
	v_mov_b32_e32 v0, 0
	s_mov_b32 s12, 0
	v_cmp_ne_u16_sdwa s[8:9], s16, v0 src0_sel:BYTE_0 src1_sel:DWORD
.LBB143_1782:
	s_andn2_b64 vcc, exec, s[8:9]
	v_mov_b32_e32 v0, s12
	s_cbranch_vccnz .LBB143_1784
; %bb.1783:
	s_and_b32 s9, s16, 7
	s_flbit_i32_b32 s11, s9
	s_min_u32 s11, s11, 32
	v_lshrrev_b16_e64 v0, 3, s16
	s_sub_i32 s12, s11, 28
	v_readfirstlane_b32 s10, v0
	s_lshl_b32 s12, s16, s12
	s_lshl_b32 s8, s16, 24
	s_and_b32 s10, s10, 15
	s_sub_i32 s11, 29, s11
	s_and_b32 s12, s12, 7
	s_cmp_eq_u32 s10, 0
	s_cselect_b32 s10, s11, s10
	s_cselect_b32 s9, s12, s9
	s_lshl_b32 s10, s10, 23
	s_and_b32 s8, s8, 0x80000000
	s_add_i32 s10, s10, 0x3b800000
	s_lshl_b32 s9, s9, 20
	s_or_b32 s8, s8, s10
	s_or_b32 s8, s8, s9
	v_cvt_i32_f32_e32 v0, s8
.LBB143_1784:
	global_store_short v[8:9], v0, off
.LBB143_1785:
	s_mov_b64 s[8:9], 0
.LBB143_1786:
	s_andn2_b64 vcc, exec, s[8:9]
	s_cbranch_vccnz .LBB143_1805
; %bb.1787:
	v_mov_b32_e32 v0, 0
	v_cmp_gt_i16_sdwa s[10:11], s16, v0 src0_sel:BYTE_1 src1_sel:DWORD
	s_mov_b64 s[8:9], -1
	s_and_b64 vcc, exec, s[10:11]
	s_cbranch_vccz .LBB143_1796
; %bb.1788:
	v_mov_b32_e32 v0, 0x80
	v_cmp_lt_i16_sdwa s[8:9], s16, v0 src0_sel:BYTE_0 src1_sel:DWORD
	s_and_b64 vcc, exec, s[8:9]
	s_cbranch_vccnz .LBB143_1790
; %bb.1789:
	v_cmp_ne_u16_sdwa s[8:9], s16, v0 src0_sel:BYTE_0 src1_sel:DWORD
	s_mov_b64 s[10:11], 0
	s_mov_b32 s12, 0
	s_branch .LBB143_1791
.LBB143_1790:
	s_mov_b64 s[10:11], -1
	s_mov_b64 s[8:9], 0
                                        ; implicit-def: $sgpr12
.LBB143_1791:
	s_andn2_b64 vcc, exec, s[10:11]
	s_cbranch_vccnz .LBB143_1793
; %bb.1792:
	v_mov_b32_e32 v0, 0
	s_mov_b32 s12, 0
	v_cmp_ne_u16_sdwa s[8:9], s16, v0 src0_sel:BYTE_0 src1_sel:DWORD
.LBB143_1793:
	s_andn2_b64 vcc, exec, s[8:9]
	v_mov_b32_e32 v0, s12
	s_cbranch_vccnz .LBB143_1795
; %bb.1794:
	s_and_b32 s9, s16, 7
	s_flbit_i32_b32 s11, s9
	s_min_u32 s11, s11, 32
	v_lshrrev_b16_e64 v0, 3, s16
	s_sub_i32 s12, s11, 28
	v_readfirstlane_b32 s10, v0
	s_lshl_b32 s12, s16, s12
	s_lshl_b32 s8, s16, 24
	s_and_b32 s10, s10, 15
	s_sub_i32 s11, 29, s11
	s_and_b32 s12, s12, 7
	s_cmp_eq_u32 s10, 0
	s_cselect_b32 s10, s11, s10
	s_cselect_b32 s9, s12, s9
	s_lshl_b32 s10, s10, 23
	s_and_b32 s8, s8, 0x80000000
	s_add_i32 s10, s10, 0x3b800000
	s_lshl_b32 s9, s9, 20
	s_or_b32 s8, s8, s10
	s_or_b32 s8, s8, s9
	v_cvt_i32_f32_e32 v0, s8
.LBB143_1795:
	global_store_byte v[8:9], v0, off
	s_mov_b64 s[8:9], 0
.LBB143_1796:
	s_and_b64 vcc, exec, s[8:9]
	s_cbranch_vccz .LBB143_1805
; %bb.1797:
	v_mov_b32_e32 v0, 0x80
	v_cmp_lt_i16_sdwa s[8:9], s16, v0 src0_sel:BYTE_0 src1_sel:DWORD
	s_and_b64 vcc, exec, s[8:9]
	s_cbranch_vccnz .LBB143_1799
; %bb.1798:
	v_cmp_ne_u16_sdwa s[8:9], s16, v0 src0_sel:BYTE_0 src1_sel:DWORD
	s_mov_b64 s[10:11], 0
	s_mov_b32 s12, 0
	s_branch .LBB143_1800
.LBB143_1799:
	s_mov_b64 s[10:11], -1
	s_mov_b64 s[8:9], 0
                                        ; implicit-def: $sgpr12
.LBB143_1800:
	s_andn2_b64 vcc, exec, s[10:11]
	s_cbranch_vccnz .LBB143_1802
; %bb.1801:
	v_mov_b32_e32 v0, 0
	s_mov_b32 s12, 0
	v_cmp_ne_u16_sdwa s[8:9], s16, v0 src0_sel:BYTE_0 src1_sel:DWORD
.LBB143_1802:
	s_andn2_b64 vcc, exec, s[8:9]
	v_mov_b32_e32 v0, s12
	s_cbranch_vccnz .LBB143_1804
; %bb.1803:
	s_and_b32 s9, s16, 7
	s_flbit_i32_b32 s11, s9
	s_min_u32 s11, s11, 32
	v_lshrrev_b16_e64 v0, 3, s16
	s_sub_i32 s12, s11, 28
	v_readfirstlane_b32 s10, v0
	s_lshl_b32 s12, s16, s12
	s_lshl_b32 s8, s16, 24
	s_and_b32 s10, s10, 15
	s_sub_i32 s11, 29, s11
	s_and_b32 s12, s12, 7
	s_cmp_eq_u32 s10, 0
	s_cselect_b32 s10, s11, s10
	s_cselect_b32 s9, s12, s9
	s_lshl_b32 s10, s10, 23
	s_and_b32 s8, s8, 0x80000000
	s_add_i32 s10, s10, 0x3b800000
	s_lshl_b32 s9, s9, 20
	s_or_b32 s8, s8, s10
	s_or_b32 s8, s8, s9
	v_trunc_f32_e32 v0, s8
	s_mov_b32 s8, 0x2f800000
	v_mul_f32_e64 v1, |v0|, s8
	v_floor_f32_e32 v1, v1
	s_mov_b32 s8, 0xcf800000
	v_fma_f32 v1, v1, s8, |v0|
	v_cvt_u32_f32_e32 v1, v1
	v_ashrrev_i32_e32 v0, 31, v0
	v_xor_b32_e32 v1, v1, v0
	v_sub_u32_e32 v0, v1, v0
.LBB143_1804:
	global_store_byte v[8:9], v0, off
.LBB143_1805:
	s_branch .LBB143_1967
.LBB143_1806:
	s_mov_b64 s[8:9], -1
.LBB143_1807:
                                        ; implicit-def: $sgpr17
.LBB143_1808:
	s_and_b64 vcc, exec, s[12:13]
	s_cbranch_vccz .LBB143_1810
; %bb.1809:
	v_mov_b32_e32 v0, 0
	s_mov_b32 s17, 0
	v_cmp_ne_u16_sdwa s[8:9], s16, v0 src0_sel:BYTE_0 src1_sel:DWORD
.LBB143_1810:
	s_andn2_b64 vcc, exec, s[8:9]
	s_cbranch_vccnz .LBB143_1812
; %bb.1811:
	s_and_b32 s9, s16, 7
	s_flbit_i32_b32 s13, s9
	s_min_u32 s13, s13, 32
	v_lshrrev_b16_e64 v0, 3, s16
	s_sub_i32 s17, s13, 28
	v_readfirstlane_b32 s12, v0
	s_lshl_b32 s17, s16, s17
	s_lshl_b32 s8, s16, 24
	s_and_b32 s12, s12, 15
	s_sub_i32 s13, 29, s13
	s_and_b32 s17, s17, 7
	s_cmp_eq_u32 s12, 0
	s_cselect_b32 s12, s13, s12
	s_cselect_b32 s9, s17, s9
	s_lshl_b32 s12, s12, 23
	s_and_b32 s8, s8, 0x80000000
	s_add_i32 s12, s12, 0x3b800000
	s_lshl_b32 s9, s9, 20
	s_or_b32 s8, s8, s12
	s_or_b32 s17, s8, s9
.LBB143_1812:
	s_bfe_u32 s8, s17, 0x10010
	s_add_i32 s8, s17, s8
	s_addk_i32 s8, 0x7fff
	s_lshr_b32 s12, s8, 16
	v_cmp_o_f32_e64 s[8:9], s17, s17
	s_and_b64 s[8:9], s[8:9], exec
	s_cselect_b32 s8, s12, 0x7fc0
	v_mov_b32_e32 v0, s8
	global_store_dword v[8:9], v0, off
	s_mov_b64 s[8:9], 0
	s_mov_b64 s[12:13], -1
.LBB143_1813:
	s_and_b64 vcc, exec, s[14:15]
	s_cbranch_vccz .LBB143_1826
; %bb.1814:
	v_mov_b32_e32 v0, 44
	v_cmp_eq_u16_sdwa s[14:15], s16, v0 src0_sel:BYTE_1 src1_sel:DWORD
	s_mov_b64 s[8:9], -1
	s_and_b64 vcc, exec, s[14:15]
	s_cbranch_vccz .LBB143_1826
; %bb.1815:
	v_mov_b32_e32 v0, 0xff
	v_and_b32_e32 v0, s16, v0
	s_movk_i32 s8, 0x80
	v_cmp_gt_i16_e32 vcc, s8, v0
	v_readfirstlane_b32 s15, v0
	s_cbranch_vccnz .LBB143_1818
; %bb.1816:
	v_mov_b32_e32 v0, 0x80
	v_cmp_eq_u16_e32 vcc, s15, v0
	s_cbranch_vccz .LBB143_1819
; %bb.1817:
	s_mov_b64 s[8:9], 0
	s_mov_b32 s14, 0x7f800001
	s_branch .LBB143_1820
.LBB143_1818:
	s_mov_b64 s[12:13], -1
	s_mov_b64 s[8:9], 0
                                        ; implicit-def: $sgpr14
	s_branch .LBB143_1821
.LBB143_1819:
	s_mov_b64 s[8:9], -1
                                        ; implicit-def: $sgpr14
.LBB143_1820:
	s_mov_b64 s[12:13], 0
.LBB143_1821:
	s_and_b64 vcc, exec, s[12:13]
	s_cbranch_vccz .LBB143_1831
; %bb.1822:
	s_and_b32 s14, 0xffff, s15
	v_cmp_ne_u16_e64 s[8:9], s15, 0
	s_andn2_b64 vcc, exec, s[8:9]
	s_cbranch_vccz .LBB143_1832
.LBB143_1823:
	s_bfe_u32 s8, s14, 0x80017
	s_cmpk_eq_i32 s8, 0xff
	v_mov_b32_e32 v0, 0xff
	s_cbranch_scc1 .LBB143_1825
.LBB143_1824:
	s_lshr_b32 s15, s14, 23
	s_bitcmp1_b32 s14, 22
	s_cselect_b64 s[12:13], -1, 0
	s_and_b32 s9, s14, 0x3fffff
	s_or_b32 s8, s8, s9
	s_cmp_lg_u32 s8, 0
	s_cselect_b64 s[8:9], -1, 0
	s_and_b64 s[8:9], s[12:13], s[8:9]
	v_cndmask_b32_e64 v0, 0, 1, s[8:9]
	v_add_u32_e32 v0, s15, v0
.LBB143_1825:
	s_mov_b64 s[8:9], 0
	s_mov_b64 s[12:13], -1
	global_store_byte v[8:9], v0, off
.LBB143_1826:
	s_mov_b64 s[14:15], 0
.LBB143_1827:
	s_and_b64 vcc, exec, s[14:15]
	s_cbranch_vccz .LBB143_1839
; %bb.1828:
	v_mov_b32_e32 v0, 29
	v_cmp_eq_u16_sdwa s[14:15], s16, v0 src0_sel:BYTE_1 src1_sel:DWORD
	s_mov_b64 s[8:9], -1
	s_and_b64 vcc, exec, s[14:15]
	s_cbranch_vccz .LBB143_1839
; %bb.1829:
	v_mov_b32_e32 v0, 0x80
	v_cmp_lt_i16_sdwa s[8:9], s16, v0 src0_sel:BYTE_0 src1_sel:DWORD
	s_and_b64 vcc, exec, s[8:9]
	s_cbranch_vccnz .LBB143_1833
; %bb.1830:
	v_cmp_ne_u16_sdwa s[8:9], s16, v0 src0_sel:BYTE_0 src1_sel:DWORD
	s_mov_b64 s[14:15], 0
	s_mov_b64 s[12:13], 0
	s_branch .LBB143_1834
.LBB143_1831:
	s_andn2_b64 vcc, exec, s[8:9]
	s_cbranch_vccnz .LBB143_1823
.LBB143_1832:
	s_and_b32 s8, s16, 7
	s_flbit_i32_b32 s12, s8
	s_min_u32 s12, s12, 32
	v_lshrrev_b16_e64 v0, 3, s16
	s_sub_i32 s13, s12, 28
	v_readfirstlane_b32 s9, v0
	s_lshl_b32 s13, s16, s13
	s_and_b32 s9, s9, 15
	s_sub_i32 s12, 29, s12
	s_and_b32 s13, s13, 7
	s_cmp_eq_u32 s9, 0
	s_cselect_b32 s9, s12, s9
	s_cselect_b32 s8, s13, s8
	s_lshl_b32 s8, s8, 20
	s_lshl_b32 s9, s9, 23
	s_or_b32 s8, s9, s8
	s_add_i32 s14, s8, 0x3b800000
	s_bfe_u32 s8, s14, 0x80017
	s_cmpk_eq_i32 s8, 0xff
	v_mov_b32_e32 v0, 0xff
	s_cbranch_scc0 .LBB143_1824
	s_branch .LBB143_1825
.LBB143_1833:
	s_mov_b64 s[14:15], -1
	s_mov_b64 s[8:9], 0
                                        ; implicit-def: $sgpr12_sgpr13
.LBB143_1834:
	s_andn2_b64 vcc, exec, s[14:15]
	s_cbranch_vccnz .LBB143_1836
; %bb.1835:
	v_mov_b32_e32 v0, 0
	v_cmp_ne_u16_sdwa s[8:9], s16, v0 src0_sel:BYTE_0 src1_sel:DWORD
	s_mov_b64 s[12:13], 0
.LBB143_1836:
	s_andn2_b64 vcc, exec, s[8:9]
	v_pk_mov_b32 v[0:1], s[12:13], s[12:13] op_sel:[0,1]
	s_cbranch_vccnz .LBB143_1838
; %bb.1837:
	s_and_b32 s9, s16, 7
	s_flbit_i32_b32 s13, s9
	s_min_u32 s13, s13, 32
	v_lshrrev_b16_e64 v0, 3, s16
	s_sub_i32 s14, s13, 28
	v_readfirstlane_b32 s12, v0
	s_lshl_b32 s14, s16, s14
	s_lshl_b32 s8, s16, 24
	s_and_b32 s12, s12, 15
	s_sub_i32 s13, 29, s13
	s_and_b32 s14, s14, 7
	s_cmp_eq_u32 s12, 0
	s_cselect_b32 s12, s13, s12
	s_cselect_b32 s9, s14, s9
	s_lshl_b32 s12, s12, 23
	s_and_b32 s8, s8, 0x80000000
	s_add_i32 s12, s12, 0x3b800000
	s_lshl_b32 s9, s9, 20
	s_or_b32 s8, s8, s12
	s_or_b32 s8, s8, s9
	v_trunc_f32_e32 v0, s8
	v_mul_f32_e32 v1, 0x2f800000, v0
	v_floor_f32_e32 v1, v1
	v_fmac_f32_e32 v0, 0xcf800000, v1
	v_cvt_u32_f32_e32 v0, v0
	v_cvt_u32_f32_e32 v1, v1
.LBB143_1838:
	global_store_dwordx2 v[8:9], v[0:1], off
	s_mov_b64 s[8:9], 0
	s_mov_b64 s[12:13], -1
.LBB143_1839:
	s_mov_b64 s[14:15], 0
.LBB143_1840:
	s_and_b64 vcc, exec, s[14:15]
	s_cbranch_vccz .LBB143_1864
; %bb.1841:
	v_mov_b32_e32 v0, 27
	v_cmp_lt_i16_sdwa s[14:15], s16, v0 src0_sel:BYTE_1 src1_sel:DWORD
	s_mov_b64 s[12:13], -1
	s_and_b64 vcc, exec, s[14:15]
	s_cbranch_vccnz .LBB143_1861
; %bb.1842:
	v_cmp_gt_i16_sdwa s[14:15], s16, v0 src0_sel:BYTE_1 src1_sel:DWORD
	s_and_b64 vcc, exec, s[14:15]
	s_cbranch_vccz .LBB143_1851
; %bb.1843:
	v_mov_b32_e32 v0, 0x80
	v_cmp_lt_i16_sdwa s[12:13], s16, v0 src0_sel:BYTE_0 src1_sel:DWORD
	s_and_b64 vcc, exec, s[12:13]
	s_cbranch_vccnz .LBB143_1845
; %bb.1844:
	v_cmp_ne_u16_sdwa s[12:13], s16, v0 src0_sel:BYTE_0 src1_sel:DWORD
	s_mov_b64 s[14:15], 0
	s_mov_b32 s17, 0
	s_branch .LBB143_1846
.LBB143_1845:
	s_mov_b64 s[14:15], -1
	s_mov_b64 s[12:13], 0
                                        ; implicit-def: $sgpr17
.LBB143_1846:
	s_andn2_b64 vcc, exec, s[14:15]
	s_cbranch_vccnz .LBB143_1848
; %bb.1847:
	v_mov_b32_e32 v0, 0
	s_mov_b32 s17, 0
	v_cmp_ne_u16_sdwa s[12:13], s16, v0 src0_sel:BYTE_0 src1_sel:DWORD
.LBB143_1848:
	s_andn2_b64 vcc, exec, s[12:13]
	v_mov_b32_e32 v0, s17
	s_cbranch_vccnz .LBB143_1850
; %bb.1849:
	s_and_b32 s13, s16, 7
	s_flbit_i32_b32 s15, s13
	s_min_u32 s15, s15, 32
	v_lshrrev_b16_e64 v0, 3, s16
	s_sub_i32 s17, s15, 28
	v_readfirstlane_b32 s14, v0
	s_lshl_b32 s17, s16, s17
	s_lshl_b32 s12, s16, 24
	s_and_b32 s14, s14, 15
	s_sub_i32 s15, 29, s15
	s_and_b32 s17, s17, 7
	s_cmp_eq_u32 s14, 0
	s_cselect_b32 s14, s15, s14
	s_cselect_b32 s13, s17, s13
	s_lshl_b32 s14, s14, 23
	s_and_b32 s12, s12, 0x80000000
	s_add_i32 s14, s14, 0x3b800000
	s_lshl_b32 s13, s13, 20
	s_or_b32 s12, s12, s14
	s_or_b32 s12, s12, s13
	v_cvt_u32_f32_e32 v0, s12
.LBB143_1850:
	global_store_dword v[8:9], v0, off
	s_mov_b64 s[12:13], 0
.LBB143_1851:
	s_and_b64 vcc, exec, s[12:13]
	s_cbranch_vccz .LBB143_1860
; %bb.1852:
	v_mov_b32_e32 v0, 0x80
	v_cmp_lt_i16_sdwa s[12:13], s16, v0 src0_sel:BYTE_0 src1_sel:DWORD
	s_and_b64 vcc, exec, s[12:13]
	s_cbranch_vccnz .LBB143_1854
; %bb.1853:
	v_cmp_ne_u16_sdwa s[12:13], s16, v0 src0_sel:BYTE_0 src1_sel:DWORD
	s_mov_b64 s[14:15], 0
	s_mov_b32 s17, 0
	s_branch .LBB143_1855
.LBB143_1854:
	s_mov_b64 s[14:15], -1
	s_mov_b64 s[12:13], 0
                                        ; implicit-def: $sgpr17
.LBB143_1855:
	s_andn2_b64 vcc, exec, s[14:15]
	s_cbranch_vccnz .LBB143_1857
; %bb.1856:
	v_mov_b32_e32 v0, 0
	s_mov_b32 s17, 0
	v_cmp_ne_u16_sdwa s[12:13], s16, v0 src0_sel:BYTE_0 src1_sel:DWORD
.LBB143_1857:
	s_andn2_b64 vcc, exec, s[12:13]
	v_mov_b32_e32 v0, s17
	s_cbranch_vccnz .LBB143_1859
; %bb.1858:
	s_and_b32 s13, s16, 7
	s_flbit_i32_b32 s15, s13
	s_min_u32 s15, s15, 32
	v_lshrrev_b16_e64 v0, 3, s16
	s_sub_i32 s17, s15, 28
	v_readfirstlane_b32 s14, v0
	s_lshl_b32 s17, s16, s17
	s_lshl_b32 s12, s16, 24
	s_and_b32 s14, s14, 15
	s_sub_i32 s15, 29, s15
	s_and_b32 s17, s17, 7
	s_cmp_eq_u32 s14, 0
	s_cselect_b32 s14, s15, s14
	s_cselect_b32 s13, s17, s13
	s_lshl_b32 s14, s14, 23
	s_and_b32 s12, s12, 0x80000000
	s_add_i32 s14, s14, 0x3b800000
	s_lshl_b32 s13, s13, 20
	s_or_b32 s12, s12, s14
	s_or_b32 s12, s12, s13
	v_cvt_u32_f32_e32 v0, s12
.LBB143_1859:
	global_store_short v[8:9], v0, off
.LBB143_1860:
	s_mov_b64 s[12:13], 0
.LBB143_1861:
	s_andn2_b64 vcc, exec, s[12:13]
	s_cbranch_vccnz .LBB143_1863
; %bb.1862:
	v_mov_b32_e32 v0, s16
	global_store_byte v[8:9], v0, off
.LBB143_1863:
	s_mov_b64 s[12:13], -1
.LBB143_1864:
	s_mov_b64 s[14:15], 0
.LBB143_1865:
	s_and_b64 vcc, exec, s[14:15]
	s_cbranch_vccz .LBB143_1951
; %bb.1866:
	v_mov_b32_e32 v0, 22
	v_cmp_gt_i16_sdwa s[14:15], s16, v0 src0_sel:BYTE_1 src1_sel:DWORD
	s_mov_b64 s[10:11], -1
	s_and_b64 vcc, exec, s[14:15]
	s_cbranch_vccz .LBB143_1934
; %bb.1867:
	v_mov_b32_e32 v0, 24
	v_cmp_lt_i16_sdwa s[12:13], s16, v0 src0_sel:BYTE_1 src1_sel:DWORD
	s_and_b64 vcc, exec, s[12:13]
	s_cbranch_vccnz .LBB143_1911
; %bb.1868:
	v_cmp_gt_i16_sdwa s[12:13], s16, v0 src0_sel:BYTE_1 src1_sel:DWORD
	s_and_b64 vcc, exec, s[12:13]
	s_cbranch_vccz .LBB143_1888
; %bb.1869:
	v_mov_b32_e32 v0, 0x80
	v_cmp_lt_i16_sdwa s[10:11], s16, v0 src0_sel:BYTE_0 src1_sel:DWORD
	s_and_b64 vcc, exec, s[10:11]
	s_cbranch_vccnz .LBB143_1872
; %bb.1870:
	v_cmp_eq_u16_sdwa s[10:11], s16, v0 src0_sel:BYTE_0 src1_sel:DWORD
	s_and_b64 vcc, exec, s[10:11]
	s_cbranch_vccz .LBB143_1873
; %bb.1871:
	s_mov_b64 s[10:11], 0
	s_mov_b32 s14, 0x7f800001
	s_branch .LBB143_1874
.LBB143_1872:
	s_mov_b64 s[12:13], -1
	s_mov_b64 s[10:11], 0
                                        ; implicit-def: $sgpr14
	s_branch .LBB143_1875
.LBB143_1873:
	s_mov_b64 s[10:11], -1
                                        ; implicit-def: $sgpr14
.LBB143_1874:
	s_mov_b64 s[12:13], 0
.LBB143_1875:
	s_and_b64 vcc, exec, s[12:13]
	s_cbranch_vccz .LBB143_1878
; %bb.1876:
	v_mov_b32_e32 v0, 0
	s_mov_b32 s14, 0
	v_cmp_ne_u16_sdwa s[10:11], s16, v0 src0_sel:BYTE_0 src1_sel:DWORD
	s_andn2_b64 vcc, exec, s[10:11]
	s_cbranch_vccz .LBB143_1879
.LBB143_1877:
	s_and_b32 s10, s14, 0x7fffffff
	s_cmp_gt_u32 s10, 0x477fffff
	v_mov_b32_e32 v1, 0x80
	s_cbranch_scc0 .LBB143_1880
	s_branch .LBB143_1887
.LBB143_1878:
	s_andn2_b64 vcc, exec, s[10:11]
	s_cbranch_vccnz .LBB143_1877
.LBB143_1879:
	s_and_b32 s11, s16, 7
	s_flbit_i32_b32 s13, s11
	s_min_u32 s13, s13, 32
	v_lshrrev_b16_e64 v0, 3, s16
	s_sub_i32 s14, s13, 28
	v_readfirstlane_b32 s12, v0
	s_lshl_b32 s14, s16, s14
	s_lshl_b32 s10, s16, 24
	s_and_b32 s12, s12, 15
	s_sub_i32 s13, 29, s13
	s_and_b32 s14, s14, 7
	s_cmp_eq_u32 s12, 0
	s_cselect_b32 s12, s13, s12
	s_cselect_b32 s11, s14, s11
	s_lshl_b32 s12, s12, 23
	s_and_b32 s10, s10, 0x80000000
	s_add_i32 s12, s12, 0x3b800000
	s_lshl_b32 s11, s11, 20
	s_or_b32 s10, s10, s12
	s_or_b32 s14, s10, s11
	s_and_b32 s10, s14, 0x7fffffff
	s_cmp_gt_u32 s10, 0x477fffff
	v_mov_b32_e32 v1, 0x80
	s_cbranch_scc1 .LBB143_1887
.LBB143_1880:
	s_cmp_gt_u32 s10, 0x37ffffff
	s_cbranch_scc0 .LBB143_1882
; %bb.1881:
	s_bfe_u32 s10, s14, 0x10015
	s_add_i32 s10, s14, s10
	s_add_i32 s10, s10, 0x88fffff
	s_lshr_b32 s15, s10, 21
	s_mov_b64 s[12:13], 0
	s_mov_b64 s[10:11], -1
	s_branch .LBB143_1883
.LBB143_1882:
	s_mov_b64 s[12:13], -1
	s_mov_b64 s[10:11], 0
                                        ; implicit-def: $sgpr15
.LBB143_1883:
	s_andn2_b64 vcc, exec, s[12:13]
	v_mov_b32_e32 v0, s15
                                        ; implicit-def: $sgpr12
	s_cbranch_vccnz .LBB143_1885
; %bb.1884:
	v_mov_b32_e32 v0, 0x42800000
	v_add_f32_e64 v0, |s14|, v0
	v_and_b32_e32 v0, 0xff, v0
	s_mov_b32 s12, 0
	v_cmp_ne_u32_e64 s[10:11], 0, v0
.LBB143_1885:
	s_andn2_b64 vcc, exec, s[10:11]
	v_mov_b32_e32 v1, s12
	s_cbranch_vccnz .LBB143_1887
; %bb.1886:
	s_lshr_b32 s10, s14, 24
	s_and_b32 s10, s10, 0x80
	v_or_b32_e32 v1, s10, v0
.LBB143_1887:
	global_store_byte v[8:9], v1, off
	s_mov_b64 s[10:11], 0
.LBB143_1888:
	s_and_b64 vcc, exec, s[10:11]
	s_cbranch_vccz .LBB143_1910
; %bb.1889:
	v_mov_b32_e32 v0, 0x80
	v_cmp_lt_i16_sdwa s[10:11], s16, v0 src0_sel:BYTE_0 src1_sel:DWORD
	s_and_b64 vcc, exec, s[10:11]
	s_cbranch_vccnz .LBB143_1892
; %bb.1890:
	v_cmp_eq_u16_sdwa s[10:11], s16, v0 src0_sel:BYTE_0 src1_sel:DWORD
	s_and_b64 vcc, exec, s[10:11]
	s_cbranch_vccz .LBB143_1893
; %bb.1891:
	s_mov_b64 s[10:11], 0
	s_mov_b32 s14, 0x7f800001
	s_branch .LBB143_1894
.LBB143_1892:
	s_mov_b64 s[12:13], -1
	s_mov_b64 s[10:11], 0
                                        ; implicit-def: $sgpr14
	s_branch .LBB143_1895
.LBB143_1893:
	s_mov_b64 s[10:11], -1
                                        ; implicit-def: $sgpr14
.LBB143_1894:
	s_mov_b64 s[12:13], 0
.LBB143_1895:
	s_and_b64 vcc, exec, s[12:13]
	s_cbranch_vccz .LBB143_1900
; %bb.1896:
	v_mov_b32_e32 v0, 0
	s_mov_b32 s14, 0
	v_cmp_ne_u16_sdwa s[10:11], s16, v0 src0_sel:BYTE_0 src1_sel:DWORD
	s_andn2_b64 vcc, exec, s[10:11]
	s_cbranch_vccz .LBB143_1901
.LBB143_1897:
	s_and_b32 s12, s14, 0x7fffffff
	s_cmp_lt_u32 s12, 0x43f00000
	s_cbranch_scc0 .LBB143_1902
.LBB143_1898:
	s_cmp_gt_u32 s12, 0x3c7fffff
	s_cbranch_scc0 .LBB143_1903
; %bb.1899:
	s_bfe_u32 s10, s14, 0x10014
	s_add_i32 s10, s14, s10
	s_add_i32 s10, s10, 0x407ffff
	s_lshr_b32 s11, s10, 20
	s_and_b32 s10, s10, 0xff00000
	s_cmp_lg_u32 s10, 0x7f00000
	s_cselect_b32 s13, s11, 0x7e
	s_mov_b64 s[10:11], 0
	s_branch .LBB143_1904
.LBB143_1900:
	s_andn2_b64 vcc, exec, s[10:11]
	s_cbranch_vccnz .LBB143_1897
.LBB143_1901:
	s_and_b32 s11, s16, 7
	s_flbit_i32_b32 s13, s11
	s_min_u32 s13, s13, 32
	v_lshrrev_b16_e64 v0, 3, s16
	s_sub_i32 s14, s13, 28
	v_readfirstlane_b32 s12, v0
	s_lshl_b32 s14, s16, s14
	s_lshl_b32 s10, s16, 24
	s_and_b32 s12, s12, 15
	s_sub_i32 s13, 29, s13
	s_and_b32 s14, s14, 7
	s_cmp_eq_u32 s12, 0
	s_cselect_b32 s12, s13, s12
	s_cselect_b32 s11, s14, s11
	s_lshl_b32 s12, s12, 23
	s_and_b32 s10, s10, 0x80000000
	s_add_i32 s12, s12, 0x3b800000
	s_lshl_b32 s11, s11, 20
	s_or_b32 s10, s10, s12
	s_or_b32 s14, s10, s11
	s_and_b32 s12, s14, 0x7fffffff
	s_cmp_lt_u32 s12, 0x43f00000
	s_cbranch_scc1 .LBB143_1898
.LBB143_1902:
	s_mov_b64 s[10:11], -1
                                        ; implicit-def: $vgpr0
	s_branch .LBB143_1907
.LBB143_1903:
	s_mov_b64 s[10:11], -1
                                        ; implicit-def: $sgpr13
.LBB143_1904:
	s_andn2_b64 vcc, exec, s[10:11]
	v_mov_b32_e32 v0, s13
	s_cbranch_vccnz .LBB143_1906
; %bb.1905:
	v_mov_b32_e32 v0, 0x46800000
	v_add_f32_e64 v0, |s14|, v0
.LBB143_1906:
	s_mov_b64 s[10:11], 0
.LBB143_1907:
	s_andn2_b64 vcc, exec, s[10:11]
	s_cbranch_vccnz .LBB143_1909
; %bb.1908:
	s_cmp_gt_u32 s12, 0x7f800000
	s_movk_i32 s10, 0x7f
	s_cselect_b32 s10, s10, 0x7e
	v_mov_b32_e32 v0, s10
.LBB143_1909:
	s_lshr_b32 s10, s14, 24
	s_and_b32 s10, s10, 0x80
	v_or_b32_e32 v0, s10, v0
	global_store_byte v[8:9], v0, off
.LBB143_1910:
	s_mov_b64 s[10:11], 0
.LBB143_1911:
	s_andn2_b64 vcc, exec, s[10:11]
	s_cbranch_vccnz .LBB143_1933
; %bb.1912:
	v_mov_b32_e32 v0, 0x80
	v_cmp_lt_i16_sdwa s[10:11], s16, v0 src0_sel:BYTE_0 src1_sel:DWORD
	s_and_b64 vcc, exec, s[10:11]
	s_cbranch_vccnz .LBB143_1915
; %bb.1913:
	v_cmp_eq_u16_sdwa s[10:11], s16, v0 src0_sel:BYTE_0 src1_sel:DWORD
	s_and_b64 vcc, exec, s[10:11]
	s_cbranch_vccz .LBB143_1916
; %bb.1914:
	s_mov_b64 s[10:11], 0
	s_mov_b32 s14, 0x7f800001
	s_branch .LBB143_1917
.LBB143_1915:
	s_mov_b64 s[12:13], -1
	s_mov_b64 s[10:11], 0
                                        ; implicit-def: $sgpr14
	s_branch .LBB143_1918
.LBB143_1916:
	s_mov_b64 s[10:11], -1
                                        ; implicit-def: $sgpr14
.LBB143_1917:
	s_mov_b64 s[12:13], 0
.LBB143_1918:
	s_and_b64 vcc, exec, s[12:13]
	s_cbranch_vccz .LBB143_1923
; %bb.1919:
	v_mov_b32_e32 v0, 0
	s_mov_b32 s14, 0
	v_cmp_ne_u16_sdwa s[10:11], s16, v0 src0_sel:BYTE_0 src1_sel:DWORD
	s_andn2_b64 vcc, exec, s[10:11]
	s_cbranch_vccz .LBB143_1924
.LBB143_1920:
	s_and_b32 s12, s14, 0x7fffffff
	s_cmp_lt_u32 s12, 0x47800000
	s_cbranch_scc0 .LBB143_1925
.LBB143_1921:
	s_cmp_gt_u32 s12, 0x387fffff
	s_cbranch_scc0 .LBB143_1926
; %bb.1922:
	s_bfe_u32 s10, s14, 0x10015
	s_add_i32 s10, s14, s10
	s_add_i32 s10, s10, 0x80fffff
	s_lshr_b32 s13, s10, 21
	s_mov_b64 s[10:11], 0
	s_branch .LBB143_1927
.LBB143_1923:
	s_andn2_b64 vcc, exec, s[10:11]
	s_cbranch_vccnz .LBB143_1920
.LBB143_1924:
	s_and_b32 s11, s16, 7
	s_flbit_i32_b32 s13, s11
	s_min_u32 s13, s13, 32
	v_lshrrev_b16_e64 v0, 3, s16
	s_sub_i32 s14, s13, 28
	v_readfirstlane_b32 s12, v0
	s_lshl_b32 s14, s16, s14
	s_lshl_b32 s10, s16, 24
	s_and_b32 s12, s12, 15
	s_sub_i32 s13, 29, s13
	s_and_b32 s14, s14, 7
	s_cmp_eq_u32 s12, 0
	s_cselect_b32 s12, s13, s12
	s_cselect_b32 s11, s14, s11
	s_lshl_b32 s12, s12, 23
	s_and_b32 s10, s10, 0x80000000
	s_add_i32 s12, s12, 0x3b800000
	s_lshl_b32 s11, s11, 20
	s_or_b32 s10, s10, s12
	s_or_b32 s14, s10, s11
	s_and_b32 s12, s14, 0x7fffffff
	s_cmp_lt_u32 s12, 0x47800000
	s_cbranch_scc1 .LBB143_1921
.LBB143_1925:
	s_mov_b64 s[10:11], -1
                                        ; implicit-def: $vgpr0
	s_branch .LBB143_1930
.LBB143_1926:
	s_mov_b64 s[10:11], -1
                                        ; implicit-def: $sgpr13
.LBB143_1927:
	s_andn2_b64 vcc, exec, s[10:11]
	v_mov_b32_e32 v0, s13
	s_cbranch_vccnz .LBB143_1929
; %bb.1928:
	v_mov_b32_e32 v0, 0x43000000
	v_add_f32_e64 v0, |s14|, v0
.LBB143_1929:
	s_mov_b64 s[10:11], 0
.LBB143_1930:
	s_andn2_b64 vcc, exec, s[10:11]
	s_cbranch_vccnz .LBB143_1932
; %bb.1931:
	s_cmp_gt_u32 s12, 0x7f800000
	s_movk_i32 s10, 0x7f
	s_cselect_b32 s10, s10, 0x7c
	v_mov_b32_e32 v0, s10
.LBB143_1932:
	s_lshr_b32 s10, s14, 24
	s_and_b32 s10, s10, 0x80
	v_or_b32_e32 v0, s10, v0
	global_store_byte v[8:9], v0, off
.LBB143_1933:
	s_mov_b64 s[10:11], 0
	s_mov_b64 s[12:13], -1
.LBB143_1934:
	s_andn2_b64 vcc, exec, s[10:11]
	s_mov_b64 s[10:11], 0
	s_cbranch_vccnz .LBB143_1951
; %bb.1935:
	v_mov_b32_e32 v0, 14
	v_cmp_gt_i16_sdwa s[10:11], s16, v0 src0_sel:BYTE_1 src1_sel:DWORD
	s_mov_b64 s[14:15], -1
	s_and_b64 vcc, exec, s[10:11]
	s_cbranch_vccz .LBB143_1949
; %bb.1936:
	v_mov_b32_e32 v0, 15
	v_cmp_eq_u16_sdwa s[10:11], s16, v0 src0_sel:BYTE_1 src1_sel:DWORD
	s_mov_b64 s[8:9], -1
	s_and_b64 vcc, exec, s[10:11]
	s_cbranch_vccz .LBB143_1948
; %bb.1937:
	v_mov_b32_e32 v0, 0x80
	v_cmp_lt_i16_sdwa s[8:9], s16, v0 src0_sel:BYTE_0 src1_sel:DWORD
	s_and_b64 vcc, exec, s[8:9]
	s_cbranch_vccnz .LBB143_1940
; %bb.1938:
	v_cmp_eq_u16_sdwa s[8:9], s16, v0 src0_sel:BYTE_0 src1_sel:DWORD
	s_and_b64 vcc, exec, s[8:9]
	s_cbranch_vccz .LBB143_1941
; %bb.1939:
	s_mov_b64 s[8:9], 0
	s_mov_b32 s12, 0x7f800001
	s_branch .LBB143_1942
.LBB143_1940:
	s_mov_b64 s[10:11], -1
	s_mov_b64 s[8:9], 0
                                        ; implicit-def: $sgpr12
	s_branch .LBB143_1943
.LBB143_1941:
	s_mov_b64 s[8:9], -1
                                        ; implicit-def: $sgpr12
.LBB143_1942:
	s_mov_b64 s[10:11], 0
.LBB143_1943:
	s_and_b64 vcc, exec, s[10:11]
	s_cbranch_vccz .LBB143_1945
; %bb.1944:
	v_mov_b32_e32 v0, 0
	s_mov_b32 s12, 0
	v_cmp_ne_u16_sdwa s[8:9], s16, v0 src0_sel:BYTE_0 src1_sel:DWORD
.LBB143_1945:
	s_andn2_b64 vcc, exec, s[8:9]
	s_cbranch_vccnz .LBB143_1947
; %bb.1946:
	s_and_b32 s9, s16, 7
	s_flbit_i32_b32 s11, s9
	s_min_u32 s11, s11, 32
	v_lshrrev_b16_e64 v0, 3, s16
	s_sub_i32 s12, s11, 28
	v_readfirstlane_b32 s10, v0
	s_lshl_b32 s12, s16, s12
	s_lshl_b32 s8, s16, 24
	s_and_b32 s10, s10, 15
	s_sub_i32 s11, 29, s11
	s_and_b32 s12, s12, 7
	s_cmp_eq_u32 s10, 0
	s_cselect_b32 s10, s11, s10
	s_cselect_b32 s9, s12, s9
	s_lshl_b32 s10, s10, 23
	s_and_b32 s8, s8, 0x80000000
	s_add_i32 s10, s10, 0x3b800000
	s_lshl_b32 s9, s9, 20
	s_or_b32 s8, s8, s10
	s_or_b32 s12, s8, s9
.LBB143_1947:
	s_bfe_u32 s8, s12, 0x10010
	s_add_i32 s8, s12, s8
	s_addk_i32 s8, 0x7fff
	s_lshr_b32 s10, s8, 16
	v_cmp_o_f32_e64 s[8:9], s12, s12
	s_and_b64 s[8:9], s[8:9], exec
	s_cselect_b32 s8, s10, 0x7fc0
	v_mov_b32_e32 v0, s8
	global_store_short v[8:9], v0, off
	s_mov_b64 s[8:9], 0
	s_mov_b64 s[12:13], -1
.LBB143_1948:
	s_mov_b64 s[14:15], 0
.LBB143_1949:
	s_mov_b64 s[10:11], 0
	s_and_b64 vcc, exec, s[14:15]
	s_cbranch_vccz .LBB143_1951
; %bb.1950:
	v_mov_b32_e32 v0, 11
	v_cmp_ne_u16_sdwa s[8:9], s16, v0 src0_sel:BYTE_1 src1_sel:DWORD
	s_mov_b64 s[10:11], -1
.LBB143_1951:
	s_and_b64 vcc, exec, s[8:9]
	s_cbranch_vccnz .LBB143_1964
; %bb.1952:
	s_andn2_b64 vcc, exec, s[10:11]
	s_cbranch_vccnz .LBB143_1965
.LBB143_1953:
	v_mov_b32_e32 v0, 0x80
	v_cmp_lt_i16_sdwa s[8:9], s16, v0 src0_sel:BYTE_0 src1_sel:DWORD
	s_and_b64 vcc, exec, s[8:9]
	s_cbranch_vccnz .LBB143_1956
; %bb.1954:
	v_cmp_eq_u16_sdwa s[8:9], s16, v0 src0_sel:BYTE_0 src1_sel:DWORD
	s_and_b64 vcc, exec, s[8:9]
	s_cbranch_vccz .LBB143_1957
; %bb.1955:
	s_mov_b64 s[10:11], 0
	s_mov_b64 s[8:9], -1
	s_branch .LBB143_1958
.LBB143_1956:
	s_mov_b64 s[12:13], -1
	s_mov_b64 s[10:11], 0
                                        ; implicit-def: $sgpr8_sgpr9
	s_branch .LBB143_1959
.LBB143_1957:
	s_mov_b64 s[10:11], -1
                                        ; implicit-def: $sgpr8_sgpr9
.LBB143_1958:
	s_mov_b64 s[12:13], 0
.LBB143_1959:
	s_and_b64 vcc, exec, s[12:13]
	s_cbranch_vccz .LBB143_1961
; %bb.1960:
	v_mov_b32_e32 v0, 0
	v_cmp_ne_u16_sdwa s[10:11], s16, v0 src0_sel:BYTE_0 src1_sel:DWORD
	s_mov_b64 s[8:9], 0
.LBB143_1961:
	s_andn2_b64 vcc, exec, s[10:11]
	s_cbranch_vccnz .LBB143_1963
; %bb.1962:
	s_and_b32 s8, s16, 7
	s_flbit_i32_b32 s10, s8
	s_min_u32 s10, s10, 32
	v_lshrrev_b16_e64 v0, 3, s16
	s_sub_i32 s11, s10, 28
	v_readfirstlane_b32 s9, v0
	s_lshl_b32 s11, s16, s11
	s_and_b32 s9, s9, 15
	s_sub_i32 s10, 29, s10
	s_and_b32 s11, s11, 7
	s_cmp_eq_u32 s9, 0
	s_cselect_b32 s9, s10, s9
	s_cselect_b32 s8, s11, s8
	s_lshl_b32 s9, s9, 23
	s_add_i32 s9, s9, 0x3b800000
	s_lshl_b32 s8, s8, 20
	s_and_b32 s9, s9, 0x7f800000
	s_or_b32 s8, s9, s8
	s_cmp_lg_u32 s8, 0
	s_cselect_b64 s[8:9], -1, 0
.LBB143_1963:
	v_cndmask_b32_e64 v0, 0, 1, s[8:9]
	global_store_byte v[8:9], v0, off
	s_mov_b64 s[12:13], -1
	s_branch .LBB143_1966
.LBB143_1964:
	s_trap 2
	s_or_b64 s[0:1], s[0:1], exec
	s_cbranch_execz .LBB143_1953
.LBB143_1965:
.LBB143_1966:
	s_andn2_b64 vcc, exec, s[12:13]
	s_cbranch_vccnz .LBB143_2286
.LBB143_1967:
	v_mov_b32_e32 v0, s3
	v_add_co_u32_e32 v6, vcc, s2, v6
	v_addc_co_u32_e32 v7, vcc, 0, v0, vcc
	v_mov_b32_e32 v0, 11
	v_cmp_lt_i16_sdwa s[8:9], s16, v0 src0_sel:BYTE_1 src1_sel:DWORD
	s_and_b64 vcc, exec, s[8:9]
	s_cbranch_vccnz .LBB143_1976
; %bb.1968:
	v_mov_b32_e32 v0, 25
	v_cmp_gt_i16_sdwa s[8:9], s16, v0 src0_sel:BYTE_1 src1_sel:DWORD
	s_mov_b64 s[14:15], -1
	s_mov_b64 s[10:11], 0
	s_and_b64 vcc, exec, s[8:9]
	s_mov_b64 s[12:13], 0
	s_mov_b64 s[8:9], 0
	s_cbranch_vccz .LBB143_2052
; %bb.1969:
	v_mov_b32_e32 v0, 28
	v_cmp_gt_i16_sdwa s[8:9], s16, v0 src0_sel:BYTE_1 src1_sel:DWORD
	s_and_b64 vcc, exec, s[8:9]
	s_cbranch_vccz .LBB143_1988
; %bb.1970:
	v_mov_b32_e32 v0, 43
	v_cmp_gt_i16_sdwa s[8:9], s16, v0 src0_sel:BYTE_1 src1_sel:DWORD
	s_and_b64 vcc, exec, s[8:9]
	;; [unrolled: 5-line block ×3, first 2 shown]
	s_cbranch_vccz .LBB143_1990
; %bb.1972:
	v_mov_b32_e32 v0, 46
	v_cmp_eq_u16_sdwa s[12:13], s16, v0 src0_sel:BYTE_1 src1_sel:DWORD
	s_mov_b64 s[8:9], -1
	s_mov_b64 s[14:15], 0
	s_and_b64 vcc, exec, s[12:13]
	s_mov_b64 s[12:13], 0
	s_cbranch_vccz .LBB143_1999
; %bb.1973:
	v_mov_b32_e32 v0, 0x80
	v_cmp_lt_i16_sdwa s[8:9], s16, v0 src0_sel:BYTE_0 src1_sel:DWORD
	s_and_b64 vcc, exec, s[8:9]
	s_cbranch_vccnz .LBB143_1991
; %bb.1974:
	v_cmp_eq_u16_sdwa s[8:9], s16, v0 src0_sel:BYTE_0 src1_sel:DWORD
	s_and_b64 vcc, exec, s[8:9]
	s_cbranch_vccz .LBB143_1992
; %bb.1975:
	s_mov_b64 s[8:9], 0
	s_mov_b32 s17, 0x7f800001
	s_branch .LBB143_1994
.LBB143_1976:
	s_mov_b64 s[12:13], 0
	s_cbranch_execnz .LBB143_2152
.LBB143_1977:
	s_andn2_b64 vcc, exec, s[12:13]
	s_cbranch_vccnz .LBB143_2286
.LBB143_1978:
	s_load_dword s4, s[4:5], 0x118
	v_mov_b32_e32 v0, s3
	v_add_co_u32_e32 v4, vcc, s2, v4
	v_addc_co_u32_e32 v5, vcc, 0, v0, vcc
	s_waitcnt lgkmcnt(0)
	v_lshrrev_b16_e64 v6, 8, s4
	v_cmp_gt_i16_e32 vcc, 11, v6
	s_cbranch_vccnz .LBB143_1987
; %bb.1979:
	v_cmp_lt_i16_e32 vcc, 25, v6
	s_mov_b64 s[8:9], -1
	s_mov_b64 s[4:5], 0
	s_mov_b64 s[2:3], 0
	s_cbranch_vccz .LBB143_2492
; %bb.1980:
	v_cmp_lt_i16_e32 vcc, 28, v6
	s_cbranch_vccz .LBB143_2468
; %bb.1981:
	v_cmp_lt_i16_e32 vcc, 43, v6
	;; [unrolled: 3-line block ×3, first 2 shown]
	s_cbranch_vccz .LBB143_2441
; %bb.1983:
	v_cmp_eq_u16_e32 vcc, 46, v6
	s_mov_b64 s[2:3], -1
	s_cbranch_vccz .LBB143_2440
; %bb.1984:
	v_mov_b32_e32 v0, 0x80
	v_cmp_lt_i16_sdwa s[2:3], s16, v0 src0_sel:BYTE_0 src1_sel:DWORD
	s_and_b64 vcc, exec, s[2:3]
	s_cbranch_vccnz .LBB143_2005
; %bb.1985:
	v_cmp_eq_u16_sdwa s[2:3], s16, v0 src0_sel:BYTE_0 src1_sel:DWORD
	s_and_b64 vcc, exec, s[2:3]
	s_cbranch_vccz .LBB143_2433
; %bb.1986:
	s_mov_b64 s[2:3], 0
	s_mov_b32 s10, 0x7f800001
	s_branch .LBB143_2434
.LBB143_1987:
	s_mov_b64 s[4:5], 0
	s_mov_b64 s[2:3], -1
	s_branch .LBB143_2287
.LBB143_1988:
	s_mov_b64 s[8:9], 0
	s_branch .LBB143_2027
.LBB143_1989:
	s_mov_b64 s[8:9], 0
	s_branch .LBB143_2014
.LBB143_1990:
	s_mov_b64 s[8:9], 0
	s_branch .LBB143_1999
.LBB143_1991:
	s_mov_b64 s[12:13], -1
	s_mov_b64 s[8:9], 0
	s_branch .LBB143_1993
.LBB143_1992:
	s_mov_b64 s[8:9], -1
.LBB143_1993:
                                        ; implicit-def: $sgpr17
.LBB143_1994:
	s_and_b64 vcc, exec, s[12:13]
	s_cbranch_vccz .LBB143_1996
; %bb.1995:
	v_mov_b32_e32 v0, 0
	s_mov_b32 s17, 0
	v_cmp_ne_u16_sdwa s[8:9], s16, v0 src0_sel:BYTE_0 src1_sel:DWORD
.LBB143_1996:
	s_andn2_b64 vcc, exec, s[8:9]
	s_cbranch_vccnz .LBB143_1998
; %bb.1997:
	s_and_b32 s9, s16, 7
	s_flbit_i32_b32 s13, s9
	s_min_u32 s13, s13, 32
	v_lshrrev_b16_e64 v0, 3, s16
	s_sub_i32 s17, s13, 28
	v_readfirstlane_b32 s12, v0
	s_lshl_b32 s17, s16, s17
	s_lshl_b32 s8, s16, 24
	s_and_b32 s12, s12, 15
	s_sub_i32 s13, 29, s13
	s_and_b32 s17, s17, 7
	s_cmp_eq_u32 s12, 0
	s_cselect_b32 s12, s13, s12
	s_cselect_b32 s9, s17, s9
	s_lshl_b32 s12, s12, 23
	s_and_b32 s8, s8, 0x80000000
	s_add_i32 s12, s12, 0x3b800000
	s_lshl_b32 s9, s9, 20
	s_or_b32 s8, s8, s12
	s_or_b32 s17, s8, s9
.LBB143_1998:
	s_bfe_u32 s8, s17, 0x10010
	s_add_i32 s8, s17, s8
	s_addk_i32 s8, 0x7fff
	s_lshr_b32 s12, s8, 16
	v_cmp_o_f32_e64 s[8:9], s17, s17
	s_and_b64 s[8:9], s[8:9], exec
	s_cselect_b32 s8, s12, 0x7fc0
	v_mov_b32_e32 v0, s8
	global_store_dword v[6:7], v0, off
	s_mov_b64 s[8:9], 0
	s_mov_b64 s[12:13], -1
.LBB143_1999:
	s_and_b64 vcc, exec, s[14:15]
	s_cbranch_vccz .LBB143_2013
; %bb.2000:
	v_mov_b32_e32 v0, 44
	v_cmp_eq_u16_sdwa s[14:15], s16, v0 src0_sel:BYTE_1 src1_sel:DWORD
	s_mov_b64 s[8:9], -1
	s_and_b64 vcc, exec, s[14:15]
	s_cbranch_vccz .LBB143_2013
; %bb.2001:
	v_mov_b32_e32 v0, 0xff
	v_and_b32_e32 v0, s16, v0
	s_movk_i32 s8, 0x80
	v_cmp_gt_i16_e32 vcc, s8, v0
	v_readfirstlane_b32 s15, v0
	s_cbranch_vccnz .LBB143_2004
; %bb.2002:
	v_mov_b32_e32 v0, 0x80
	v_cmp_eq_u16_e32 vcc, s15, v0
	s_cbranch_vccz .LBB143_2006
; %bb.2003:
	s_mov_b64 s[8:9], 0
	s_mov_b32 s14, 0x7f800001
	s_branch .LBB143_2007
.LBB143_2004:
	s_mov_b64 s[12:13], -1
	s_mov_b64 s[8:9], 0
                                        ; implicit-def: $sgpr14
	s_branch .LBB143_2008
.LBB143_2005:
	s_mov_b64 s[2:3], 0
                                        ; implicit-def: $sgpr10
	s_branch .LBB143_2435
.LBB143_2006:
	s_mov_b64 s[8:9], -1
                                        ; implicit-def: $sgpr14
.LBB143_2007:
	s_mov_b64 s[12:13], 0
.LBB143_2008:
	s_and_b64 vcc, exec, s[12:13]
	s_cbranch_vccz .LBB143_2018
; %bb.2009:
	s_and_b32 s14, 0xffff, s15
	v_cmp_ne_u16_e64 s[8:9], s15, 0
	s_andn2_b64 vcc, exec, s[8:9]
	s_cbranch_vccz .LBB143_2019
.LBB143_2010:
	s_bfe_u32 s8, s14, 0x80017
	s_cmpk_eq_i32 s8, 0xff
	v_mov_b32_e32 v0, 0xff
	s_cbranch_scc1 .LBB143_2012
.LBB143_2011:
	s_lshr_b32 s15, s14, 23
	s_bitcmp1_b32 s14, 22
	s_cselect_b64 s[12:13], -1, 0
	s_and_b32 s9, s14, 0x3fffff
	s_or_b32 s8, s8, s9
	s_cmp_lg_u32 s8, 0
	s_cselect_b64 s[8:9], -1, 0
	s_and_b64 s[8:9], s[12:13], s[8:9]
	v_cndmask_b32_e64 v0, 0, 1, s[8:9]
	v_add_u32_e32 v0, s15, v0
.LBB143_2012:
	s_mov_b64 s[8:9], 0
	s_mov_b64 s[12:13], -1
	global_store_byte v[6:7], v0, off
.LBB143_2013:
	s_mov_b64 s[14:15], 0
.LBB143_2014:
	s_and_b64 vcc, exec, s[14:15]
	s_cbranch_vccz .LBB143_2026
; %bb.2015:
	v_mov_b32_e32 v0, 29
	v_cmp_eq_u16_sdwa s[14:15], s16, v0 src0_sel:BYTE_1 src1_sel:DWORD
	s_mov_b64 s[8:9], -1
	s_and_b64 vcc, exec, s[14:15]
	s_cbranch_vccz .LBB143_2026
; %bb.2016:
	v_mov_b32_e32 v0, 0x80
	v_cmp_lt_i16_sdwa s[8:9], s16, v0 src0_sel:BYTE_0 src1_sel:DWORD
	s_and_b64 vcc, exec, s[8:9]
	s_cbranch_vccnz .LBB143_2020
; %bb.2017:
	v_cmp_ne_u16_sdwa s[8:9], s16, v0 src0_sel:BYTE_0 src1_sel:DWORD
	s_mov_b64 s[14:15], 0
	s_mov_b64 s[12:13], 0
	s_branch .LBB143_2021
.LBB143_2018:
	s_andn2_b64 vcc, exec, s[8:9]
	s_cbranch_vccnz .LBB143_2010
.LBB143_2019:
	s_and_b32 s8, s16, 7
	s_flbit_i32_b32 s12, s8
	s_min_u32 s12, s12, 32
	v_lshrrev_b16_e64 v0, 3, s16
	s_sub_i32 s13, s12, 28
	v_readfirstlane_b32 s9, v0
	s_lshl_b32 s13, s16, s13
	s_and_b32 s9, s9, 15
	s_sub_i32 s12, 29, s12
	s_and_b32 s13, s13, 7
	s_cmp_eq_u32 s9, 0
	s_cselect_b32 s9, s12, s9
	s_cselect_b32 s8, s13, s8
	s_lshl_b32 s8, s8, 20
	s_lshl_b32 s9, s9, 23
	s_or_b32 s8, s9, s8
	s_add_i32 s14, s8, 0x3b800000
	s_bfe_u32 s8, s14, 0x80017
	s_cmpk_eq_i32 s8, 0xff
	v_mov_b32_e32 v0, 0xff
	s_cbranch_scc0 .LBB143_2011
	s_branch .LBB143_2012
.LBB143_2020:
	s_mov_b64 s[14:15], -1
	s_mov_b64 s[8:9], 0
                                        ; implicit-def: $sgpr12_sgpr13
.LBB143_2021:
	s_andn2_b64 vcc, exec, s[14:15]
	s_cbranch_vccnz .LBB143_2023
; %bb.2022:
	v_mov_b32_e32 v0, 0
	v_cmp_ne_u16_sdwa s[8:9], s16, v0 src0_sel:BYTE_0 src1_sel:DWORD
	s_mov_b64 s[12:13], 0
.LBB143_2023:
	s_andn2_b64 vcc, exec, s[8:9]
	v_pk_mov_b32 v[0:1], s[12:13], s[12:13] op_sel:[0,1]
	s_cbranch_vccnz .LBB143_2025
; %bb.2024:
	s_and_b32 s9, s16, 7
	s_flbit_i32_b32 s13, s9
	s_min_u32 s13, s13, 32
	v_lshrrev_b16_e64 v0, 3, s16
	s_sub_i32 s14, s13, 28
	v_readfirstlane_b32 s12, v0
	s_lshl_b32 s14, s16, s14
	s_lshl_b32 s8, s16, 24
	s_and_b32 s12, s12, 15
	s_sub_i32 s13, 29, s13
	s_and_b32 s14, s14, 7
	s_cmp_eq_u32 s12, 0
	s_cselect_b32 s12, s13, s12
	s_cselect_b32 s9, s14, s9
	s_lshl_b32 s12, s12, 23
	s_and_b32 s8, s8, 0x80000000
	s_add_i32 s12, s12, 0x3b800000
	s_lshl_b32 s9, s9, 20
	s_or_b32 s8, s8, s12
	s_or_b32 s8, s8, s9
	v_trunc_f32_e32 v0, s8
	v_mul_f32_e32 v1, 0x2f800000, v0
	v_floor_f32_e32 v1, v1
	v_fmac_f32_e32 v0, 0xcf800000, v1
	v_cvt_u32_f32_e32 v0, v0
	v_cvt_u32_f32_e32 v1, v1
.LBB143_2025:
	global_store_dwordx2 v[6:7], v[0:1], off
	s_mov_b64 s[8:9], 0
	s_mov_b64 s[12:13], -1
.LBB143_2026:
	s_mov_b64 s[14:15], 0
.LBB143_2027:
	s_and_b64 vcc, exec, s[14:15]
	s_cbranch_vccz .LBB143_2051
; %bb.2028:
	v_mov_b32_e32 v0, 27
	v_cmp_lt_i16_sdwa s[14:15], s16, v0 src0_sel:BYTE_1 src1_sel:DWORD
	s_mov_b64 s[12:13], -1
	s_and_b64 vcc, exec, s[14:15]
	s_cbranch_vccnz .LBB143_2048
; %bb.2029:
	v_cmp_gt_i16_sdwa s[14:15], s16, v0 src0_sel:BYTE_1 src1_sel:DWORD
	s_and_b64 vcc, exec, s[14:15]
	s_cbranch_vccz .LBB143_2038
; %bb.2030:
	v_mov_b32_e32 v0, 0x80
	v_cmp_lt_i16_sdwa s[12:13], s16, v0 src0_sel:BYTE_0 src1_sel:DWORD
	s_and_b64 vcc, exec, s[12:13]
	s_cbranch_vccnz .LBB143_2032
; %bb.2031:
	v_cmp_ne_u16_sdwa s[12:13], s16, v0 src0_sel:BYTE_0 src1_sel:DWORD
	s_mov_b64 s[14:15], 0
	s_mov_b32 s17, 0
	s_branch .LBB143_2033
.LBB143_2032:
	s_mov_b64 s[14:15], -1
	s_mov_b64 s[12:13], 0
                                        ; implicit-def: $sgpr17
.LBB143_2033:
	s_andn2_b64 vcc, exec, s[14:15]
	s_cbranch_vccnz .LBB143_2035
; %bb.2034:
	v_mov_b32_e32 v0, 0
	s_mov_b32 s17, 0
	v_cmp_ne_u16_sdwa s[12:13], s16, v0 src0_sel:BYTE_0 src1_sel:DWORD
.LBB143_2035:
	s_andn2_b64 vcc, exec, s[12:13]
	v_mov_b32_e32 v0, s17
	s_cbranch_vccnz .LBB143_2037
; %bb.2036:
	s_and_b32 s13, s16, 7
	s_flbit_i32_b32 s15, s13
	s_min_u32 s15, s15, 32
	v_lshrrev_b16_e64 v0, 3, s16
	s_sub_i32 s17, s15, 28
	v_readfirstlane_b32 s14, v0
	s_lshl_b32 s17, s16, s17
	s_lshl_b32 s12, s16, 24
	s_and_b32 s14, s14, 15
	s_sub_i32 s15, 29, s15
	s_and_b32 s17, s17, 7
	s_cmp_eq_u32 s14, 0
	s_cselect_b32 s14, s15, s14
	s_cselect_b32 s13, s17, s13
	s_lshl_b32 s14, s14, 23
	s_and_b32 s12, s12, 0x80000000
	s_add_i32 s14, s14, 0x3b800000
	s_lshl_b32 s13, s13, 20
	s_or_b32 s12, s12, s14
	s_or_b32 s12, s12, s13
	v_cvt_u32_f32_e32 v0, s12
.LBB143_2037:
	global_store_dword v[6:7], v0, off
	s_mov_b64 s[12:13], 0
.LBB143_2038:
	s_and_b64 vcc, exec, s[12:13]
	s_cbranch_vccz .LBB143_2047
; %bb.2039:
	v_mov_b32_e32 v0, 0x80
	v_cmp_lt_i16_sdwa s[12:13], s16, v0 src0_sel:BYTE_0 src1_sel:DWORD
	s_and_b64 vcc, exec, s[12:13]
	s_cbranch_vccnz .LBB143_2041
; %bb.2040:
	v_cmp_ne_u16_sdwa s[12:13], s16, v0 src0_sel:BYTE_0 src1_sel:DWORD
	s_mov_b64 s[14:15], 0
	s_mov_b32 s17, 0
	s_branch .LBB143_2042
.LBB143_2041:
	s_mov_b64 s[14:15], -1
	s_mov_b64 s[12:13], 0
                                        ; implicit-def: $sgpr17
.LBB143_2042:
	s_andn2_b64 vcc, exec, s[14:15]
	s_cbranch_vccnz .LBB143_2044
; %bb.2043:
	v_mov_b32_e32 v0, 0
	s_mov_b32 s17, 0
	v_cmp_ne_u16_sdwa s[12:13], s16, v0 src0_sel:BYTE_0 src1_sel:DWORD
.LBB143_2044:
	s_andn2_b64 vcc, exec, s[12:13]
	v_mov_b32_e32 v0, s17
	s_cbranch_vccnz .LBB143_2046
; %bb.2045:
	s_and_b32 s13, s16, 7
	s_flbit_i32_b32 s15, s13
	s_min_u32 s15, s15, 32
	v_lshrrev_b16_e64 v0, 3, s16
	s_sub_i32 s17, s15, 28
	v_readfirstlane_b32 s14, v0
	s_lshl_b32 s17, s16, s17
	s_lshl_b32 s12, s16, 24
	s_and_b32 s14, s14, 15
	s_sub_i32 s15, 29, s15
	s_and_b32 s17, s17, 7
	s_cmp_eq_u32 s14, 0
	s_cselect_b32 s14, s15, s14
	s_cselect_b32 s13, s17, s13
	s_lshl_b32 s14, s14, 23
	s_and_b32 s12, s12, 0x80000000
	s_add_i32 s14, s14, 0x3b800000
	s_lshl_b32 s13, s13, 20
	s_or_b32 s12, s12, s14
	s_or_b32 s12, s12, s13
	v_cvt_u32_f32_e32 v0, s12
.LBB143_2046:
	global_store_short v[6:7], v0, off
.LBB143_2047:
	s_mov_b64 s[12:13], 0
.LBB143_2048:
	s_andn2_b64 vcc, exec, s[12:13]
	s_cbranch_vccnz .LBB143_2050
; %bb.2049:
	v_mov_b32_e32 v0, s16
	global_store_byte v[6:7], v0, off
.LBB143_2050:
	s_mov_b64 s[12:13], -1
.LBB143_2051:
	s_mov_b64 s[14:15], 0
.LBB143_2052:
	s_and_b64 vcc, exec, s[14:15]
	s_cbranch_vccz .LBB143_2138
; %bb.2053:
	v_mov_b32_e32 v0, 22
	v_cmp_gt_i16_sdwa s[14:15], s16, v0 src0_sel:BYTE_1 src1_sel:DWORD
	s_mov_b64 s[10:11], -1
	s_and_b64 vcc, exec, s[14:15]
	s_cbranch_vccz .LBB143_2121
; %bb.2054:
	v_mov_b32_e32 v0, 24
	v_cmp_lt_i16_sdwa s[12:13], s16, v0 src0_sel:BYTE_1 src1_sel:DWORD
	s_and_b64 vcc, exec, s[12:13]
	s_cbranch_vccnz .LBB143_2098
; %bb.2055:
	v_cmp_gt_i16_sdwa s[12:13], s16, v0 src0_sel:BYTE_1 src1_sel:DWORD
	s_and_b64 vcc, exec, s[12:13]
	s_cbranch_vccz .LBB143_2075
; %bb.2056:
	v_mov_b32_e32 v0, 0x80
	v_cmp_lt_i16_sdwa s[10:11], s16, v0 src0_sel:BYTE_0 src1_sel:DWORD
	s_and_b64 vcc, exec, s[10:11]
	s_cbranch_vccnz .LBB143_2059
; %bb.2057:
	v_cmp_eq_u16_sdwa s[10:11], s16, v0 src0_sel:BYTE_0 src1_sel:DWORD
	s_and_b64 vcc, exec, s[10:11]
	s_cbranch_vccz .LBB143_2060
; %bb.2058:
	s_mov_b64 s[10:11], 0
	s_mov_b32 s14, 0x7f800001
	s_branch .LBB143_2061
.LBB143_2059:
	s_mov_b64 s[12:13], -1
	s_mov_b64 s[10:11], 0
                                        ; implicit-def: $sgpr14
	s_branch .LBB143_2062
.LBB143_2060:
	s_mov_b64 s[10:11], -1
                                        ; implicit-def: $sgpr14
.LBB143_2061:
	s_mov_b64 s[12:13], 0
.LBB143_2062:
	s_and_b64 vcc, exec, s[12:13]
	s_cbranch_vccz .LBB143_2065
; %bb.2063:
	v_mov_b32_e32 v0, 0
	s_mov_b32 s14, 0
	v_cmp_ne_u16_sdwa s[10:11], s16, v0 src0_sel:BYTE_0 src1_sel:DWORD
	s_andn2_b64 vcc, exec, s[10:11]
	s_cbranch_vccz .LBB143_2066
.LBB143_2064:
	s_and_b32 s10, s14, 0x7fffffff
	s_cmp_gt_u32 s10, 0x477fffff
	v_mov_b32_e32 v1, 0x80
	s_cbranch_scc0 .LBB143_2067
	s_branch .LBB143_2074
.LBB143_2065:
	s_andn2_b64 vcc, exec, s[10:11]
	s_cbranch_vccnz .LBB143_2064
.LBB143_2066:
	s_and_b32 s11, s16, 7
	s_flbit_i32_b32 s13, s11
	s_min_u32 s13, s13, 32
	v_lshrrev_b16_e64 v0, 3, s16
	s_sub_i32 s14, s13, 28
	v_readfirstlane_b32 s12, v0
	s_lshl_b32 s14, s16, s14
	s_lshl_b32 s10, s16, 24
	s_and_b32 s12, s12, 15
	s_sub_i32 s13, 29, s13
	s_and_b32 s14, s14, 7
	s_cmp_eq_u32 s12, 0
	s_cselect_b32 s12, s13, s12
	s_cselect_b32 s11, s14, s11
	s_lshl_b32 s12, s12, 23
	s_and_b32 s10, s10, 0x80000000
	s_add_i32 s12, s12, 0x3b800000
	s_lshl_b32 s11, s11, 20
	s_or_b32 s10, s10, s12
	s_or_b32 s14, s10, s11
	s_and_b32 s10, s14, 0x7fffffff
	s_cmp_gt_u32 s10, 0x477fffff
	v_mov_b32_e32 v1, 0x80
	s_cbranch_scc1 .LBB143_2074
.LBB143_2067:
	s_cmp_gt_u32 s10, 0x37ffffff
	s_cbranch_scc0 .LBB143_2069
; %bb.2068:
	s_bfe_u32 s10, s14, 0x10015
	s_add_i32 s10, s14, s10
	s_add_i32 s10, s10, 0x88fffff
	s_lshr_b32 s15, s10, 21
	s_mov_b64 s[12:13], 0
	s_mov_b64 s[10:11], -1
	s_branch .LBB143_2070
.LBB143_2069:
	s_mov_b64 s[12:13], -1
	s_mov_b64 s[10:11], 0
                                        ; implicit-def: $sgpr15
.LBB143_2070:
	s_andn2_b64 vcc, exec, s[12:13]
	v_mov_b32_e32 v0, s15
                                        ; implicit-def: $sgpr12
	s_cbranch_vccnz .LBB143_2072
; %bb.2071:
	v_mov_b32_e32 v0, 0x42800000
	v_add_f32_e64 v0, |s14|, v0
	v_and_b32_e32 v0, 0xff, v0
	s_mov_b32 s12, 0
	v_cmp_ne_u32_e64 s[10:11], 0, v0
.LBB143_2072:
	s_andn2_b64 vcc, exec, s[10:11]
	v_mov_b32_e32 v1, s12
	s_cbranch_vccnz .LBB143_2074
; %bb.2073:
	s_lshr_b32 s10, s14, 24
	s_and_b32 s10, s10, 0x80
	v_or_b32_e32 v1, s10, v0
.LBB143_2074:
	global_store_byte v[6:7], v1, off
	s_mov_b64 s[10:11], 0
.LBB143_2075:
	s_and_b64 vcc, exec, s[10:11]
	s_cbranch_vccz .LBB143_2097
; %bb.2076:
	v_mov_b32_e32 v0, 0x80
	v_cmp_lt_i16_sdwa s[10:11], s16, v0 src0_sel:BYTE_0 src1_sel:DWORD
	s_and_b64 vcc, exec, s[10:11]
	s_cbranch_vccnz .LBB143_2079
; %bb.2077:
	v_cmp_eq_u16_sdwa s[10:11], s16, v0 src0_sel:BYTE_0 src1_sel:DWORD
	s_and_b64 vcc, exec, s[10:11]
	s_cbranch_vccz .LBB143_2080
; %bb.2078:
	s_mov_b64 s[10:11], 0
	s_mov_b32 s14, 0x7f800001
	s_branch .LBB143_2081
.LBB143_2079:
	s_mov_b64 s[12:13], -1
	s_mov_b64 s[10:11], 0
                                        ; implicit-def: $sgpr14
	s_branch .LBB143_2082
.LBB143_2080:
	s_mov_b64 s[10:11], -1
                                        ; implicit-def: $sgpr14
.LBB143_2081:
	s_mov_b64 s[12:13], 0
.LBB143_2082:
	s_and_b64 vcc, exec, s[12:13]
	s_cbranch_vccz .LBB143_2087
; %bb.2083:
	v_mov_b32_e32 v0, 0
	s_mov_b32 s14, 0
	v_cmp_ne_u16_sdwa s[10:11], s16, v0 src0_sel:BYTE_0 src1_sel:DWORD
	s_andn2_b64 vcc, exec, s[10:11]
	s_cbranch_vccz .LBB143_2088
.LBB143_2084:
	s_and_b32 s12, s14, 0x7fffffff
	s_cmp_lt_u32 s12, 0x43f00000
	s_cbranch_scc0 .LBB143_2089
.LBB143_2085:
	s_cmp_gt_u32 s12, 0x3c7fffff
	s_cbranch_scc0 .LBB143_2090
; %bb.2086:
	s_bfe_u32 s10, s14, 0x10014
	s_add_i32 s10, s14, s10
	s_add_i32 s10, s10, 0x407ffff
	s_lshr_b32 s11, s10, 20
	s_and_b32 s10, s10, 0xff00000
	s_cmp_lg_u32 s10, 0x7f00000
	s_cselect_b32 s13, s11, 0x7e
	s_mov_b64 s[10:11], 0
	s_branch .LBB143_2091
.LBB143_2087:
	s_andn2_b64 vcc, exec, s[10:11]
	s_cbranch_vccnz .LBB143_2084
.LBB143_2088:
	s_and_b32 s11, s16, 7
	s_flbit_i32_b32 s13, s11
	s_min_u32 s13, s13, 32
	v_lshrrev_b16_e64 v0, 3, s16
	s_sub_i32 s14, s13, 28
	v_readfirstlane_b32 s12, v0
	s_lshl_b32 s14, s16, s14
	s_lshl_b32 s10, s16, 24
	s_and_b32 s12, s12, 15
	s_sub_i32 s13, 29, s13
	s_and_b32 s14, s14, 7
	s_cmp_eq_u32 s12, 0
	s_cselect_b32 s12, s13, s12
	s_cselect_b32 s11, s14, s11
	s_lshl_b32 s12, s12, 23
	s_and_b32 s10, s10, 0x80000000
	s_add_i32 s12, s12, 0x3b800000
	s_lshl_b32 s11, s11, 20
	s_or_b32 s10, s10, s12
	s_or_b32 s14, s10, s11
	s_and_b32 s12, s14, 0x7fffffff
	s_cmp_lt_u32 s12, 0x43f00000
	s_cbranch_scc1 .LBB143_2085
.LBB143_2089:
	s_mov_b64 s[10:11], -1
                                        ; implicit-def: $vgpr0
	s_branch .LBB143_2094
.LBB143_2090:
	s_mov_b64 s[10:11], -1
                                        ; implicit-def: $sgpr13
.LBB143_2091:
	s_andn2_b64 vcc, exec, s[10:11]
	v_mov_b32_e32 v0, s13
	s_cbranch_vccnz .LBB143_2093
; %bb.2092:
	v_mov_b32_e32 v0, 0x46800000
	v_add_f32_e64 v0, |s14|, v0
.LBB143_2093:
	s_mov_b64 s[10:11], 0
.LBB143_2094:
	s_andn2_b64 vcc, exec, s[10:11]
	s_cbranch_vccnz .LBB143_2096
; %bb.2095:
	s_cmp_gt_u32 s12, 0x7f800000
	s_movk_i32 s10, 0x7f
	s_cselect_b32 s10, s10, 0x7e
	v_mov_b32_e32 v0, s10
.LBB143_2096:
	s_lshr_b32 s10, s14, 24
	s_and_b32 s10, s10, 0x80
	v_or_b32_e32 v0, s10, v0
	global_store_byte v[6:7], v0, off
.LBB143_2097:
	s_mov_b64 s[10:11], 0
.LBB143_2098:
	s_andn2_b64 vcc, exec, s[10:11]
	s_cbranch_vccnz .LBB143_2120
; %bb.2099:
	v_mov_b32_e32 v0, 0x80
	v_cmp_lt_i16_sdwa s[10:11], s16, v0 src0_sel:BYTE_0 src1_sel:DWORD
	s_and_b64 vcc, exec, s[10:11]
	s_cbranch_vccnz .LBB143_2102
; %bb.2100:
	v_cmp_eq_u16_sdwa s[10:11], s16, v0 src0_sel:BYTE_0 src1_sel:DWORD
	s_and_b64 vcc, exec, s[10:11]
	s_cbranch_vccz .LBB143_2103
; %bb.2101:
	s_mov_b64 s[10:11], 0
	s_mov_b32 s14, 0x7f800001
	s_branch .LBB143_2104
.LBB143_2102:
	s_mov_b64 s[12:13], -1
	s_mov_b64 s[10:11], 0
                                        ; implicit-def: $sgpr14
	s_branch .LBB143_2105
.LBB143_2103:
	s_mov_b64 s[10:11], -1
                                        ; implicit-def: $sgpr14
.LBB143_2104:
	s_mov_b64 s[12:13], 0
.LBB143_2105:
	s_and_b64 vcc, exec, s[12:13]
	s_cbranch_vccz .LBB143_2110
; %bb.2106:
	v_mov_b32_e32 v0, 0
	s_mov_b32 s14, 0
	v_cmp_ne_u16_sdwa s[10:11], s16, v0 src0_sel:BYTE_0 src1_sel:DWORD
	s_andn2_b64 vcc, exec, s[10:11]
	s_cbranch_vccz .LBB143_2111
.LBB143_2107:
	s_and_b32 s12, s14, 0x7fffffff
	s_cmp_lt_u32 s12, 0x47800000
	s_cbranch_scc0 .LBB143_2112
.LBB143_2108:
	s_cmp_gt_u32 s12, 0x387fffff
	s_cbranch_scc0 .LBB143_2113
; %bb.2109:
	s_bfe_u32 s10, s14, 0x10015
	s_add_i32 s10, s14, s10
	s_add_i32 s10, s10, 0x80fffff
	s_lshr_b32 s13, s10, 21
	s_mov_b64 s[10:11], 0
	s_branch .LBB143_2114
.LBB143_2110:
	s_andn2_b64 vcc, exec, s[10:11]
	s_cbranch_vccnz .LBB143_2107
.LBB143_2111:
	s_and_b32 s11, s16, 7
	s_flbit_i32_b32 s13, s11
	s_min_u32 s13, s13, 32
	v_lshrrev_b16_e64 v0, 3, s16
	s_sub_i32 s14, s13, 28
	v_readfirstlane_b32 s12, v0
	s_lshl_b32 s14, s16, s14
	s_lshl_b32 s10, s16, 24
	s_and_b32 s12, s12, 15
	s_sub_i32 s13, 29, s13
	s_and_b32 s14, s14, 7
	s_cmp_eq_u32 s12, 0
	s_cselect_b32 s12, s13, s12
	s_cselect_b32 s11, s14, s11
	s_lshl_b32 s12, s12, 23
	s_and_b32 s10, s10, 0x80000000
	s_add_i32 s12, s12, 0x3b800000
	s_lshl_b32 s11, s11, 20
	s_or_b32 s10, s10, s12
	s_or_b32 s14, s10, s11
	s_and_b32 s12, s14, 0x7fffffff
	s_cmp_lt_u32 s12, 0x47800000
	s_cbranch_scc1 .LBB143_2108
.LBB143_2112:
	s_mov_b64 s[10:11], -1
                                        ; implicit-def: $vgpr0
	s_branch .LBB143_2117
.LBB143_2113:
	s_mov_b64 s[10:11], -1
                                        ; implicit-def: $sgpr13
.LBB143_2114:
	s_andn2_b64 vcc, exec, s[10:11]
	v_mov_b32_e32 v0, s13
	s_cbranch_vccnz .LBB143_2116
; %bb.2115:
	v_mov_b32_e32 v0, 0x43000000
	v_add_f32_e64 v0, |s14|, v0
.LBB143_2116:
	s_mov_b64 s[10:11], 0
.LBB143_2117:
	s_andn2_b64 vcc, exec, s[10:11]
	s_cbranch_vccnz .LBB143_2119
; %bb.2118:
	s_cmp_gt_u32 s12, 0x7f800000
	s_movk_i32 s10, 0x7f
	s_cselect_b32 s10, s10, 0x7c
	v_mov_b32_e32 v0, s10
.LBB143_2119:
	s_lshr_b32 s10, s14, 24
	s_and_b32 s10, s10, 0x80
	v_or_b32_e32 v0, s10, v0
	global_store_byte v[6:7], v0, off
.LBB143_2120:
	s_mov_b64 s[10:11], 0
	s_mov_b64 s[12:13], -1
.LBB143_2121:
	s_andn2_b64 vcc, exec, s[10:11]
	s_mov_b64 s[10:11], 0
	s_cbranch_vccnz .LBB143_2138
; %bb.2122:
	v_mov_b32_e32 v0, 14
	v_cmp_gt_i16_sdwa s[10:11], s16, v0 src0_sel:BYTE_1 src1_sel:DWORD
	s_mov_b64 s[14:15], -1
	s_and_b64 vcc, exec, s[10:11]
	s_cbranch_vccz .LBB143_2136
; %bb.2123:
	v_mov_b32_e32 v0, 15
	v_cmp_eq_u16_sdwa s[10:11], s16, v0 src0_sel:BYTE_1 src1_sel:DWORD
	s_mov_b64 s[8:9], -1
	s_and_b64 vcc, exec, s[10:11]
	s_cbranch_vccz .LBB143_2135
; %bb.2124:
	v_mov_b32_e32 v0, 0x80
	v_cmp_lt_i16_sdwa s[8:9], s16, v0 src0_sel:BYTE_0 src1_sel:DWORD
	s_and_b64 vcc, exec, s[8:9]
	s_cbranch_vccnz .LBB143_2127
; %bb.2125:
	v_cmp_eq_u16_sdwa s[8:9], s16, v0 src0_sel:BYTE_0 src1_sel:DWORD
	s_and_b64 vcc, exec, s[8:9]
	s_cbranch_vccz .LBB143_2128
; %bb.2126:
	s_mov_b64 s[8:9], 0
	s_mov_b32 s12, 0x7f800001
	s_branch .LBB143_2129
.LBB143_2127:
	s_mov_b64 s[10:11], -1
	s_mov_b64 s[8:9], 0
                                        ; implicit-def: $sgpr12
	s_branch .LBB143_2130
.LBB143_2128:
	s_mov_b64 s[8:9], -1
                                        ; implicit-def: $sgpr12
.LBB143_2129:
	s_mov_b64 s[10:11], 0
.LBB143_2130:
	s_and_b64 vcc, exec, s[10:11]
	s_cbranch_vccz .LBB143_2132
; %bb.2131:
	v_mov_b32_e32 v0, 0
	s_mov_b32 s12, 0
	v_cmp_ne_u16_sdwa s[8:9], s16, v0 src0_sel:BYTE_0 src1_sel:DWORD
.LBB143_2132:
	s_andn2_b64 vcc, exec, s[8:9]
	s_cbranch_vccnz .LBB143_2134
; %bb.2133:
	s_and_b32 s9, s16, 7
	s_flbit_i32_b32 s11, s9
	s_min_u32 s11, s11, 32
	v_lshrrev_b16_e64 v0, 3, s16
	s_sub_i32 s12, s11, 28
	v_readfirstlane_b32 s10, v0
	s_lshl_b32 s12, s16, s12
	s_lshl_b32 s8, s16, 24
	s_and_b32 s10, s10, 15
	s_sub_i32 s11, 29, s11
	s_and_b32 s12, s12, 7
	s_cmp_eq_u32 s10, 0
	s_cselect_b32 s10, s11, s10
	s_cselect_b32 s9, s12, s9
	s_lshl_b32 s10, s10, 23
	s_and_b32 s8, s8, 0x80000000
	s_add_i32 s10, s10, 0x3b800000
	s_lshl_b32 s9, s9, 20
	s_or_b32 s8, s8, s10
	s_or_b32 s12, s8, s9
.LBB143_2134:
	s_bfe_u32 s8, s12, 0x10010
	s_add_i32 s8, s12, s8
	s_addk_i32 s8, 0x7fff
	s_lshr_b32 s10, s8, 16
	v_cmp_o_f32_e64 s[8:9], s12, s12
	s_and_b64 s[8:9], s[8:9], exec
	s_cselect_b32 s8, s10, 0x7fc0
	v_mov_b32_e32 v0, s8
	global_store_short v[6:7], v0, off
	s_mov_b64 s[8:9], 0
	s_mov_b64 s[12:13], -1
.LBB143_2135:
	s_mov_b64 s[14:15], 0
.LBB143_2136:
	s_mov_b64 s[10:11], 0
	s_and_b64 vcc, exec, s[14:15]
	s_cbranch_vccz .LBB143_2138
; %bb.2137:
	v_mov_b32_e32 v0, 11
	v_cmp_ne_u16_sdwa s[8:9], s16, v0 src0_sel:BYTE_1 src1_sel:DWORD
	s_mov_b64 s[10:11], -1
.LBB143_2138:
	s_and_b64 vcc, exec, s[8:9]
	s_cbranch_vccnz .LBB143_2159
; %bb.2139:
	s_andn2_b64 vcc, exec, s[10:11]
	s_cbranch_vccnz .LBB143_2151
.LBB143_2140:
	v_mov_b32_e32 v0, 0x80
	v_cmp_lt_i16_sdwa s[8:9], s16, v0 src0_sel:BYTE_0 src1_sel:DWORD
	s_and_b64 vcc, exec, s[8:9]
	s_cbranch_vccnz .LBB143_2143
; %bb.2141:
	v_cmp_eq_u16_sdwa s[8:9], s16, v0 src0_sel:BYTE_0 src1_sel:DWORD
	s_and_b64 vcc, exec, s[8:9]
	s_cbranch_vccz .LBB143_2144
; %bb.2142:
	s_mov_b64 s[10:11], 0
	s_mov_b64 s[8:9], -1
	s_branch .LBB143_2145
.LBB143_2143:
	s_mov_b64 s[12:13], -1
	s_mov_b64 s[10:11], 0
                                        ; implicit-def: $sgpr8_sgpr9
	s_branch .LBB143_2146
.LBB143_2144:
	s_mov_b64 s[10:11], -1
                                        ; implicit-def: $sgpr8_sgpr9
.LBB143_2145:
	s_mov_b64 s[12:13], 0
.LBB143_2146:
	s_and_b64 vcc, exec, s[12:13]
	s_cbranch_vccz .LBB143_2148
; %bb.2147:
	v_mov_b32_e32 v0, 0
	v_cmp_ne_u16_sdwa s[10:11], s16, v0 src0_sel:BYTE_0 src1_sel:DWORD
	s_mov_b64 s[8:9], 0
.LBB143_2148:
	s_andn2_b64 vcc, exec, s[10:11]
	s_cbranch_vccnz .LBB143_2150
; %bb.2149:
	s_and_b32 s8, s16, 7
	s_flbit_i32_b32 s10, s8
	s_min_u32 s10, s10, 32
	v_lshrrev_b16_e64 v0, 3, s16
	s_sub_i32 s11, s10, 28
	v_readfirstlane_b32 s9, v0
	s_lshl_b32 s11, s16, s11
	s_and_b32 s9, s9, 15
	s_sub_i32 s10, 29, s10
	s_and_b32 s11, s11, 7
	s_cmp_eq_u32 s9, 0
	s_cselect_b32 s9, s10, s9
	s_cselect_b32 s8, s11, s8
	s_lshl_b32 s9, s9, 23
	s_add_i32 s9, s9, 0x3b800000
	s_lshl_b32 s8, s8, 20
	s_and_b32 s9, s9, 0x7f800000
	s_or_b32 s8, s9, s8
	s_cmp_lg_u32 s8, 0
	s_cselect_b64 s[8:9], -1, 0
.LBB143_2150:
	v_cndmask_b32_e64 v0, 0, 1, s[8:9]
	global_store_byte v[6:7], v0, off
	s_mov_b64 s[12:13], -1
.LBB143_2151:
	s_branch .LBB143_1977
.LBB143_2152:
	v_mov_b32_e32 v0, 5
	v_cmp_lt_i16_sdwa s[10:11], s16, v0 src0_sel:BYTE_1 src1_sel:DWORD
	s_mov_b64 s[8:9], -1
	s_and_b64 vcc, exec, s[10:11]
	s_cbranch_vccnz .LBB143_2234
; %bb.2153:
	v_mov_b32_e32 v0, 8
	v_cmp_lt_i16_sdwa s[10:11], s16, v0 src0_sel:BYTE_1 src1_sel:DWORD
	s_and_b64 vcc, exec, s[10:11]
	s_cbranch_vccnz .LBB143_2194
; %bb.2154:
	v_mov_b32_e32 v0, 9
	v_cmp_lt_i16_sdwa s[10:11], s16, v0 src0_sel:BYTE_1 src1_sel:DWORD
	s_and_b64 vcc, exec, s[10:11]
	s_cbranch_vccnz .LBB143_2181
; %bb.2155:
	v_cmp_gt_i16_sdwa s[10:11], s16, v0 src0_sel:BYTE_1 src1_sel:DWORD
	s_and_b64 vcc, exec, s[10:11]
	s_cbranch_vccz .LBB143_2168
; %bb.2156:
	v_mov_b32_e32 v0, 0x80
	v_cmp_lt_i16_sdwa s[8:9], s16, v0 src0_sel:BYTE_0 src1_sel:DWORD
	s_and_b64 vcc, exec, s[8:9]
	s_cbranch_vccnz .LBB143_2160
; %bb.2157:
	v_cmp_eq_u16_sdwa s[8:9], s16, v0 src0_sel:BYTE_0 src1_sel:DWORD
	s_and_b64 vcc, exec, s[8:9]
	s_cbranch_vccz .LBB143_2161
; %bb.2158:
	s_mov_b64 s[8:9], 0
	s_mov_b32 s11, 0x7ff80000
	s_brev_b32 s10, 4
	s_branch .LBB143_2162
.LBB143_2159:
	s_trap 2
	s_or_b64 s[0:1], s[0:1], exec
	s_cbranch_execz .LBB143_2140
	s_branch .LBB143_2151
.LBB143_2160:
	s_mov_b64 s[12:13], -1
	s_mov_b64 s[8:9], 0
                                        ; implicit-def: $sgpr10_sgpr11
	s_branch .LBB143_2163
.LBB143_2161:
	s_mov_b64 s[8:9], -1
                                        ; implicit-def: $sgpr10_sgpr11
.LBB143_2162:
	s_mov_b64 s[12:13], 0
.LBB143_2163:
	s_and_b64 vcc, exec, s[12:13]
	s_cbranch_vccz .LBB143_2165
; %bb.2164:
	v_mov_b32_e32 v0, 0
	v_cmp_ne_u16_sdwa s[8:9], s16, v0 src0_sel:BYTE_0 src1_sel:DWORD
	s_mov_b64 s[10:11], 0
.LBB143_2165:
	s_andn2_b64 vcc, exec, s[8:9]
	v_pk_mov_b32 v[0:1], s[10:11], s[10:11] op_sel:[0,1]
	s_cbranch_vccnz .LBB143_2167
; %bb.2166:
	s_and_b32 s9, s16, 7
	s_flbit_i32_b32 s11, s9
	s_min_u32 s11, s11, 32
	v_lshrrev_b16_e64 v0, 3, s16
	s_sub_i32 s12, s11, 28
	v_readfirstlane_b32 s10, v0
	s_lshl_b32 s12, s16, s12
	s_lshl_b32 s8, s16, 24
	s_and_b32 s10, s10, 15
	s_sub_i32 s11, 29, s11
	s_and_b32 s12, s12, 7
	s_cmp_eq_u32 s10, 0
	s_cselect_b32 s10, s11, s10
	s_cselect_b32 s9, s12, s9
	s_lshl_b32 s10, s10, 23
	s_and_b32 s8, s8, 0x80000000
	s_add_i32 s10, s10, 0x3b800000
	s_lshl_b32 s9, s9, 20
	s_or_b32 s8, s8, s10
	s_or_b32 s8, s8, s9
	v_cvt_f64_f32_e32 v[0:1], s8
.LBB143_2167:
	v_mov_b32_e32 v2, 0
	v_mov_b32_e32 v3, v2
	global_store_dwordx4 v[6:7], v[0:3], off
	s_mov_b64 s[8:9], 0
.LBB143_2168:
	s_and_b64 vcc, exec, s[8:9]
	s_cbranch_vccz .LBB143_2180
; %bb.2169:
	v_mov_b32_e32 v0, 0x80
	v_cmp_lt_i16_sdwa s[8:9], s16, v0 src0_sel:BYTE_0 src1_sel:DWORD
	s_and_b64 vcc, exec, s[8:9]
	s_cbranch_vccnz .LBB143_2172
; %bb.2170:
	v_cmp_eq_u16_sdwa s[8:9], s16, v0 src0_sel:BYTE_0 src1_sel:DWORD
	s_and_b64 vcc, exec, s[8:9]
	s_cbranch_vccz .LBB143_2173
; %bb.2171:
	s_mov_b64 s[8:9], 0
	s_mov_b32 s12, 0x7f800001
	s_branch .LBB143_2174
.LBB143_2172:
	s_mov_b64 s[10:11], -1
	s_mov_b64 s[8:9], 0
                                        ; implicit-def: $sgpr12
	s_branch .LBB143_2175
.LBB143_2173:
	s_mov_b64 s[8:9], -1
                                        ; implicit-def: $sgpr12
.LBB143_2174:
	s_mov_b64 s[10:11], 0
.LBB143_2175:
	s_and_b64 vcc, exec, s[10:11]
	v_mov_b32_e32 v0, s12
	s_cbranch_vccz .LBB143_2177
; %bb.2176:
	s_mov_b32 s8, 0xffff
	v_mov_b32_e32 v0, s16
	v_mov_b32_e32 v1, 0
	v_and_b32_sdwa v0, s8, v0 dst_sel:DWORD dst_unused:UNUSED_PAD src0_sel:DWORD src1_sel:BYTE_0
	v_cmp_ne_u16_sdwa s[8:9], s16, v1 src0_sel:BYTE_0 src1_sel:DWORD
.LBB143_2177:
	s_andn2_b64 vcc, exec, s[8:9]
	s_cbranch_vccnz .LBB143_2179
; %bb.2178:
	s_and_b32 s9, s16, 7
	s_flbit_i32_b32 s11, s9
	s_min_u32 s11, s11, 32
	v_lshrrev_b16_e64 v0, 3, s16
	s_sub_i32 s12, s11, 28
	v_readfirstlane_b32 s10, v0
	s_lshl_b32 s12, s16, s12
	s_lshl_b32 s8, s16, 24
	s_and_b32 s10, s10, 15
	s_sub_i32 s11, 29, s11
	s_and_b32 s12, s12, 7
	s_cmp_eq_u32 s10, 0
	s_cselect_b32 s10, s11, s10
	s_cselect_b32 s9, s12, s9
	s_lshl_b32 s10, s10, 23
	s_and_b32 s8, s8, 0x80000000
	s_add_i32 s10, s10, 0x3b800000
	s_lshl_b32 s9, s9, 20
	s_or_b32 s8, s8, s10
	s_or_b32 s8, s8, s9
	v_mov_b32_e32 v0, s8
.LBB143_2179:
	v_mov_b32_e32 v1, 0
	global_store_dwordx2 v[6:7], v[0:1], off
.LBB143_2180:
	s_mov_b64 s[8:9], 0
.LBB143_2181:
	s_andn2_b64 vcc, exec, s[8:9]
	s_cbranch_vccnz .LBB143_2193
; %bb.2182:
	v_mov_b32_e32 v0, 0x80
	v_cmp_lt_i16_sdwa s[8:9], s16, v0 src0_sel:BYTE_0 src1_sel:DWORD
	s_and_b64 vcc, exec, s[8:9]
	s_cbranch_vccnz .LBB143_2185
; %bb.2183:
	v_cmp_eq_u16_sdwa s[8:9], s16, v0 src0_sel:BYTE_0 src1_sel:DWORD
	s_and_b64 vcc, exec, s[8:9]
	s_cbranch_vccz .LBB143_2186
; %bb.2184:
	s_mov_b64 s[8:9], 0
	s_movk_i32 s12, 0x7e00
	s_branch .LBB143_2187
.LBB143_2185:
	s_mov_b64 s[10:11], -1
	s_mov_b64 s[8:9], 0
                                        ; implicit-def: $sgpr12
	s_branch .LBB143_2188
.LBB143_2186:
	s_mov_b64 s[8:9], -1
                                        ; implicit-def: $sgpr12
.LBB143_2187:
	s_mov_b64 s[10:11], 0
.LBB143_2188:
	s_and_b64 vcc, exec, s[10:11]
	v_mov_b32_e32 v0, s12
	s_cbranch_vccz .LBB143_2190
; %bb.2189:
	s_mov_b32 s8, 0xffff
	v_mov_b32_e32 v0, s16
	v_mov_b32_e32 v1, 0
	v_and_b32_sdwa v0, s8, v0 dst_sel:DWORD dst_unused:UNUSED_PAD src0_sel:DWORD src1_sel:BYTE_0
	v_cmp_ne_u16_sdwa s[8:9], s16, v1 src0_sel:BYTE_0 src1_sel:DWORD
.LBB143_2190:
	s_andn2_b64 vcc, exec, s[8:9]
	s_cbranch_vccnz .LBB143_2192
; %bb.2191:
	s_and_b32 s9, s16, 7
	s_flbit_i32_b32 s11, s9
	s_min_u32 s11, s11, 32
	v_lshrrev_b16_e64 v0, 3, s16
	s_sub_i32 s12, s11, 28
	v_readfirstlane_b32 s10, v0
	s_lshl_b32 s12, s16, s12
	s_lshl_b32 s8, s16, 24
	s_and_b32 s10, s10, 15
	s_sub_i32 s11, 29, s11
	s_and_b32 s12, s12, 7
	s_cmp_eq_u32 s10, 0
	s_cselect_b32 s10, s11, s10
	s_cselect_b32 s9, s12, s9
	s_lshl_b32 s10, s10, 23
	s_and_b32 s8, s8, 0x80000000
	s_add_i32 s10, s10, 0x3b800000
	s_lshl_b32 s9, s9, 20
	s_or_b32 s8, s8, s10
	s_or_b32 s8, s8, s9
	v_cvt_f16_f32_e32 v0, s8
.LBB143_2192:
	global_store_dword v[6:7], v0, off
.LBB143_2193:
	s_mov_b64 s[8:9], 0
.LBB143_2194:
	s_andn2_b64 vcc, exec, s[8:9]
	s_cbranch_vccnz .LBB143_2233
; %bb.2195:
	v_mov_b32_e32 v0, 6
	v_cmp_lt_i16_sdwa s[10:11], s16, v0 src0_sel:BYTE_1 src1_sel:DWORD
	s_mov_b64 s[8:9], -1
	s_and_b64 vcc, exec, s[10:11]
	s_cbranch_vccnz .LBB143_2221
; %bb.2196:
	v_cmp_gt_i16_sdwa s[10:11], s16, v0 src0_sel:BYTE_1 src1_sel:DWORD
	s_and_b64 vcc, exec, s[10:11]
	s_cbranch_vccz .LBB143_2208
; %bb.2197:
	v_mov_b32_e32 v0, 0x80
	v_cmp_lt_i16_sdwa s[8:9], s16, v0 src0_sel:BYTE_0 src1_sel:DWORD
	s_and_b64 vcc, exec, s[8:9]
	s_cbranch_vccnz .LBB143_2200
; %bb.2198:
	v_cmp_eq_u16_sdwa s[8:9], s16, v0 src0_sel:BYTE_0 src1_sel:DWORD
	s_and_b64 vcc, exec, s[8:9]
	s_cbranch_vccz .LBB143_2201
; %bb.2199:
	s_mov_b64 s[8:9], 0
	s_mov_b32 s11, 0x7ff80000
	s_brev_b32 s10, 4
	s_branch .LBB143_2202
.LBB143_2200:
	s_mov_b64 s[12:13], -1
	s_mov_b64 s[8:9], 0
                                        ; implicit-def: $sgpr10_sgpr11
	s_branch .LBB143_2203
.LBB143_2201:
	s_mov_b64 s[8:9], -1
                                        ; implicit-def: $sgpr10_sgpr11
.LBB143_2202:
	s_mov_b64 s[12:13], 0
.LBB143_2203:
	s_and_b64 vcc, exec, s[12:13]
	s_cbranch_vccz .LBB143_2205
; %bb.2204:
	v_mov_b32_e32 v0, 0
	v_cmp_ne_u16_sdwa s[8:9], s16, v0 src0_sel:BYTE_0 src1_sel:DWORD
	s_mov_b64 s[10:11], 0
.LBB143_2205:
	s_andn2_b64 vcc, exec, s[8:9]
	v_pk_mov_b32 v[0:1], s[10:11], s[10:11] op_sel:[0,1]
	s_cbranch_vccnz .LBB143_2207
; %bb.2206:
	s_and_b32 s9, s16, 7
	s_flbit_i32_b32 s11, s9
	s_min_u32 s11, s11, 32
	v_lshrrev_b16_e64 v0, 3, s16
	s_sub_i32 s12, s11, 28
	v_readfirstlane_b32 s10, v0
	s_lshl_b32 s12, s16, s12
	s_lshl_b32 s8, s16, 24
	s_and_b32 s10, s10, 15
	s_sub_i32 s11, 29, s11
	s_and_b32 s12, s12, 7
	s_cmp_eq_u32 s10, 0
	s_cselect_b32 s10, s11, s10
	s_cselect_b32 s9, s12, s9
	s_lshl_b32 s10, s10, 23
	s_and_b32 s8, s8, 0x80000000
	s_add_i32 s10, s10, 0x3b800000
	s_lshl_b32 s9, s9, 20
	s_or_b32 s8, s8, s10
	s_or_b32 s8, s8, s9
	v_cvt_f64_f32_e32 v[0:1], s8
.LBB143_2207:
	global_store_dwordx2 v[6:7], v[0:1], off
	s_mov_b64 s[8:9], 0
.LBB143_2208:
	s_and_b64 vcc, exec, s[8:9]
	s_cbranch_vccz .LBB143_2220
; %bb.2209:
	v_mov_b32_e32 v0, 0x80
	v_cmp_lt_i16_sdwa s[8:9], s16, v0 src0_sel:BYTE_0 src1_sel:DWORD
	s_and_b64 vcc, exec, s[8:9]
	s_cbranch_vccnz .LBB143_2212
; %bb.2210:
	v_cmp_eq_u16_sdwa s[8:9], s16, v0 src0_sel:BYTE_0 src1_sel:DWORD
	s_and_b64 vcc, exec, s[8:9]
	s_cbranch_vccz .LBB143_2213
; %bb.2211:
	s_mov_b64 s[8:9], 0
	s_mov_b32 s12, 0x7f800001
	s_branch .LBB143_2214
.LBB143_2212:
	s_mov_b64 s[10:11], -1
	s_mov_b64 s[8:9], 0
                                        ; implicit-def: $sgpr12
	s_branch .LBB143_2215
.LBB143_2213:
	s_mov_b64 s[8:9], -1
                                        ; implicit-def: $sgpr12
.LBB143_2214:
	s_mov_b64 s[10:11], 0
.LBB143_2215:
	s_and_b64 vcc, exec, s[10:11]
	v_mov_b32_e32 v0, s12
	s_cbranch_vccz .LBB143_2217
; %bb.2216:
	s_mov_b32 s8, 0xffff
	v_mov_b32_e32 v0, s16
	v_mov_b32_e32 v1, 0
	v_and_b32_sdwa v0, s8, v0 dst_sel:DWORD dst_unused:UNUSED_PAD src0_sel:DWORD src1_sel:BYTE_0
	v_cmp_ne_u16_sdwa s[8:9], s16, v1 src0_sel:BYTE_0 src1_sel:DWORD
.LBB143_2217:
	s_andn2_b64 vcc, exec, s[8:9]
	s_cbranch_vccnz .LBB143_2219
; %bb.2218:
	s_and_b32 s9, s16, 7
	s_flbit_i32_b32 s11, s9
	s_min_u32 s11, s11, 32
	v_lshrrev_b16_e64 v0, 3, s16
	s_sub_i32 s12, s11, 28
	v_readfirstlane_b32 s10, v0
	s_lshl_b32 s12, s16, s12
	s_lshl_b32 s8, s16, 24
	s_and_b32 s10, s10, 15
	s_sub_i32 s11, 29, s11
	s_and_b32 s12, s12, 7
	s_cmp_eq_u32 s10, 0
	s_cselect_b32 s10, s11, s10
	s_cselect_b32 s9, s12, s9
	s_lshl_b32 s10, s10, 23
	s_and_b32 s8, s8, 0x80000000
	s_add_i32 s10, s10, 0x3b800000
	s_lshl_b32 s9, s9, 20
	s_or_b32 s8, s8, s10
	s_or_b32 s8, s8, s9
	v_mov_b32_e32 v0, s8
.LBB143_2219:
	global_store_dword v[6:7], v0, off
.LBB143_2220:
	s_mov_b64 s[8:9], 0
.LBB143_2221:
	s_andn2_b64 vcc, exec, s[8:9]
	s_cbranch_vccnz .LBB143_2233
; %bb.2222:
	v_mov_b32_e32 v0, 0xff
	v_and_b32_e32 v0, s16, v0
	s_movk_i32 s8, 0x80
	v_cmp_gt_i16_e32 vcc, s8, v0
	s_cbranch_vccnz .LBB143_2225
; %bb.2223:
	v_cmp_eq_u16_e32 vcc, s8, v0
	s_cbranch_vccz .LBB143_2226
; %bb.2224:
	s_mov_b64 s[8:9], 0
	s_movk_i32 s12, 0x7e00
	s_branch .LBB143_2227
.LBB143_2225:
	s_mov_b64 s[10:11], -1
	s_mov_b64 s[8:9], 0
                                        ; implicit-def: $sgpr12
	s_branch .LBB143_2228
.LBB143_2226:
	s_mov_b64 s[8:9], -1
                                        ; implicit-def: $sgpr12
.LBB143_2227:
	s_mov_b64 s[10:11], 0
.LBB143_2228:
	s_and_b64 vcc, exec, s[10:11]
	v_mov_b32_e32 v1, s12
	s_cbranch_vccz .LBB143_2230
; %bb.2229:
	v_cmp_ne_u16_e64 s[8:9], 0, v0
	v_mov_b32_e32 v1, v0
.LBB143_2230:
	s_andn2_b64 vcc, exec, s[8:9]
	s_cbranch_vccnz .LBB143_2232
; %bb.2231:
	s_and_b32 s9, s16, 7
	s_flbit_i32_b32 s11, s9
	s_min_u32 s11, s11, 32
	v_lshrrev_b16_e64 v0, 3, s16
	s_sub_i32 s12, s11, 28
	v_readfirstlane_b32 s10, v0
	s_lshl_b32 s12, s16, s12
	s_lshl_b32 s8, s16, 24
	s_and_b32 s10, s10, 15
	s_sub_i32 s11, 29, s11
	s_and_b32 s12, s12, 7
	s_cmp_eq_u32 s10, 0
	s_cselect_b32 s10, s11, s10
	s_cselect_b32 s9, s12, s9
	s_lshl_b32 s10, s10, 23
	s_and_b32 s8, s8, 0x80000000
	s_add_i32 s10, s10, 0x3b800000
	s_lshl_b32 s9, s9, 20
	s_or_b32 s8, s8, s10
	s_or_b32 s8, s8, s9
	v_cvt_f16_f32_e32 v1, s8
.LBB143_2232:
	global_store_short v[6:7], v1, off
.LBB143_2233:
	s_mov_b64 s[8:9], 0
.LBB143_2234:
	s_andn2_b64 vcc, exec, s[8:9]
	s_cbranch_vccnz .LBB143_2285
; %bb.2235:
	v_mov_b32_e32 v0, 2
	v_cmp_lt_i16_sdwa s[10:11], s16, v0 src0_sel:BYTE_1 src1_sel:DWORD
	s_mov_b64 s[8:9], -1
	s_and_b64 vcc, exec, s[10:11]
	s_cbranch_vccnz .LBB143_2266
; %bb.2236:
	v_mov_b32_e32 v0, 3
	v_cmp_lt_i16_sdwa s[10:11], s16, v0 src0_sel:BYTE_1 src1_sel:DWORD
	s_and_b64 vcc, exec, s[10:11]
	s_cbranch_vccnz .LBB143_2256
; %bb.2237:
	v_cmp_gt_i16_sdwa s[10:11], s16, v0 src0_sel:BYTE_1 src1_sel:DWORD
	s_and_b64 vcc, exec, s[10:11]
	s_cbranch_vccz .LBB143_2246
; %bb.2238:
	v_mov_b32_e32 v0, 0x80
	v_cmp_lt_i16_sdwa s[8:9], s16, v0 src0_sel:BYTE_0 src1_sel:DWORD
	s_and_b64 vcc, exec, s[8:9]
	s_cbranch_vccnz .LBB143_2240
; %bb.2239:
	v_cmp_ne_u16_sdwa s[8:9], s16, v0 src0_sel:BYTE_0 src1_sel:DWORD
	s_mov_b64 s[12:13], 0
	s_mov_b64 s[10:11], 0
	s_branch .LBB143_2241
.LBB143_2240:
	s_mov_b64 s[12:13], -1
	s_mov_b64 s[8:9], 0
                                        ; implicit-def: $sgpr10_sgpr11
.LBB143_2241:
	s_andn2_b64 vcc, exec, s[12:13]
	s_cbranch_vccnz .LBB143_2243
; %bb.2242:
	v_mov_b32_e32 v0, 0
	v_cmp_ne_u16_sdwa s[8:9], s16, v0 src0_sel:BYTE_0 src1_sel:DWORD
	s_mov_b64 s[10:11], 0
.LBB143_2243:
	s_andn2_b64 vcc, exec, s[8:9]
	v_pk_mov_b32 v[0:1], s[10:11], s[10:11] op_sel:[0,1]
	s_cbranch_vccnz .LBB143_2245
; %bb.2244:
	s_and_b32 s9, s16, 7
	s_flbit_i32_b32 s11, s9
	s_min_u32 s11, s11, 32
	v_lshrrev_b16_e64 v0, 3, s16
	s_sub_i32 s12, s11, 28
	v_readfirstlane_b32 s10, v0
	s_lshl_b32 s12, s16, s12
	s_lshl_b32 s8, s16, 24
	s_and_b32 s10, s10, 15
	s_sub_i32 s11, 29, s11
	s_and_b32 s12, s12, 7
	s_cmp_eq_u32 s10, 0
	s_cselect_b32 s10, s11, s10
	s_cselect_b32 s9, s12, s9
	s_lshl_b32 s10, s10, 23
	s_and_b32 s8, s8, 0x80000000
	s_add_i32 s10, s10, 0x3b800000
	s_lshl_b32 s9, s9, 20
	s_or_b32 s8, s8, s10
	s_or_b32 s8, s8, s9
	v_trunc_f32_e32 v0, s8
	s_mov_b32 s8, 0x2f800000
	v_mul_f32_e64 v1, |v0|, s8
	v_floor_f32_e32 v1, v1
	s_mov_b32 s8, 0xcf800000
	v_fma_f32 v2, v1, s8, |v0|
	v_cvt_u32_f32_e32 v2, v2
	v_cvt_u32_f32_e32 v1, v1
	v_ashrrev_i32_e32 v3, 31, v0
	v_xor_b32_e32 v0, v2, v3
	v_xor_b32_e32 v1, v1, v3
	v_sub_co_u32_e32 v0, vcc, v0, v3
	v_subb_co_u32_e32 v1, vcc, v1, v3, vcc
.LBB143_2245:
	global_store_dwordx2 v[6:7], v[0:1], off
	s_mov_b64 s[8:9], 0
.LBB143_2246:
	s_and_b64 vcc, exec, s[8:9]
	s_cbranch_vccz .LBB143_2255
; %bb.2247:
	v_mov_b32_e32 v0, 0x80
	v_cmp_lt_i16_sdwa s[8:9], s16, v0 src0_sel:BYTE_0 src1_sel:DWORD
	s_and_b64 vcc, exec, s[8:9]
	s_cbranch_vccnz .LBB143_2249
; %bb.2248:
	v_cmp_ne_u16_sdwa s[8:9], s16, v0 src0_sel:BYTE_0 src1_sel:DWORD
	s_mov_b64 s[10:11], 0
	s_mov_b32 s12, 0
	s_branch .LBB143_2250
.LBB143_2249:
	s_mov_b64 s[10:11], -1
	s_mov_b64 s[8:9], 0
                                        ; implicit-def: $sgpr12
.LBB143_2250:
	s_andn2_b64 vcc, exec, s[10:11]
	s_cbranch_vccnz .LBB143_2252
; %bb.2251:
	v_mov_b32_e32 v0, 0
	s_mov_b32 s12, 0
	v_cmp_ne_u16_sdwa s[8:9], s16, v0 src0_sel:BYTE_0 src1_sel:DWORD
.LBB143_2252:
	s_andn2_b64 vcc, exec, s[8:9]
	v_mov_b32_e32 v0, s12
	s_cbranch_vccnz .LBB143_2254
; %bb.2253:
	s_and_b32 s9, s16, 7
	s_flbit_i32_b32 s11, s9
	s_min_u32 s11, s11, 32
	v_lshrrev_b16_e64 v0, 3, s16
	s_sub_i32 s12, s11, 28
	v_readfirstlane_b32 s10, v0
	s_lshl_b32 s12, s16, s12
	s_lshl_b32 s8, s16, 24
	s_and_b32 s10, s10, 15
	s_sub_i32 s11, 29, s11
	s_and_b32 s12, s12, 7
	s_cmp_eq_u32 s10, 0
	s_cselect_b32 s10, s11, s10
	s_cselect_b32 s9, s12, s9
	s_lshl_b32 s10, s10, 23
	s_and_b32 s8, s8, 0x80000000
	s_add_i32 s10, s10, 0x3b800000
	s_lshl_b32 s9, s9, 20
	s_or_b32 s8, s8, s10
	s_or_b32 s8, s8, s9
	v_cvt_i32_f32_e32 v0, s8
.LBB143_2254:
	global_store_dword v[6:7], v0, off
.LBB143_2255:
	s_mov_b64 s[8:9], 0
.LBB143_2256:
	s_andn2_b64 vcc, exec, s[8:9]
	s_cbranch_vccnz .LBB143_2265
; %bb.2257:
	v_mov_b32_e32 v0, 0x80
	v_cmp_lt_i16_sdwa s[8:9], s16, v0 src0_sel:BYTE_0 src1_sel:DWORD
	s_and_b64 vcc, exec, s[8:9]
	s_cbranch_vccnz .LBB143_2259
; %bb.2258:
	v_cmp_ne_u16_sdwa s[8:9], s16, v0 src0_sel:BYTE_0 src1_sel:DWORD
	s_mov_b64 s[10:11], 0
	s_mov_b32 s12, 0
	s_branch .LBB143_2260
.LBB143_2259:
	s_mov_b64 s[10:11], -1
	s_mov_b64 s[8:9], 0
                                        ; implicit-def: $sgpr12
.LBB143_2260:
	s_andn2_b64 vcc, exec, s[10:11]
	s_cbranch_vccnz .LBB143_2262
; %bb.2261:
	v_mov_b32_e32 v0, 0
	s_mov_b32 s12, 0
	v_cmp_ne_u16_sdwa s[8:9], s16, v0 src0_sel:BYTE_0 src1_sel:DWORD
.LBB143_2262:
	s_andn2_b64 vcc, exec, s[8:9]
	v_mov_b32_e32 v0, s12
	s_cbranch_vccnz .LBB143_2264
; %bb.2263:
	s_and_b32 s9, s16, 7
	s_flbit_i32_b32 s11, s9
	s_min_u32 s11, s11, 32
	v_lshrrev_b16_e64 v0, 3, s16
	s_sub_i32 s12, s11, 28
	v_readfirstlane_b32 s10, v0
	s_lshl_b32 s12, s16, s12
	s_lshl_b32 s8, s16, 24
	s_and_b32 s10, s10, 15
	s_sub_i32 s11, 29, s11
	s_and_b32 s12, s12, 7
	s_cmp_eq_u32 s10, 0
	s_cselect_b32 s10, s11, s10
	s_cselect_b32 s9, s12, s9
	s_lshl_b32 s10, s10, 23
	s_and_b32 s8, s8, 0x80000000
	s_add_i32 s10, s10, 0x3b800000
	s_lshl_b32 s9, s9, 20
	s_or_b32 s8, s8, s10
	s_or_b32 s8, s8, s9
	v_cvt_i32_f32_e32 v0, s8
.LBB143_2264:
	global_store_short v[6:7], v0, off
.LBB143_2265:
	s_mov_b64 s[8:9], 0
.LBB143_2266:
	s_andn2_b64 vcc, exec, s[8:9]
	s_cbranch_vccnz .LBB143_2285
; %bb.2267:
	v_mov_b32_e32 v0, 0
	v_cmp_gt_i16_sdwa s[10:11], s16, v0 src0_sel:BYTE_1 src1_sel:DWORD
	s_mov_b64 s[8:9], -1
	s_and_b64 vcc, exec, s[10:11]
	s_cbranch_vccz .LBB143_2276
; %bb.2268:
	v_mov_b32_e32 v0, 0x80
	v_cmp_lt_i16_sdwa s[8:9], s16, v0 src0_sel:BYTE_0 src1_sel:DWORD
	s_and_b64 vcc, exec, s[8:9]
	s_cbranch_vccnz .LBB143_2270
; %bb.2269:
	v_cmp_ne_u16_sdwa s[8:9], s16, v0 src0_sel:BYTE_0 src1_sel:DWORD
	s_mov_b64 s[10:11], 0
	s_mov_b32 s12, 0
	s_branch .LBB143_2271
.LBB143_2270:
	s_mov_b64 s[10:11], -1
	s_mov_b64 s[8:9], 0
                                        ; implicit-def: $sgpr12
.LBB143_2271:
	s_andn2_b64 vcc, exec, s[10:11]
	s_cbranch_vccnz .LBB143_2273
; %bb.2272:
	v_mov_b32_e32 v0, 0
	s_mov_b32 s12, 0
	v_cmp_ne_u16_sdwa s[8:9], s16, v0 src0_sel:BYTE_0 src1_sel:DWORD
.LBB143_2273:
	s_andn2_b64 vcc, exec, s[8:9]
	v_mov_b32_e32 v0, s12
	s_cbranch_vccnz .LBB143_2275
; %bb.2274:
	s_and_b32 s9, s16, 7
	s_flbit_i32_b32 s11, s9
	s_min_u32 s11, s11, 32
	v_lshrrev_b16_e64 v0, 3, s16
	s_sub_i32 s12, s11, 28
	v_readfirstlane_b32 s10, v0
	s_lshl_b32 s12, s16, s12
	s_lshl_b32 s8, s16, 24
	s_and_b32 s10, s10, 15
	s_sub_i32 s11, 29, s11
	s_and_b32 s12, s12, 7
	s_cmp_eq_u32 s10, 0
	s_cselect_b32 s10, s11, s10
	s_cselect_b32 s9, s12, s9
	s_lshl_b32 s10, s10, 23
	s_and_b32 s8, s8, 0x80000000
	s_add_i32 s10, s10, 0x3b800000
	s_lshl_b32 s9, s9, 20
	s_or_b32 s8, s8, s10
	s_or_b32 s8, s8, s9
	v_cvt_i32_f32_e32 v0, s8
.LBB143_2275:
	global_store_byte v[6:7], v0, off
	s_mov_b64 s[8:9], 0
.LBB143_2276:
	s_and_b64 vcc, exec, s[8:9]
	s_cbranch_vccz .LBB143_2285
; %bb.2277:
	v_mov_b32_e32 v0, 0x80
	v_cmp_lt_i16_sdwa s[8:9], s16, v0 src0_sel:BYTE_0 src1_sel:DWORD
	s_and_b64 vcc, exec, s[8:9]
	s_cbranch_vccnz .LBB143_2279
; %bb.2278:
	v_cmp_ne_u16_sdwa s[8:9], s16, v0 src0_sel:BYTE_0 src1_sel:DWORD
	s_mov_b64 s[10:11], 0
	s_mov_b32 s12, 0
	s_branch .LBB143_2280
.LBB143_2279:
	s_mov_b64 s[10:11], -1
	s_mov_b64 s[8:9], 0
                                        ; implicit-def: $sgpr12
.LBB143_2280:
	s_andn2_b64 vcc, exec, s[10:11]
	s_cbranch_vccnz .LBB143_2282
; %bb.2281:
	v_mov_b32_e32 v0, 0
	s_mov_b32 s12, 0
	v_cmp_ne_u16_sdwa s[8:9], s16, v0 src0_sel:BYTE_0 src1_sel:DWORD
.LBB143_2282:
	s_andn2_b64 vcc, exec, s[8:9]
	v_mov_b32_e32 v0, s12
	s_cbranch_vccnz .LBB143_2284
; %bb.2283:
	s_and_b32 s9, s16, 7
	s_flbit_i32_b32 s11, s9
	s_min_u32 s11, s11, 32
	v_lshrrev_b16_e64 v0, 3, s16
	s_sub_i32 s12, s11, 28
	v_readfirstlane_b32 s10, v0
	s_lshl_b32 s12, s16, s12
	s_lshl_b32 s8, s16, 24
	s_and_b32 s10, s10, 15
	s_sub_i32 s11, 29, s11
	s_and_b32 s12, s12, 7
	s_cmp_eq_u32 s10, 0
	s_cselect_b32 s10, s11, s10
	s_cselect_b32 s9, s12, s9
	s_lshl_b32 s10, s10, 23
	s_and_b32 s8, s8, 0x80000000
	s_add_i32 s10, s10, 0x3b800000
	s_lshl_b32 s9, s9, 20
	s_or_b32 s8, s8, s10
	s_or_b32 s8, s8, s9
	v_trunc_f32_e32 v0, s8
	s_mov_b32 s8, 0x2f800000
	v_mul_f32_e64 v1, |v0|, s8
	v_floor_f32_e32 v1, v1
	s_mov_b32 s8, 0xcf800000
	v_fma_f32 v1, v1, s8, |v0|
	v_cvt_u32_f32_e32 v1, v1
	v_ashrrev_i32_e32 v0, 31, v0
	v_xor_b32_e32 v1, v1, v0
	v_sub_u32_e32 v0, v1, v0
.LBB143_2284:
	global_store_byte v[6:7], v0, off
.LBB143_2285:
	s_branch .LBB143_1978
.LBB143_2286:
	s_mov_b64 s[2:3], 0
	s_mov_b64 s[4:5], 0
                                        ; implicit-def: $vgpr4_vgpr5
                                        ; implicit-def: $vgpr6
.LBB143_2287:
	s_and_b64 s[28:29], s[4:5], exec
	s_andn2_b64 s[4:5], s[6:7], exec
	s_and_b64 s[0:1], s[0:1], exec
	s_and_b64 s[2:3], s[2:3], exec
	s_or_b64 s[6:7], s[4:5], s[0:1]
.LBB143_2288:
	s_or_b64 exec, exec, s[26:27]
	s_and_saveexec_b64 s[0:1], s[6:7]
	s_cbranch_execz .LBB143_2291
; %bb.2289:
	; divergent unreachable
	s_or_b64 exec, exec, s[0:1]
	s_and_saveexec_b64 s[0:1], s[28:29]
	s_cbranch_execnz .LBB143_2292
.LBB143_2290:
	s_or_b64 exec, exec, s[0:1]
	s_and_saveexec_b64 s[0:1], s[2:3]
	s_cbranch_execnz .LBB143_2300
	s_branch .LBB143_2429
.LBB143_2291:
	s_or_b64 exec, exec, s[0:1]
	s_and_saveexec_b64 s[0:1], s[28:29]
	s_cbranch_execz .LBB143_2290
.LBB143_2292:
	v_mov_b32_e32 v0, 0x80
	v_cmp_lt_i16_sdwa s[4:5], s16, v0 src0_sel:BYTE_0 src1_sel:DWORD
	s_and_b64 vcc, exec, s[4:5]
	s_cbranch_vccnz .LBB143_2295
; %bb.2293:
	v_cmp_eq_u16_sdwa s[4:5], s16, v0 src0_sel:BYTE_0 src1_sel:DWORD
	s_and_b64 vcc, exec, s[4:5]
	s_cbranch_vccz .LBB143_2307
; %bb.2294:
	s_mov_b64 s[6:7], 0
	s_mov_b64 s[4:5], -1
	s_branch .LBB143_2297
.LBB143_2295:
	s_mov_b64 s[6:7], 0
                                        ; implicit-def: $sgpr4_sgpr5
	s_cbranch_execz .LBB143_2297
; %bb.2296:
	v_mov_b32_e32 v0, 0
	v_cmp_ne_u16_sdwa s[6:7], s16, v0 src0_sel:BYTE_0 src1_sel:DWORD
	s_mov_b64 s[4:5], 0
.LBB143_2297:
	s_andn2_b64 vcc, exec, s[6:7]
	s_cbranch_vccnz .LBB143_2299
; %bb.2298:
	s_and_b32 s4, s16, 7
	s_flbit_i32_b32 s6, s4
	s_min_u32 s6, s6, 32
	v_lshrrev_b16_e64 v0, 3, s16
	s_sub_i32 s7, s6, 28
	v_readfirstlane_b32 s5, v0
	s_lshl_b32 s7, s16, s7
	s_and_b32 s5, s5, 15
	s_sub_i32 s6, 29, s6
	s_and_b32 s7, s7, 7
	s_cmp_eq_u32 s5, 0
	s_cselect_b32 s5, s6, s5
	s_cselect_b32 s4, s7, s4
	s_lshl_b32 s5, s5, 23
	s_add_i32 s5, s5, 0x3b800000
	s_lshl_b32 s4, s4, 20
	s_and_b32 s5, s5, 0x7f800000
	s_or_b32 s4, s5, s4
	s_cmp_lg_u32 s4, 0
	s_cselect_b64 s[4:5], -1, 0
.LBB143_2299:
	v_cndmask_b32_e64 v0, 0, 1, s[4:5]
	global_store_byte v[4:5], v0, off
	s_or_b64 exec, exec, s[0:1]
	s_and_saveexec_b64 s[0:1], s[2:3]
	s_cbranch_execz .LBB143_2429
.LBB143_2300:
	v_cmp_gt_i16_e32 vcc, 5, v6
	s_mov_b64 s[0:1], -1
	s_cbranch_vccnz .LBB143_2382
; %bb.2301:
	v_cmp_gt_i16_e32 vcc, 8, v6
	s_cbranch_vccnz .LBB143_2334
; %bb.2302:
	v_cmp_gt_i16_e32 vcc, 9, v6
	s_cbranch_vccnz .LBB143_2329
; %bb.2303:
	v_cmp_lt_i16_e32 vcc, 9, v6
	s_cbranch_vccz .LBB143_2316
; %bb.2304:
	v_mov_b32_e32 v0, 0x80
	v_cmp_lt_i16_sdwa s[0:1], s16, v0 src0_sel:BYTE_0 src1_sel:DWORD
	s_and_b64 vcc, exec, s[0:1]
	s_cbranch_vccnz .LBB143_2308
; %bb.2305:
	v_cmp_eq_u16_sdwa s[0:1], s16, v0 src0_sel:BYTE_0 src1_sel:DWORD
	s_and_b64 vcc, exec, s[0:1]
	s_cbranch_vccz .LBB143_2309
; %bb.2306:
	s_mov_b64 s[0:1], 0
	s_mov_b32 s3, 0x7ff80000
	s_brev_b32 s2, 4
	s_branch .LBB143_2310
.LBB143_2307:
	s_mov_b64 s[6:7], -1
                                        ; implicit-def: $sgpr4_sgpr5
	s_branch .LBB143_2297
.LBB143_2308:
	s_mov_b64 s[4:5], -1
	s_mov_b64 s[0:1], 0
                                        ; implicit-def: $sgpr2_sgpr3
	s_branch .LBB143_2311
.LBB143_2309:
	s_mov_b64 s[0:1], -1
                                        ; implicit-def: $sgpr2_sgpr3
.LBB143_2310:
	s_mov_b64 s[4:5], 0
.LBB143_2311:
	s_and_b64 vcc, exec, s[4:5]
	s_cbranch_vccz .LBB143_2313
; %bb.2312:
	v_mov_b32_e32 v0, 0
	v_cmp_ne_u16_sdwa s[0:1], s16, v0 src0_sel:BYTE_0 src1_sel:DWORD
	s_mov_b64 s[2:3], 0
.LBB143_2313:
	s_andn2_b64 vcc, exec, s[0:1]
	v_pk_mov_b32 v[0:1], s[2:3], s[2:3] op_sel:[0,1]
	s_cbranch_vccnz .LBB143_2315
; %bb.2314:
	s_and_b32 s1, s16, 7
	s_flbit_i32_b32 s3, s1
	s_min_u32 s3, s3, 32
	v_lshrrev_b16_e64 v0, 3, s16
	s_sub_i32 s4, s3, 28
	v_readfirstlane_b32 s2, v0
	s_lshl_b32 s4, s16, s4
	s_lshl_b32 s0, s16, 24
	s_and_b32 s2, s2, 15
	s_sub_i32 s3, 29, s3
	s_and_b32 s4, s4, 7
	s_cmp_eq_u32 s2, 0
	s_cselect_b32 s2, s3, s2
	s_cselect_b32 s1, s4, s1
	s_lshl_b32 s2, s2, 23
	s_and_b32 s0, s0, 0x80000000
	s_add_i32 s2, s2, 0x3b800000
	s_lshl_b32 s1, s1, 20
	s_or_b32 s0, s0, s2
	s_or_b32 s0, s0, s1
	v_cvt_f64_f32_e32 v[0:1], s0
.LBB143_2315:
	v_mov_b32_e32 v2, 0
	v_mov_b32_e32 v3, v2
	global_store_dwordx4 v[4:5], v[0:3], off
	s_mov_b64 s[0:1], 0
.LBB143_2316:
	s_and_b64 vcc, exec, s[0:1]
	s_cbranch_vccz .LBB143_2328
; %bb.2317:
	v_mov_b32_e32 v0, 0x80
	v_cmp_lt_i16_sdwa s[0:1], s16, v0 src0_sel:BYTE_0 src1_sel:DWORD
	s_and_b64 vcc, exec, s[0:1]
	s_cbranch_vccnz .LBB143_2320
; %bb.2318:
	v_cmp_eq_u16_sdwa s[0:1], s16, v0 src0_sel:BYTE_0 src1_sel:DWORD
	s_and_b64 vcc, exec, s[0:1]
	s_cbranch_vccz .LBB143_2321
; %bb.2319:
	s_mov_b64 s[0:1], 0
	s_mov_b32 s4, 0x7f800001
	s_branch .LBB143_2322
.LBB143_2320:
	s_mov_b64 s[2:3], -1
	s_mov_b64 s[0:1], 0
                                        ; implicit-def: $sgpr4
	s_branch .LBB143_2323
.LBB143_2321:
	s_mov_b64 s[0:1], -1
                                        ; implicit-def: $sgpr4
.LBB143_2322:
	s_mov_b64 s[2:3], 0
.LBB143_2323:
	s_and_b64 vcc, exec, s[2:3]
	v_mov_b32_e32 v0, s4
	s_cbranch_vccz .LBB143_2325
; %bb.2324:
	s_mov_b32 s0, 0xffff
	v_mov_b32_e32 v0, s16
	v_mov_b32_e32 v1, 0
	v_and_b32_sdwa v0, s0, v0 dst_sel:DWORD dst_unused:UNUSED_PAD src0_sel:DWORD src1_sel:BYTE_0
	v_cmp_ne_u16_sdwa s[0:1], s16, v1 src0_sel:BYTE_0 src1_sel:DWORD
.LBB143_2325:
	s_andn2_b64 vcc, exec, s[0:1]
	s_cbranch_vccnz .LBB143_2327
; %bb.2326:
	s_and_b32 s1, s16, 7
	s_flbit_i32_b32 s3, s1
	s_min_u32 s3, s3, 32
	v_lshrrev_b16_e64 v0, 3, s16
	s_sub_i32 s4, s3, 28
	v_readfirstlane_b32 s2, v0
	s_lshl_b32 s4, s16, s4
	s_lshl_b32 s0, s16, 24
	s_and_b32 s2, s2, 15
	s_sub_i32 s3, 29, s3
	s_and_b32 s4, s4, 7
	s_cmp_eq_u32 s2, 0
	s_cselect_b32 s2, s3, s2
	s_cselect_b32 s1, s4, s1
	s_lshl_b32 s2, s2, 23
	s_and_b32 s0, s0, 0x80000000
	s_add_i32 s2, s2, 0x3b800000
	s_lshl_b32 s1, s1, 20
	s_or_b32 s0, s0, s2
	s_or_b32 s0, s0, s1
	v_mov_b32_e32 v0, s0
.LBB143_2327:
	v_mov_b32_e32 v1, 0
	global_store_dwordx2 v[4:5], v[0:1], off
.LBB143_2328:
	s_mov_b64 s[0:1], 0
.LBB143_2329:
	s_andn2_b64 vcc, exec, s[0:1]
	s_cbranch_vccnz .LBB143_2333
; %bb.2330:
	v_mov_b32_e32 v0, 0x80
	v_cmp_lt_i16_sdwa s[0:1], s16, v0 src0_sel:BYTE_0 src1_sel:DWORD
	s_and_b64 vcc, exec, s[0:1]
	s_cbranch_vccnz .LBB143_2340
; %bb.2331:
	v_cmp_eq_u16_sdwa s[0:1], s16, v0 src0_sel:BYTE_0 src1_sel:DWORD
	s_and_b64 vcc, exec, s[0:1]
	s_cbranch_vccz .LBB143_2341
; %bb.2332:
	s_mov_b64 s[0:1], 0
	s_movk_i32 s4, 0x7e00
	s_branch .LBB143_2342
.LBB143_2333:
	s_mov_b64 s[0:1], 0
.LBB143_2334:
	s_andn2_b64 vcc, exec, s[0:1]
	s_cbranch_vccnz .LBB143_2381
.LBB143_2335:
	v_cmp_gt_i16_e32 vcc, 6, v6
	s_mov_b64 s[0:1], -1
	s_cbranch_vccnz .LBB143_2369
; %bb.2336:
	v_cmp_lt_i16_e32 vcc, 6, v6
	s_cbranch_vccz .LBB143_2356
; %bb.2337:
	v_mov_b32_e32 v0, 0x80
	v_cmp_lt_i16_sdwa s[0:1], s16, v0 src0_sel:BYTE_0 src1_sel:DWORD
	s_and_b64 vcc, exec, s[0:1]
	s_cbranch_vccnz .LBB143_2348
; %bb.2338:
	v_cmp_eq_u16_sdwa s[0:1], s16, v0 src0_sel:BYTE_0 src1_sel:DWORD
	s_and_b64 vcc, exec, s[0:1]
	s_cbranch_vccz .LBB143_2349
; %bb.2339:
	s_mov_b64 s[0:1], 0
	s_mov_b32 s3, 0x7ff80000
	s_brev_b32 s2, 4
	s_branch .LBB143_2350
.LBB143_2340:
	s_mov_b64 s[2:3], -1
	s_mov_b64 s[0:1], 0
                                        ; implicit-def: $sgpr4
	s_branch .LBB143_2343
.LBB143_2341:
	s_mov_b64 s[0:1], -1
                                        ; implicit-def: $sgpr4
.LBB143_2342:
	s_mov_b64 s[2:3], 0
.LBB143_2343:
	s_and_b64 vcc, exec, s[2:3]
	v_mov_b32_e32 v0, s4
	s_cbranch_vccz .LBB143_2345
; %bb.2344:
	s_mov_b32 s0, 0xffff
	v_mov_b32_e32 v0, s16
	v_mov_b32_e32 v1, 0
	v_and_b32_sdwa v0, s0, v0 dst_sel:DWORD dst_unused:UNUSED_PAD src0_sel:DWORD src1_sel:BYTE_0
	v_cmp_ne_u16_sdwa s[0:1], s16, v1 src0_sel:BYTE_0 src1_sel:DWORD
.LBB143_2345:
	s_andn2_b64 vcc, exec, s[0:1]
	s_cbranch_vccnz .LBB143_2347
; %bb.2346:
	s_and_b32 s1, s16, 7
	s_flbit_i32_b32 s3, s1
	s_min_u32 s3, s3, 32
	v_lshrrev_b16_e64 v0, 3, s16
	s_sub_i32 s4, s3, 28
	v_readfirstlane_b32 s2, v0
	s_lshl_b32 s4, s16, s4
	s_lshl_b32 s0, s16, 24
	s_and_b32 s2, s2, 15
	s_sub_i32 s3, 29, s3
	s_and_b32 s4, s4, 7
	s_cmp_eq_u32 s2, 0
	s_cselect_b32 s2, s3, s2
	s_cselect_b32 s1, s4, s1
	s_lshl_b32 s2, s2, 23
	s_and_b32 s0, s0, 0x80000000
	s_add_i32 s2, s2, 0x3b800000
	s_lshl_b32 s1, s1, 20
	s_or_b32 s0, s0, s2
	s_or_b32 s0, s0, s1
	v_cvt_f16_f32_e32 v0, s0
.LBB143_2347:
	global_store_dword v[4:5], v0, off
	s_cbranch_execz .LBB143_2335
	s_branch .LBB143_2381
.LBB143_2348:
	s_mov_b64 s[4:5], -1
	s_mov_b64 s[0:1], 0
                                        ; implicit-def: $sgpr2_sgpr3
	s_branch .LBB143_2351
.LBB143_2349:
	s_mov_b64 s[0:1], -1
                                        ; implicit-def: $sgpr2_sgpr3
.LBB143_2350:
	s_mov_b64 s[4:5], 0
.LBB143_2351:
	s_and_b64 vcc, exec, s[4:5]
	s_cbranch_vccz .LBB143_2353
; %bb.2352:
	v_mov_b32_e32 v0, 0
	v_cmp_ne_u16_sdwa s[0:1], s16, v0 src0_sel:BYTE_0 src1_sel:DWORD
	s_mov_b64 s[2:3], 0
.LBB143_2353:
	s_andn2_b64 vcc, exec, s[0:1]
	v_pk_mov_b32 v[0:1], s[2:3], s[2:3] op_sel:[0,1]
	s_cbranch_vccnz .LBB143_2355
; %bb.2354:
	s_and_b32 s1, s16, 7
	s_flbit_i32_b32 s3, s1
	s_min_u32 s3, s3, 32
	v_lshrrev_b16_e64 v0, 3, s16
	s_sub_i32 s4, s3, 28
	v_readfirstlane_b32 s2, v0
	s_lshl_b32 s4, s16, s4
	s_lshl_b32 s0, s16, 24
	s_and_b32 s2, s2, 15
	s_sub_i32 s3, 29, s3
	s_and_b32 s4, s4, 7
	s_cmp_eq_u32 s2, 0
	s_cselect_b32 s2, s3, s2
	s_cselect_b32 s1, s4, s1
	s_lshl_b32 s2, s2, 23
	s_and_b32 s0, s0, 0x80000000
	s_add_i32 s2, s2, 0x3b800000
	s_lshl_b32 s1, s1, 20
	s_or_b32 s0, s0, s2
	s_or_b32 s0, s0, s1
	v_cvt_f64_f32_e32 v[0:1], s0
.LBB143_2355:
	global_store_dwordx2 v[4:5], v[0:1], off
	s_mov_b64 s[0:1], 0
.LBB143_2356:
	s_and_b64 vcc, exec, s[0:1]
	s_cbranch_vccz .LBB143_2368
; %bb.2357:
	v_mov_b32_e32 v0, 0x80
	v_cmp_lt_i16_sdwa s[0:1], s16, v0 src0_sel:BYTE_0 src1_sel:DWORD
	s_and_b64 vcc, exec, s[0:1]
	s_cbranch_vccnz .LBB143_2360
; %bb.2358:
	v_cmp_eq_u16_sdwa s[0:1], s16, v0 src0_sel:BYTE_0 src1_sel:DWORD
	s_and_b64 vcc, exec, s[0:1]
	s_cbranch_vccz .LBB143_2361
; %bb.2359:
	s_mov_b64 s[0:1], 0
	s_mov_b32 s4, 0x7f800001
	s_branch .LBB143_2362
.LBB143_2360:
	s_mov_b64 s[2:3], -1
	s_mov_b64 s[0:1], 0
                                        ; implicit-def: $sgpr4
	s_branch .LBB143_2363
.LBB143_2361:
	s_mov_b64 s[0:1], -1
                                        ; implicit-def: $sgpr4
.LBB143_2362:
	s_mov_b64 s[2:3], 0
.LBB143_2363:
	s_and_b64 vcc, exec, s[2:3]
	v_mov_b32_e32 v0, s4
	s_cbranch_vccz .LBB143_2365
; %bb.2364:
	s_mov_b32 s0, 0xffff
	v_mov_b32_e32 v0, s16
	v_mov_b32_e32 v1, 0
	v_and_b32_sdwa v0, s0, v0 dst_sel:DWORD dst_unused:UNUSED_PAD src0_sel:DWORD src1_sel:BYTE_0
	v_cmp_ne_u16_sdwa s[0:1], s16, v1 src0_sel:BYTE_0 src1_sel:DWORD
.LBB143_2365:
	s_andn2_b64 vcc, exec, s[0:1]
	s_cbranch_vccnz .LBB143_2367
; %bb.2366:
	s_and_b32 s1, s16, 7
	s_flbit_i32_b32 s3, s1
	s_min_u32 s3, s3, 32
	v_lshrrev_b16_e64 v0, 3, s16
	s_sub_i32 s4, s3, 28
	v_readfirstlane_b32 s2, v0
	s_lshl_b32 s4, s16, s4
	s_lshl_b32 s0, s16, 24
	s_and_b32 s2, s2, 15
	s_sub_i32 s3, 29, s3
	s_and_b32 s4, s4, 7
	s_cmp_eq_u32 s2, 0
	s_cselect_b32 s2, s3, s2
	s_cselect_b32 s1, s4, s1
	s_lshl_b32 s2, s2, 23
	s_and_b32 s0, s0, 0x80000000
	s_add_i32 s2, s2, 0x3b800000
	s_lshl_b32 s1, s1, 20
	s_or_b32 s0, s0, s2
	s_or_b32 s0, s0, s1
	v_mov_b32_e32 v0, s0
.LBB143_2367:
	global_store_dword v[4:5], v0, off
.LBB143_2368:
	s_mov_b64 s[0:1], 0
.LBB143_2369:
	s_andn2_b64 vcc, exec, s[0:1]
	s_cbranch_vccnz .LBB143_2381
; %bb.2370:
	v_mov_b32_e32 v0, 0xff
	v_and_b32_e32 v0, s16, v0
	s_movk_i32 s0, 0x80
	v_cmp_gt_i16_e32 vcc, s0, v0
	s_cbranch_vccnz .LBB143_2373
; %bb.2371:
	v_cmp_eq_u16_e32 vcc, s0, v0
	s_cbranch_vccz .LBB143_2374
; %bb.2372:
	s_mov_b64 s[0:1], 0
	s_movk_i32 s4, 0x7e00
	s_branch .LBB143_2375
.LBB143_2373:
	s_mov_b64 s[2:3], -1
	s_mov_b64 s[0:1], 0
                                        ; implicit-def: $sgpr4
	s_branch .LBB143_2376
.LBB143_2374:
	s_mov_b64 s[0:1], -1
                                        ; implicit-def: $sgpr4
.LBB143_2375:
	s_mov_b64 s[2:3], 0
.LBB143_2376:
	s_and_b64 vcc, exec, s[2:3]
	v_mov_b32_e32 v1, s4
	s_cbranch_vccz .LBB143_2378
; %bb.2377:
	v_cmp_ne_u16_e64 s[0:1], 0, v0
	v_mov_b32_e32 v1, v0
.LBB143_2378:
	s_andn2_b64 vcc, exec, s[0:1]
	s_cbranch_vccnz .LBB143_2380
; %bb.2379:
	s_and_b32 s1, s16, 7
	s_flbit_i32_b32 s3, s1
	s_min_u32 s3, s3, 32
	v_lshrrev_b16_e64 v0, 3, s16
	s_sub_i32 s4, s3, 28
	v_readfirstlane_b32 s2, v0
	s_lshl_b32 s4, s16, s4
	s_lshl_b32 s0, s16, 24
	s_and_b32 s2, s2, 15
	s_sub_i32 s3, 29, s3
	s_and_b32 s4, s4, 7
	s_cmp_eq_u32 s2, 0
	s_cselect_b32 s2, s3, s2
	s_cselect_b32 s1, s4, s1
	s_lshl_b32 s2, s2, 23
	s_and_b32 s0, s0, 0x80000000
	s_add_i32 s2, s2, 0x3b800000
	s_lshl_b32 s1, s1, 20
	s_or_b32 s0, s0, s2
	s_or_b32 s0, s0, s1
	v_cvt_f16_f32_e32 v1, s0
.LBB143_2380:
	global_store_short v[4:5], v1, off
.LBB143_2381:
	s_mov_b64 s[0:1], 0
.LBB143_2382:
	s_andn2_b64 vcc, exec, s[0:1]
	s_cbranch_vccnz .LBB143_2429
; %bb.2383:
	v_cmp_gt_i16_e32 vcc, 2, v6
	s_mov_b64 s[0:1], -1
	s_cbranch_vccnz .LBB143_2408
; %bb.2384:
	v_cmp_gt_i16_e32 vcc, 3, v6
	s_cbranch_vccnz .LBB143_2404
; %bb.2385:
	v_cmp_lt_i16_e32 vcc, 3, v6
	s_cbranch_vccz .LBB143_2394
; %bb.2386:
	v_mov_b32_e32 v0, 0x80
	v_cmp_lt_i16_sdwa s[0:1], s16, v0 src0_sel:BYTE_0 src1_sel:DWORD
	s_and_b64 vcc, exec, s[0:1]
	s_cbranch_vccnz .LBB143_2388
; %bb.2387:
	v_cmp_ne_u16_sdwa s[0:1], s16, v0 src0_sel:BYTE_0 src1_sel:DWORD
	s_mov_b64 s[4:5], 0
	s_mov_b64 s[2:3], 0
	s_branch .LBB143_2389
.LBB143_2388:
	s_mov_b64 s[4:5], -1
	s_mov_b64 s[0:1], 0
                                        ; implicit-def: $sgpr2_sgpr3
.LBB143_2389:
	s_andn2_b64 vcc, exec, s[4:5]
	s_cbranch_vccnz .LBB143_2391
; %bb.2390:
	v_mov_b32_e32 v0, 0
	v_cmp_ne_u16_sdwa s[0:1], s16, v0 src0_sel:BYTE_0 src1_sel:DWORD
	s_mov_b64 s[2:3], 0
.LBB143_2391:
	s_andn2_b64 vcc, exec, s[0:1]
	v_pk_mov_b32 v[0:1], s[2:3], s[2:3] op_sel:[0,1]
	s_cbranch_vccnz .LBB143_2393
; %bb.2392:
	s_and_b32 s1, s16, 7
	s_flbit_i32_b32 s3, s1
	s_min_u32 s3, s3, 32
	v_lshrrev_b16_e64 v0, 3, s16
	s_sub_i32 s4, s3, 28
	v_readfirstlane_b32 s2, v0
	s_lshl_b32 s4, s16, s4
	s_lshl_b32 s0, s16, 24
	s_and_b32 s2, s2, 15
	s_sub_i32 s3, 29, s3
	s_and_b32 s4, s4, 7
	s_cmp_eq_u32 s2, 0
	s_cselect_b32 s2, s3, s2
	s_cselect_b32 s1, s4, s1
	s_lshl_b32 s2, s2, 23
	s_and_b32 s0, s0, 0x80000000
	s_add_i32 s2, s2, 0x3b800000
	s_lshl_b32 s1, s1, 20
	s_or_b32 s0, s0, s2
	s_or_b32 s0, s0, s1
	v_trunc_f32_e32 v0, s0
	s_mov_b32 s0, 0x2f800000
	v_mul_f32_e64 v1, |v0|, s0
	v_floor_f32_e32 v1, v1
	s_mov_b32 s0, 0xcf800000
	v_fma_f32 v2, v1, s0, |v0|
	v_cvt_u32_f32_e32 v2, v2
	v_cvt_u32_f32_e32 v1, v1
	v_ashrrev_i32_e32 v3, 31, v0
	v_xor_b32_e32 v0, v2, v3
	v_xor_b32_e32 v1, v1, v3
	v_sub_co_u32_e32 v0, vcc, v0, v3
	v_subb_co_u32_e32 v1, vcc, v1, v3, vcc
.LBB143_2393:
	global_store_dwordx2 v[4:5], v[0:1], off
	s_mov_b64 s[0:1], 0
.LBB143_2394:
	s_and_b64 vcc, exec, s[0:1]
	s_cbranch_vccz .LBB143_2403
; %bb.2395:
	v_mov_b32_e32 v0, 0x80
	v_cmp_lt_i16_sdwa s[0:1], s16, v0 src0_sel:BYTE_0 src1_sel:DWORD
	s_and_b64 vcc, exec, s[0:1]
	s_cbranch_vccnz .LBB143_2397
; %bb.2396:
	v_cmp_ne_u16_sdwa s[0:1], s16, v0 src0_sel:BYTE_0 src1_sel:DWORD
	s_mov_b64 s[2:3], 0
	s_mov_b32 s4, 0
	s_branch .LBB143_2398
.LBB143_2397:
	s_mov_b64 s[2:3], -1
	s_mov_b64 s[0:1], 0
                                        ; implicit-def: $sgpr4
.LBB143_2398:
	s_andn2_b64 vcc, exec, s[2:3]
	s_cbranch_vccnz .LBB143_2400
; %bb.2399:
	v_mov_b32_e32 v0, 0
	s_mov_b32 s4, 0
	v_cmp_ne_u16_sdwa s[0:1], s16, v0 src0_sel:BYTE_0 src1_sel:DWORD
.LBB143_2400:
	s_andn2_b64 vcc, exec, s[0:1]
	v_mov_b32_e32 v0, s4
	s_cbranch_vccnz .LBB143_2402
; %bb.2401:
	s_and_b32 s1, s16, 7
	s_flbit_i32_b32 s3, s1
	s_min_u32 s3, s3, 32
	v_lshrrev_b16_e64 v0, 3, s16
	s_sub_i32 s4, s3, 28
	v_readfirstlane_b32 s2, v0
	s_lshl_b32 s4, s16, s4
	s_lshl_b32 s0, s16, 24
	s_and_b32 s2, s2, 15
	s_sub_i32 s3, 29, s3
	s_and_b32 s4, s4, 7
	s_cmp_eq_u32 s2, 0
	s_cselect_b32 s2, s3, s2
	s_cselect_b32 s1, s4, s1
	s_lshl_b32 s2, s2, 23
	s_and_b32 s0, s0, 0x80000000
	s_add_i32 s2, s2, 0x3b800000
	s_lshl_b32 s1, s1, 20
	s_or_b32 s0, s0, s2
	s_or_b32 s0, s0, s1
	v_cvt_i32_f32_e32 v0, s0
.LBB143_2402:
	global_store_dword v[4:5], v0, off
.LBB143_2403:
	s_mov_b64 s[0:1], 0
.LBB143_2404:
	s_andn2_b64 vcc, exec, s[0:1]
	s_cbranch_vccnz .LBB143_2407
; %bb.2405:
	v_mov_b32_e32 v0, 0x80
	v_cmp_lt_i16_sdwa s[0:1], s16, v0 src0_sel:BYTE_0 src1_sel:DWORD
	s_and_b64 vcc, exec, s[0:1]
	s_cbranch_vccnz .LBB143_2412
; %bb.2406:
	v_cmp_ne_u16_sdwa s[0:1], s16, v0 src0_sel:BYTE_0 src1_sel:DWORD
	s_mov_b64 s[2:3], 0
	s_mov_b32 s4, 0
	s_branch .LBB143_2413
.LBB143_2407:
	s_mov_b64 s[0:1], 0
.LBB143_2408:
	s_andn2_b64 vcc, exec, s[0:1]
	s_cbranch_vccnz .LBB143_2429
.LBB143_2409:
	v_cmp_lt_i16_e32 vcc, 0, v6
	s_mov_b64 s[0:1], -1
	s_cbranch_vccz .LBB143_2424
; %bb.2410:
	v_mov_b32_e32 v0, 0x80
	v_cmp_lt_i16_sdwa s[0:1], s16, v0 src0_sel:BYTE_0 src1_sel:DWORD
	s_and_b64 vcc, exec, s[0:1]
	s_cbranch_vccnz .LBB143_2418
; %bb.2411:
	v_cmp_ne_u16_sdwa s[0:1], s16, v0 src0_sel:BYTE_0 src1_sel:DWORD
	s_mov_b64 s[2:3], 0
	s_mov_b32 s4, 0
	s_branch .LBB143_2419
.LBB143_2412:
	s_mov_b64 s[2:3], -1
	s_mov_b64 s[0:1], 0
                                        ; implicit-def: $sgpr4
.LBB143_2413:
	s_andn2_b64 vcc, exec, s[2:3]
	s_cbranch_vccnz .LBB143_2415
; %bb.2414:
	v_mov_b32_e32 v0, 0
	s_mov_b32 s4, 0
	v_cmp_ne_u16_sdwa s[0:1], s16, v0 src0_sel:BYTE_0 src1_sel:DWORD
.LBB143_2415:
	s_andn2_b64 vcc, exec, s[0:1]
	v_mov_b32_e32 v0, s4
	s_cbranch_vccnz .LBB143_2417
; %bb.2416:
	s_and_b32 s1, s16, 7
	s_flbit_i32_b32 s3, s1
	s_min_u32 s3, s3, 32
	v_lshrrev_b16_e64 v0, 3, s16
	s_sub_i32 s4, s3, 28
	v_readfirstlane_b32 s2, v0
	s_lshl_b32 s4, s16, s4
	s_lshl_b32 s0, s16, 24
	s_and_b32 s2, s2, 15
	s_sub_i32 s3, 29, s3
	s_and_b32 s4, s4, 7
	s_cmp_eq_u32 s2, 0
	s_cselect_b32 s2, s3, s2
	s_cselect_b32 s1, s4, s1
	s_lshl_b32 s2, s2, 23
	s_and_b32 s0, s0, 0x80000000
	s_add_i32 s2, s2, 0x3b800000
	s_lshl_b32 s1, s1, 20
	s_or_b32 s0, s0, s2
	s_or_b32 s0, s0, s1
	v_cvt_i32_f32_e32 v0, s0
.LBB143_2417:
	global_store_short v[4:5], v0, off
	s_cbranch_execnz .LBB143_2429
	s_branch .LBB143_2409
.LBB143_2418:
	s_mov_b64 s[2:3], -1
	s_mov_b64 s[0:1], 0
                                        ; implicit-def: $sgpr4
.LBB143_2419:
	s_andn2_b64 vcc, exec, s[2:3]
	s_cbranch_vccnz .LBB143_2421
; %bb.2420:
	v_mov_b32_e32 v0, 0
	s_mov_b32 s4, 0
	v_cmp_ne_u16_sdwa s[0:1], s16, v0 src0_sel:BYTE_0 src1_sel:DWORD
.LBB143_2421:
	s_andn2_b64 vcc, exec, s[0:1]
	v_mov_b32_e32 v0, s4
	s_cbranch_vccnz .LBB143_2423
; %bb.2422:
	s_and_b32 s1, s16, 7
	s_flbit_i32_b32 s3, s1
	s_min_u32 s3, s3, 32
	v_lshrrev_b16_e64 v0, 3, s16
	s_sub_i32 s4, s3, 28
	v_readfirstlane_b32 s2, v0
	s_lshl_b32 s4, s16, s4
	s_lshl_b32 s0, s16, 24
	s_and_b32 s2, s2, 15
	s_sub_i32 s3, 29, s3
	s_and_b32 s4, s4, 7
	s_cmp_eq_u32 s2, 0
	s_cselect_b32 s2, s3, s2
	s_cselect_b32 s1, s4, s1
	s_lshl_b32 s2, s2, 23
	s_and_b32 s0, s0, 0x80000000
	s_add_i32 s2, s2, 0x3b800000
	s_lshl_b32 s1, s1, 20
	s_or_b32 s0, s0, s2
	s_or_b32 s0, s0, s1
	v_cvt_i32_f32_e32 v0, s0
.LBB143_2423:
	global_store_byte v[4:5], v0, off
	s_mov_b64 s[0:1], 0
.LBB143_2424:
	s_and_b64 vcc, exec, s[0:1]
	s_cbranch_vccz .LBB143_2429
; %bb.2425:
	v_mov_b32_e32 v0, 0x80
	v_cmp_lt_i16_sdwa s[0:1], s16, v0 src0_sel:BYTE_0 src1_sel:DWORD
	s_and_b64 vcc, exec, s[0:1]
	s_cbranch_vccnz .LBB143_2430
; %bb.2426:
	v_cmp_ne_u16_sdwa s[0:1], s16, v0 src0_sel:BYTE_0 src1_sel:DWORD
	s_mov_b32 s4, 0
	s_cbranch_execz .LBB143_2431
; %bb.2427:
	s_andn2_b64 vcc, exec, s[0:1]
	v_mov_b32_e32 v0, s4
	s_cbranch_vccnz .LBB143_2432
.LBB143_2428:
	s_and_b32 s1, s16, 7
	s_flbit_i32_b32 s3, s1
	s_min_u32 s3, s3, 32
	v_lshrrev_b16_e64 v0, 3, s16
	s_sub_i32 s4, s3, 28
	v_readfirstlane_b32 s2, v0
	s_lshl_b32 s4, s16, s4
	s_lshl_b32 s0, s16, 24
	s_and_b32 s2, s2, 15
	s_sub_i32 s3, 29, s3
	s_and_b32 s4, s4, 7
	s_cmp_eq_u32 s2, 0
	s_cselect_b32 s2, s3, s2
	s_cselect_b32 s1, s4, s1
	s_lshl_b32 s2, s2, 23
	s_and_b32 s0, s0, 0x80000000
	s_add_i32 s2, s2, 0x3b800000
	s_lshl_b32 s1, s1, 20
	s_or_b32 s0, s0, s2
	s_or_b32 s0, s0, s1
	v_trunc_f32_e32 v0, s0
	s_mov_b32 s0, 0x2f800000
	v_mul_f32_e64 v1, |v0|, s0
	v_floor_f32_e32 v1, v1
	s_mov_b32 s0, 0xcf800000
	v_fma_f32 v1, v1, s0, |v0|
	v_cvt_u32_f32_e32 v1, v1
	v_ashrrev_i32_e32 v0, 31, v0
	v_xor_b32_e32 v1, v1, v0
	v_sub_u32_e32 v0, v1, v0
	global_store_byte v[4:5], v0, off
	s_endpgm
.LBB143_2429:
	s_endpgm
.LBB143_2430:
	s_mov_b64 s[0:1], 0
                                        ; implicit-def: $sgpr4
.LBB143_2431:
	v_mov_b32_e32 v0, 0
	s_mov_b32 s4, 0
	v_cmp_ne_u16_sdwa s[0:1], s16, v0 src0_sel:BYTE_0 src1_sel:DWORD
	s_andn2_b64 vcc, exec, s[0:1]
	v_mov_b32_e32 v0, s4
	s_cbranch_vccz .LBB143_2428
.LBB143_2432:
	global_store_byte v[4:5], v0, off
	s_endpgm
.LBB143_2433:
	s_mov_b64 s[2:3], -1
                                        ; implicit-def: $sgpr10
.LBB143_2434:
	s_mov_b64 s[8:9], 0
.LBB143_2435:
	s_and_b64 vcc, exec, s[8:9]
	s_cbranch_vccz .LBB143_2437
; %bb.2436:
	v_mov_b32_e32 v0, 0
	s_mov_b32 s10, 0
	v_cmp_ne_u16_sdwa s[2:3], s16, v0 src0_sel:BYTE_0 src1_sel:DWORD
.LBB143_2437:
	s_andn2_b64 vcc, exec, s[2:3]
	s_cbranch_vccnz .LBB143_2439
; %bb.2438:
	s_and_b32 s3, s16, 7
	s_flbit_i32_b32 s9, s3
	s_min_u32 s9, s9, 32
	v_lshrrev_b16_e64 v0, 3, s16
	s_sub_i32 s10, s9, 28
	v_readfirstlane_b32 s8, v0
	s_lshl_b32 s10, s16, s10
	s_lshl_b32 s2, s16, 24
	s_and_b32 s8, s8, 15
	s_sub_i32 s9, 29, s9
	s_and_b32 s10, s10, 7
	s_cmp_eq_u32 s8, 0
	s_cselect_b32 s8, s9, s8
	s_cselect_b32 s3, s10, s3
	s_lshl_b32 s8, s8, 23
	s_and_b32 s2, s2, 0x80000000
	s_add_i32 s8, s8, 0x3b800000
	s_lshl_b32 s3, s3, 20
	s_or_b32 s2, s2, s8
	s_or_b32 s10, s2, s3
.LBB143_2439:
	s_bfe_u32 s2, s10, 0x10010
	s_add_i32 s2, s10, s2
	s_addk_i32 s2, 0x7fff
	s_lshr_b32 s8, s2, 16
	v_cmp_o_f32_e64 s[2:3], s10, s10
	s_and_b64 s[2:3], s[2:3], exec
	s_cselect_b32 s2, s8, 0x7fc0
	v_mov_b32_e32 v0, s2
	global_store_dword v[4:5], v0, off
	s_mov_b64 s[2:3], 0
.LBB143_2440:
	s_mov_b64 s[8:9], 0
.LBB143_2441:
	s_and_b64 vcc, exec, s[8:9]
	s_cbranch_vccz .LBB143_2454
; %bb.2442:
	v_cmp_eq_u16_e32 vcc, 44, v6
	s_mov_b64 s[2:3], -1
	s_cbranch_vccz .LBB143_2454
; %bb.2443:
	v_mov_b32_e32 v0, 0xff
	v_and_b32_e32 v0, s16, v0
	s_movk_i32 s2, 0x80
	v_cmp_gt_i16_e32 vcc, s2, v0
	v_readfirstlane_b32 s11, v0
	s_cbranch_vccnz .LBB143_2446
; %bb.2444:
	v_mov_b32_e32 v0, 0x80
	v_cmp_eq_u16_e32 vcc, s11, v0
	s_cbranch_vccz .LBB143_2447
; %bb.2445:
	s_mov_b64 s[2:3], 0
	s_mov_b32 s10, 0x7f800001
	s_branch .LBB143_2448
.LBB143_2446:
	s_mov_b64 s[8:9], -1
	s_mov_b64 s[2:3], 0
                                        ; implicit-def: $sgpr10
	s_branch .LBB143_2449
.LBB143_2447:
	s_mov_b64 s[2:3], -1
                                        ; implicit-def: $sgpr10
.LBB143_2448:
	s_mov_b64 s[8:9], 0
.LBB143_2449:
	s_and_b64 vcc, exec, s[8:9]
	s_cbranch_vccz .LBB143_2459
; %bb.2450:
	s_and_b32 s10, 0xffff, s11
	v_cmp_ne_u16_e64 s[2:3], s11, 0
	s_andn2_b64 vcc, exec, s[2:3]
	s_cbranch_vccz .LBB143_2460
.LBB143_2451:
	s_bfe_u32 s2, s10, 0x80017
	s_cmpk_eq_i32 s2, 0xff
	v_mov_b32_e32 v0, 0xff
	s_cbranch_scc1 .LBB143_2453
.LBB143_2452:
	s_lshr_b32 s11, s10, 23
	s_bitcmp1_b32 s10, 22
	s_cselect_b64 s[8:9], -1, 0
	s_and_b32 s3, s10, 0x3fffff
	s_or_b32 s2, s2, s3
	s_cmp_lg_u32 s2, 0
	s_cselect_b64 s[2:3], -1, 0
	s_and_b64 s[2:3], s[8:9], s[2:3]
	v_cndmask_b32_e64 v0, 0, 1, s[2:3]
	v_add_u32_e32 v0, s11, v0
.LBB143_2453:
	global_store_byte v[4:5], v0, off
	s_mov_b64 s[2:3], 0
.LBB143_2454:
	s_mov_b64 s[8:9], 0
.LBB143_2455:
	s_and_b64 vcc, exec, s[8:9]
	s_cbranch_vccz .LBB143_2467
; %bb.2456:
	v_cmp_eq_u16_e32 vcc, 29, v6
	s_mov_b64 s[2:3], -1
	s_cbranch_vccz .LBB143_2467
; %bb.2457:
	v_mov_b32_e32 v0, 0x80
	v_cmp_lt_i16_sdwa s[2:3], s16, v0 src0_sel:BYTE_0 src1_sel:DWORD
	s_and_b64 vcc, exec, s[2:3]
	s_cbranch_vccnz .LBB143_2461
; %bb.2458:
	v_cmp_ne_u16_sdwa s[2:3], s16, v0 src0_sel:BYTE_0 src1_sel:DWORD
	s_mov_b64 s[10:11], 0
	s_mov_b64 s[8:9], 0
	s_branch .LBB143_2462
.LBB143_2459:
	s_andn2_b64 vcc, exec, s[2:3]
	s_cbranch_vccnz .LBB143_2451
.LBB143_2460:
	s_and_b32 s2, s16, 7
	s_flbit_i32_b32 s8, s2
	s_min_u32 s8, s8, 32
	v_lshrrev_b16_e64 v0, 3, s16
	s_sub_i32 s9, s8, 28
	v_readfirstlane_b32 s3, v0
	s_lshl_b32 s9, s16, s9
	s_and_b32 s3, s3, 15
	s_sub_i32 s8, 29, s8
	s_and_b32 s9, s9, 7
	s_cmp_eq_u32 s3, 0
	s_cselect_b32 s3, s8, s3
	s_cselect_b32 s2, s9, s2
	s_lshl_b32 s2, s2, 20
	s_lshl_b32 s3, s3, 23
	s_or_b32 s2, s3, s2
	s_add_i32 s10, s2, 0x3b800000
	s_bfe_u32 s2, s10, 0x80017
	s_cmpk_eq_i32 s2, 0xff
	v_mov_b32_e32 v0, 0xff
	s_cbranch_scc0 .LBB143_2452
	s_branch .LBB143_2453
.LBB143_2461:
	s_mov_b64 s[10:11], -1
	s_mov_b64 s[2:3], 0
                                        ; implicit-def: $sgpr8_sgpr9
.LBB143_2462:
	s_andn2_b64 vcc, exec, s[10:11]
	s_cbranch_vccnz .LBB143_2464
; %bb.2463:
	v_mov_b32_e32 v0, 0
	v_cmp_ne_u16_sdwa s[2:3], s16, v0 src0_sel:BYTE_0 src1_sel:DWORD
	s_mov_b64 s[8:9], 0
.LBB143_2464:
	s_andn2_b64 vcc, exec, s[2:3]
	v_pk_mov_b32 v[0:1], s[8:9], s[8:9] op_sel:[0,1]
	s_cbranch_vccnz .LBB143_2466
; %bb.2465:
	s_and_b32 s3, s16, 7
	s_flbit_i32_b32 s9, s3
	s_min_u32 s9, s9, 32
	v_lshrrev_b16_e64 v0, 3, s16
	s_sub_i32 s10, s9, 28
	v_readfirstlane_b32 s8, v0
	s_lshl_b32 s10, s16, s10
	s_lshl_b32 s2, s16, 24
	s_and_b32 s8, s8, 15
	s_sub_i32 s9, 29, s9
	s_and_b32 s10, s10, 7
	s_cmp_eq_u32 s8, 0
	s_cselect_b32 s8, s9, s8
	s_cselect_b32 s3, s10, s3
	s_lshl_b32 s8, s8, 23
	s_and_b32 s2, s2, 0x80000000
	s_add_i32 s8, s8, 0x3b800000
	s_lshl_b32 s3, s3, 20
	s_or_b32 s2, s2, s8
	s_or_b32 s2, s2, s3
	v_trunc_f32_e32 v0, s2
	v_mul_f32_e32 v1, 0x2f800000, v0
	v_floor_f32_e32 v1, v1
	v_fmac_f32_e32 v0, 0xcf800000, v1
	v_cvt_u32_f32_e32 v0, v0
	v_cvt_u32_f32_e32 v1, v1
.LBB143_2466:
	global_store_dwordx2 v[4:5], v[0:1], off
	s_mov_b64 s[2:3], 0
.LBB143_2467:
	s_mov_b64 s[8:9], 0
.LBB143_2468:
	s_and_b64 vcc, exec, s[8:9]
	s_cbranch_vccz .LBB143_2491
; %bb.2469:
	v_cmp_gt_i16_e32 vcc, 27, v6
	s_mov_b64 s[8:9], -1
	s_cbranch_vccnz .LBB143_2489
; %bb.2470:
	v_cmp_lt_i16_e32 vcc, 27, v6
	s_cbranch_vccz .LBB143_2479
; %bb.2471:
	v_mov_b32_e32 v0, 0x80
	v_cmp_lt_i16_sdwa s[8:9], s16, v0 src0_sel:BYTE_0 src1_sel:DWORD
	s_and_b64 vcc, exec, s[8:9]
	s_cbranch_vccnz .LBB143_2473
; %bb.2472:
	v_cmp_ne_u16_sdwa s[8:9], s16, v0 src0_sel:BYTE_0 src1_sel:DWORD
	s_mov_b64 s[10:11], 0
	s_mov_b32 s12, 0
	s_branch .LBB143_2474
.LBB143_2473:
	s_mov_b64 s[10:11], -1
	s_mov_b64 s[8:9], 0
                                        ; implicit-def: $sgpr12
.LBB143_2474:
	s_andn2_b64 vcc, exec, s[10:11]
	s_cbranch_vccnz .LBB143_2476
; %bb.2475:
	v_mov_b32_e32 v0, 0
	s_mov_b32 s12, 0
	v_cmp_ne_u16_sdwa s[8:9], s16, v0 src0_sel:BYTE_0 src1_sel:DWORD
.LBB143_2476:
	s_andn2_b64 vcc, exec, s[8:9]
	v_mov_b32_e32 v0, s12
	s_cbranch_vccnz .LBB143_2478
; %bb.2477:
	s_and_b32 s9, s16, 7
	s_flbit_i32_b32 s11, s9
	s_min_u32 s11, s11, 32
	v_lshrrev_b16_e64 v0, 3, s16
	s_sub_i32 s12, s11, 28
	v_readfirstlane_b32 s10, v0
	s_lshl_b32 s12, s16, s12
	s_lshl_b32 s8, s16, 24
	s_and_b32 s10, s10, 15
	s_sub_i32 s11, 29, s11
	s_and_b32 s12, s12, 7
	s_cmp_eq_u32 s10, 0
	s_cselect_b32 s10, s11, s10
	s_cselect_b32 s9, s12, s9
	s_lshl_b32 s10, s10, 23
	s_and_b32 s8, s8, 0x80000000
	s_add_i32 s10, s10, 0x3b800000
	s_lshl_b32 s9, s9, 20
	s_or_b32 s8, s8, s10
	s_or_b32 s8, s8, s9
	v_cvt_u32_f32_e32 v0, s8
.LBB143_2478:
	global_store_dword v[4:5], v0, off
	s_mov_b64 s[8:9], 0
.LBB143_2479:
	s_and_b64 vcc, exec, s[8:9]
	s_cbranch_vccz .LBB143_2488
; %bb.2480:
	v_mov_b32_e32 v0, 0x80
	v_cmp_lt_i16_sdwa s[8:9], s16, v0 src0_sel:BYTE_0 src1_sel:DWORD
	s_and_b64 vcc, exec, s[8:9]
	s_cbranch_vccnz .LBB143_2482
; %bb.2481:
	v_cmp_ne_u16_sdwa s[8:9], s16, v0 src0_sel:BYTE_0 src1_sel:DWORD
	s_mov_b64 s[10:11], 0
	s_mov_b32 s12, 0
	s_branch .LBB143_2483
.LBB143_2482:
	s_mov_b64 s[10:11], -1
	s_mov_b64 s[8:9], 0
                                        ; implicit-def: $sgpr12
.LBB143_2483:
	s_andn2_b64 vcc, exec, s[10:11]
	s_cbranch_vccnz .LBB143_2485
; %bb.2484:
	v_mov_b32_e32 v0, 0
	s_mov_b32 s12, 0
	v_cmp_ne_u16_sdwa s[8:9], s16, v0 src0_sel:BYTE_0 src1_sel:DWORD
.LBB143_2485:
	s_andn2_b64 vcc, exec, s[8:9]
	v_mov_b32_e32 v0, s12
	s_cbranch_vccnz .LBB143_2487
; %bb.2486:
	s_and_b32 s9, s16, 7
	s_flbit_i32_b32 s11, s9
	s_min_u32 s11, s11, 32
	v_lshrrev_b16_e64 v0, 3, s16
	s_sub_i32 s12, s11, 28
	v_readfirstlane_b32 s10, v0
	s_lshl_b32 s12, s16, s12
	s_lshl_b32 s8, s16, 24
	s_and_b32 s10, s10, 15
	s_sub_i32 s11, 29, s11
	s_and_b32 s12, s12, 7
	s_cmp_eq_u32 s10, 0
	s_cselect_b32 s10, s11, s10
	s_cselect_b32 s9, s12, s9
	s_lshl_b32 s10, s10, 23
	s_and_b32 s8, s8, 0x80000000
	s_add_i32 s10, s10, 0x3b800000
	s_lshl_b32 s9, s9, 20
	s_or_b32 s8, s8, s10
	s_or_b32 s8, s8, s9
	v_cvt_u32_f32_e32 v0, s8
.LBB143_2487:
	global_store_short v[4:5], v0, off
.LBB143_2488:
	s_mov_b64 s[8:9], 0
.LBB143_2489:
	s_andn2_b64 vcc, exec, s[8:9]
	s_cbranch_vccnz .LBB143_2491
; %bb.2490:
	v_mov_b32_e32 v0, s16
	global_store_byte v[4:5], v0, off
.LBB143_2491:
	s_mov_b64 s[8:9], 0
.LBB143_2492:
	s_and_b64 vcc, exec, s[8:9]
	s_cbranch_vccz .LBB143_2578
; %bb.2493:
	v_cmp_lt_i16_e32 vcc, 22, v6
	s_mov_b64 s[4:5], -1
	s_cbranch_vccz .LBB143_2561
; %bb.2494:
	v_cmp_gt_i16_e32 vcc, 24, v6
	s_cbranch_vccnz .LBB143_2538
; %bb.2495:
	v_cmp_lt_i16_e32 vcc, 24, v6
	s_cbranch_vccz .LBB143_2515
; %bb.2496:
	v_mov_b32_e32 v0, 0x80
	v_cmp_lt_i16_sdwa s[4:5], s16, v0 src0_sel:BYTE_0 src1_sel:DWORD
	s_and_b64 vcc, exec, s[4:5]
	s_cbranch_vccnz .LBB143_2499
; %bb.2497:
	v_cmp_eq_u16_sdwa s[4:5], s16, v0 src0_sel:BYTE_0 src1_sel:DWORD
	s_and_b64 vcc, exec, s[4:5]
	s_cbranch_vccz .LBB143_2500
; %bb.2498:
	s_mov_b64 s[4:5], 0
	s_mov_b32 s10, 0x7f800001
	s_branch .LBB143_2501
.LBB143_2499:
	s_mov_b64 s[8:9], -1
	s_mov_b64 s[4:5], 0
                                        ; implicit-def: $sgpr10
	s_branch .LBB143_2502
.LBB143_2500:
	s_mov_b64 s[4:5], -1
                                        ; implicit-def: $sgpr10
.LBB143_2501:
	s_mov_b64 s[8:9], 0
.LBB143_2502:
	s_and_b64 vcc, exec, s[8:9]
	s_cbranch_vccz .LBB143_2505
; %bb.2503:
	v_mov_b32_e32 v0, 0
	s_mov_b32 s10, 0
	v_cmp_ne_u16_sdwa s[4:5], s16, v0 src0_sel:BYTE_0 src1_sel:DWORD
	s_andn2_b64 vcc, exec, s[4:5]
	s_cbranch_vccz .LBB143_2506
.LBB143_2504:
	s_and_b32 s4, s10, 0x7fffffff
	s_cmp_gt_u32 s4, 0x477fffff
	v_mov_b32_e32 v1, 0x80
	s_cbranch_scc0 .LBB143_2507
	s_branch .LBB143_2514
.LBB143_2505:
	s_andn2_b64 vcc, exec, s[4:5]
	s_cbranch_vccnz .LBB143_2504
.LBB143_2506:
	s_and_b32 s5, s16, 7
	s_flbit_i32_b32 s9, s5
	s_min_u32 s9, s9, 32
	v_lshrrev_b16_e64 v0, 3, s16
	s_sub_i32 s10, s9, 28
	v_readfirstlane_b32 s8, v0
	s_lshl_b32 s10, s16, s10
	s_lshl_b32 s4, s16, 24
	s_and_b32 s8, s8, 15
	s_sub_i32 s9, 29, s9
	s_and_b32 s10, s10, 7
	s_cmp_eq_u32 s8, 0
	s_cselect_b32 s8, s9, s8
	s_cselect_b32 s5, s10, s5
	s_lshl_b32 s8, s8, 23
	s_and_b32 s4, s4, 0x80000000
	s_add_i32 s8, s8, 0x3b800000
	s_lshl_b32 s5, s5, 20
	s_or_b32 s4, s4, s8
	s_or_b32 s10, s4, s5
	s_and_b32 s4, s10, 0x7fffffff
	s_cmp_gt_u32 s4, 0x477fffff
	v_mov_b32_e32 v1, 0x80
	s_cbranch_scc1 .LBB143_2514
.LBB143_2507:
	s_cmp_gt_u32 s4, 0x37ffffff
	s_cbranch_scc0 .LBB143_2509
; %bb.2508:
	s_bfe_u32 s4, s10, 0x10015
	s_add_i32 s4, s10, s4
	s_add_i32 s4, s4, 0x88fffff
	s_lshr_b32 s11, s4, 21
	s_mov_b64 s[8:9], 0
	s_mov_b64 s[4:5], -1
	s_branch .LBB143_2510
.LBB143_2509:
	s_mov_b64 s[8:9], -1
	s_mov_b64 s[4:5], 0
                                        ; implicit-def: $sgpr11
.LBB143_2510:
	s_andn2_b64 vcc, exec, s[8:9]
	v_mov_b32_e32 v0, s11
                                        ; implicit-def: $sgpr8
	s_cbranch_vccnz .LBB143_2512
; %bb.2511:
	v_mov_b32_e32 v0, 0x42800000
	v_add_f32_e64 v0, |s10|, v0
	v_and_b32_e32 v0, 0xff, v0
	s_mov_b32 s8, 0
	v_cmp_ne_u32_e64 s[4:5], 0, v0
.LBB143_2512:
	s_andn2_b64 vcc, exec, s[4:5]
	v_mov_b32_e32 v1, s8
	s_cbranch_vccnz .LBB143_2514
; %bb.2513:
	s_lshr_b32 s4, s10, 24
	s_and_b32 s4, s4, 0x80
	v_or_b32_e32 v1, s4, v0
.LBB143_2514:
	global_store_byte v[4:5], v1, off
	s_mov_b64 s[4:5], 0
.LBB143_2515:
	s_and_b64 vcc, exec, s[4:5]
	s_cbranch_vccz .LBB143_2537
; %bb.2516:
	v_mov_b32_e32 v0, 0x80
	v_cmp_lt_i16_sdwa s[4:5], s16, v0 src0_sel:BYTE_0 src1_sel:DWORD
	s_and_b64 vcc, exec, s[4:5]
	s_cbranch_vccnz .LBB143_2519
; %bb.2517:
	v_cmp_eq_u16_sdwa s[4:5], s16, v0 src0_sel:BYTE_0 src1_sel:DWORD
	s_and_b64 vcc, exec, s[4:5]
	s_cbranch_vccz .LBB143_2520
; %bb.2518:
	s_mov_b64 s[4:5], 0
	s_mov_b32 s10, 0x7f800001
	s_branch .LBB143_2521
.LBB143_2519:
	s_mov_b64 s[8:9], -1
	s_mov_b64 s[4:5], 0
                                        ; implicit-def: $sgpr10
	s_branch .LBB143_2522
.LBB143_2520:
	s_mov_b64 s[4:5], -1
                                        ; implicit-def: $sgpr10
.LBB143_2521:
	s_mov_b64 s[8:9], 0
.LBB143_2522:
	s_and_b64 vcc, exec, s[8:9]
	s_cbranch_vccz .LBB143_2527
; %bb.2523:
	v_mov_b32_e32 v0, 0
	s_mov_b32 s10, 0
	v_cmp_ne_u16_sdwa s[4:5], s16, v0 src0_sel:BYTE_0 src1_sel:DWORD
	s_andn2_b64 vcc, exec, s[4:5]
	s_cbranch_vccz .LBB143_2528
.LBB143_2524:
	s_and_b32 s8, s10, 0x7fffffff
	s_cmp_lt_u32 s8, 0x43f00000
	s_cbranch_scc0 .LBB143_2529
.LBB143_2525:
	s_cmp_gt_u32 s8, 0x3c7fffff
	s_cbranch_scc0 .LBB143_2530
; %bb.2526:
	s_bfe_u32 s4, s10, 0x10014
	s_add_i32 s4, s10, s4
	s_add_i32 s4, s4, 0x407ffff
	s_lshr_b32 s5, s4, 20
	s_and_b32 s4, s4, 0xff00000
	s_cmp_lg_u32 s4, 0x7f00000
	s_cselect_b32 s9, s5, 0x7e
	s_mov_b64 s[4:5], 0
	s_branch .LBB143_2531
.LBB143_2527:
	s_andn2_b64 vcc, exec, s[4:5]
	s_cbranch_vccnz .LBB143_2524
.LBB143_2528:
	s_and_b32 s5, s16, 7
	s_flbit_i32_b32 s9, s5
	s_min_u32 s9, s9, 32
	v_lshrrev_b16_e64 v0, 3, s16
	s_sub_i32 s10, s9, 28
	v_readfirstlane_b32 s8, v0
	s_lshl_b32 s10, s16, s10
	s_lshl_b32 s4, s16, 24
	s_and_b32 s8, s8, 15
	s_sub_i32 s9, 29, s9
	s_and_b32 s10, s10, 7
	s_cmp_eq_u32 s8, 0
	s_cselect_b32 s8, s9, s8
	s_cselect_b32 s5, s10, s5
	s_lshl_b32 s8, s8, 23
	s_and_b32 s4, s4, 0x80000000
	s_add_i32 s8, s8, 0x3b800000
	s_lshl_b32 s5, s5, 20
	s_or_b32 s4, s4, s8
	s_or_b32 s10, s4, s5
	s_and_b32 s8, s10, 0x7fffffff
	s_cmp_lt_u32 s8, 0x43f00000
	s_cbranch_scc1 .LBB143_2525
.LBB143_2529:
	s_mov_b64 s[4:5], -1
                                        ; implicit-def: $vgpr0
	s_branch .LBB143_2534
.LBB143_2530:
	s_mov_b64 s[4:5], -1
                                        ; implicit-def: $sgpr9
.LBB143_2531:
	s_andn2_b64 vcc, exec, s[4:5]
	v_mov_b32_e32 v0, s9
	s_cbranch_vccnz .LBB143_2533
; %bb.2532:
	v_mov_b32_e32 v0, 0x46800000
	v_add_f32_e64 v0, |s10|, v0
.LBB143_2533:
	s_mov_b64 s[4:5], 0
.LBB143_2534:
	s_andn2_b64 vcc, exec, s[4:5]
	s_cbranch_vccnz .LBB143_2536
; %bb.2535:
	s_cmp_gt_u32 s8, 0x7f800000
	s_movk_i32 s4, 0x7f
	s_cselect_b32 s4, s4, 0x7e
	v_mov_b32_e32 v0, s4
.LBB143_2536:
	s_lshr_b32 s4, s10, 24
	s_and_b32 s4, s4, 0x80
	v_or_b32_e32 v0, s4, v0
	global_store_byte v[4:5], v0, off
.LBB143_2537:
	s_mov_b64 s[4:5], 0
.LBB143_2538:
	s_andn2_b64 vcc, exec, s[4:5]
	s_cbranch_vccnz .LBB143_2560
; %bb.2539:
	v_mov_b32_e32 v0, 0x80
	v_cmp_lt_i16_sdwa s[4:5], s16, v0 src0_sel:BYTE_0 src1_sel:DWORD
	s_and_b64 vcc, exec, s[4:5]
	s_cbranch_vccnz .LBB143_2542
; %bb.2540:
	v_cmp_eq_u16_sdwa s[4:5], s16, v0 src0_sel:BYTE_0 src1_sel:DWORD
	s_and_b64 vcc, exec, s[4:5]
	s_cbranch_vccz .LBB143_2543
; %bb.2541:
	s_mov_b64 s[4:5], 0
	s_mov_b32 s10, 0x7f800001
	s_branch .LBB143_2544
.LBB143_2542:
	s_mov_b64 s[8:9], -1
	s_mov_b64 s[4:5], 0
                                        ; implicit-def: $sgpr10
	s_branch .LBB143_2545
.LBB143_2543:
	s_mov_b64 s[4:5], -1
                                        ; implicit-def: $sgpr10
.LBB143_2544:
	s_mov_b64 s[8:9], 0
.LBB143_2545:
	s_and_b64 vcc, exec, s[8:9]
	s_cbranch_vccz .LBB143_2550
; %bb.2546:
	v_mov_b32_e32 v0, 0
	s_mov_b32 s10, 0
	v_cmp_ne_u16_sdwa s[4:5], s16, v0 src0_sel:BYTE_0 src1_sel:DWORD
	s_andn2_b64 vcc, exec, s[4:5]
	s_cbranch_vccz .LBB143_2551
.LBB143_2547:
	s_and_b32 s8, s10, 0x7fffffff
	s_cmp_lt_u32 s8, 0x47800000
	s_cbranch_scc0 .LBB143_2552
.LBB143_2548:
	s_cmp_gt_u32 s8, 0x387fffff
	s_cbranch_scc0 .LBB143_2553
; %bb.2549:
	s_bfe_u32 s4, s10, 0x10015
	s_add_i32 s4, s10, s4
	s_add_i32 s4, s4, 0x80fffff
	s_lshr_b32 s9, s4, 21
	s_mov_b64 s[4:5], 0
	s_branch .LBB143_2554
.LBB143_2550:
	s_andn2_b64 vcc, exec, s[4:5]
	s_cbranch_vccnz .LBB143_2547
.LBB143_2551:
	s_and_b32 s5, s16, 7
	s_flbit_i32_b32 s9, s5
	s_min_u32 s9, s9, 32
	v_lshrrev_b16_e64 v0, 3, s16
	s_sub_i32 s10, s9, 28
	v_readfirstlane_b32 s8, v0
	s_lshl_b32 s10, s16, s10
	s_lshl_b32 s4, s16, 24
	s_and_b32 s8, s8, 15
	s_sub_i32 s9, 29, s9
	s_and_b32 s10, s10, 7
	s_cmp_eq_u32 s8, 0
	s_cselect_b32 s8, s9, s8
	s_cselect_b32 s5, s10, s5
	s_lshl_b32 s8, s8, 23
	s_and_b32 s4, s4, 0x80000000
	s_add_i32 s8, s8, 0x3b800000
	s_lshl_b32 s5, s5, 20
	s_or_b32 s4, s4, s8
	s_or_b32 s10, s4, s5
	s_and_b32 s8, s10, 0x7fffffff
	s_cmp_lt_u32 s8, 0x47800000
	s_cbranch_scc1 .LBB143_2548
.LBB143_2552:
	s_mov_b64 s[4:5], -1
                                        ; implicit-def: $vgpr0
	s_branch .LBB143_2557
.LBB143_2553:
	s_mov_b64 s[4:5], -1
                                        ; implicit-def: $sgpr9
.LBB143_2554:
	s_andn2_b64 vcc, exec, s[4:5]
	v_mov_b32_e32 v0, s9
	s_cbranch_vccnz .LBB143_2556
; %bb.2555:
	v_mov_b32_e32 v0, 0x43000000
	v_add_f32_e64 v0, |s10|, v0
.LBB143_2556:
	s_mov_b64 s[4:5], 0
.LBB143_2557:
	s_andn2_b64 vcc, exec, s[4:5]
	s_cbranch_vccnz .LBB143_2559
; %bb.2558:
	s_cmp_gt_u32 s8, 0x7f800000
	s_movk_i32 s4, 0x7f
	s_cselect_b32 s4, s4, 0x7c
	v_mov_b32_e32 v0, s4
.LBB143_2559:
	s_lshr_b32 s4, s10, 24
	s_and_b32 s4, s4, 0x80
	v_or_b32_e32 v0, s4, v0
	global_store_byte v[4:5], v0, off
.LBB143_2560:
	s_mov_b64 s[4:5], 0
.LBB143_2561:
	s_andn2_b64 vcc, exec, s[4:5]
	s_mov_b64 s[4:5], 0
	s_cbranch_vccnz .LBB143_2578
; %bb.2562:
	v_cmp_lt_i16_e32 vcc, 14, v6
	s_mov_b64 s[8:9], -1
	s_cbranch_vccz .LBB143_2576
; %bb.2563:
	v_cmp_eq_u16_e32 vcc, 15, v6
	s_mov_b64 s[2:3], -1
	s_cbranch_vccz .LBB143_2575
; %bb.2564:
	v_mov_b32_e32 v0, 0x80
	v_cmp_lt_i16_sdwa s[2:3], s16, v0 src0_sel:BYTE_0 src1_sel:DWORD
	s_and_b64 vcc, exec, s[2:3]
	s_cbranch_vccnz .LBB143_2567
; %bb.2565:
	v_cmp_eq_u16_sdwa s[2:3], s16, v0 src0_sel:BYTE_0 src1_sel:DWORD
	s_and_b64 vcc, exec, s[2:3]
	s_cbranch_vccz .LBB143_2568
; %bb.2566:
	s_mov_b64 s[2:3], 0
	s_mov_b32 s8, 0x7f800001
	s_branch .LBB143_2570
.LBB143_2567:
	s_mov_b64 s[4:5], -1
	s_mov_b64 s[2:3], 0
	s_branch .LBB143_2569
.LBB143_2568:
	s_mov_b64 s[2:3], -1
.LBB143_2569:
                                        ; implicit-def: $sgpr8
.LBB143_2570:
	s_and_b64 vcc, exec, s[4:5]
	s_cbranch_vccz .LBB143_2572
; %bb.2571:
	v_mov_b32_e32 v0, 0
	s_mov_b32 s8, 0
	v_cmp_ne_u16_sdwa s[2:3], s16, v0 src0_sel:BYTE_0 src1_sel:DWORD
.LBB143_2572:
	s_andn2_b64 vcc, exec, s[2:3]
	s_cbranch_vccnz .LBB143_2574
; %bb.2573:
	s_and_b32 s3, s16, 7
	s_flbit_i32_b32 s5, s3
	s_min_u32 s5, s5, 32
	v_lshrrev_b16_e64 v0, 3, s16
	s_sub_i32 s8, s5, 28
	v_readfirstlane_b32 s4, v0
	s_lshl_b32 s8, s16, s8
	s_lshl_b32 s2, s16, 24
	s_and_b32 s4, s4, 15
	s_sub_i32 s5, 29, s5
	s_and_b32 s8, s8, 7
	s_cmp_eq_u32 s4, 0
	s_cselect_b32 s4, s5, s4
	s_cselect_b32 s3, s8, s3
	s_lshl_b32 s4, s4, 23
	s_and_b32 s2, s2, 0x80000000
	s_add_i32 s4, s4, 0x3b800000
	s_lshl_b32 s3, s3, 20
	s_or_b32 s2, s2, s4
	s_or_b32 s8, s2, s3
.LBB143_2574:
	s_bfe_u32 s2, s8, 0x10010
	s_add_i32 s2, s8, s2
	s_addk_i32 s2, 0x7fff
	s_lshr_b32 s4, s2, 16
	v_cmp_o_f32_e64 s[2:3], s8, s8
	s_and_b64 s[2:3], s[2:3], exec
	s_cselect_b32 s2, s4, 0x7fc0
	v_mov_b32_e32 v0, s2
	global_store_short v[4:5], v0, off
	s_mov_b64 s[2:3], 0
.LBB143_2575:
	s_mov_b64 s[8:9], 0
.LBB143_2576:
	s_mov_b64 s[4:5], 0
	s_and_b64 vcc, exec, s[8:9]
	s_cbranch_vccz .LBB143_2578
; %bb.2577:
	v_cmp_ne_u16_e64 s[2:3], 11, v6
	s_mov_b64 s[4:5], -1
.LBB143_2578:
	s_and_b64 vcc, exec, s[2:3]
	s_cbranch_vccnz .LBB143_2580
.LBB143_2579:
	s_mov_b64 s[2:3], 0
	s_branch .LBB143_2287
.LBB143_2580:
	s_mov_b64 s[4:5], 0
	s_or_b64 s[0:1], s[0:1], exec
	s_trap 2
	s_branch .LBB143_2579
	.section	.rodata,"a",@progbits
	.p2align	6, 0x0
	.amdhsa_kernel _ZN2at6native32elementwise_kernel_manual_unrollILi128ELi4EZNS0_15gpu_kernel_implINS0_11FillFunctorIN3c1015Float8_e4m3fnuzEEEEEvRNS_18TensorIteratorBaseERKT_EUlibE0_EEviT1_
		.amdhsa_group_segment_fixed_size 0
		.amdhsa_private_segment_fixed_size 0
		.amdhsa_kernarg_size 288
		.amdhsa_user_sgpr_count 6
		.amdhsa_user_sgpr_private_segment_buffer 1
		.amdhsa_user_sgpr_dispatch_ptr 0
		.amdhsa_user_sgpr_queue_ptr 0
		.amdhsa_user_sgpr_kernarg_segment_ptr 1
		.amdhsa_user_sgpr_dispatch_id 0
		.amdhsa_user_sgpr_flat_scratch_init 0
		.amdhsa_user_sgpr_kernarg_preload_length 0
		.amdhsa_user_sgpr_kernarg_preload_offset 0
		.amdhsa_user_sgpr_private_segment_size 0
		.amdhsa_uses_dynamic_stack 0
		.amdhsa_system_sgpr_private_segment_wavefront_offset 0
		.amdhsa_system_sgpr_workgroup_id_x 1
		.amdhsa_system_sgpr_workgroup_id_y 0
		.amdhsa_system_sgpr_workgroup_id_z 0
		.amdhsa_system_sgpr_workgroup_info 0
		.amdhsa_system_vgpr_workitem_id 0
		.amdhsa_next_free_vgpr 17
		.amdhsa_next_free_sgpr 69
		.amdhsa_accum_offset 20
		.amdhsa_reserve_vcc 1
		.amdhsa_reserve_flat_scratch 0
		.amdhsa_float_round_mode_32 0
		.amdhsa_float_round_mode_16_64 0
		.amdhsa_float_denorm_mode_32 3
		.amdhsa_float_denorm_mode_16_64 3
		.amdhsa_dx10_clamp 1
		.amdhsa_ieee_mode 1
		.amdhsa_fp16_overflow 0
		.amdhsa_tg_split 0
		.amdhsa_exception_fp_ieee_invalid_op 0
		.amdhsa_exception_fp_denorm_src 0
		.amdhsa_exception_fp_ieee_div_zero 0
		.amdhsa_exception_fp_ieee_overflow 0
		.amdhsa_exception_fp_ieee_underflow 0
		.amdhsa_exception_fp_ieee_inexact 0
		.amdhsa_exception_int_div_zero 0
	.end_amdhsa_kernel
	.section	.text._ZN2at6native32elementwise_kernel_manual_unrollILi128ELi4EZNS0_15gpu_kernel_implINS0_11FillFunctorIN3c1015Float8_e4m3fnuzEEEEEvRNS_18TensorIteratorBaseERKT_EUlibE0_EEviT1_,"axG",@progbits,_ZN2at6native32elementwise_kernel_manual_unrollILi128ELi4EZNS0_15gpu_kernel_implINS0_11FillFunctorIN3c1015Float8_e4m3fnuzEEEEEvRNS_18TensorIteratorBaseERKT_EUlibE0_EEviT1_,comdat
.Lfunc_end143:
	.size	_ZN2at6native32elementwise_kernel_manual_unrollILi128ELi4EZNS0_15gpu_kernel_implINS0_11FillFunctorIN3c1015Float8_e4m3fnuzEEEEEvRNS_18TensorIteratorBaseERKT_EUlibE0_EEviT1_, .Lfunc_end143-_ZN2at6native32elementwise_kernel_manual_unrollILi128ELi4EZNS0_15gpu_kernel_implINS0_11FillFunctorIN3c1015Float8_e4m3fnuzEEEEEvRNS_18TensorIteratorBaseERKT_EUlibE0_EEviT1_
                                        ; -- End function
	.section	.AMDGPU.csdata,"",@progbits
; Kernel info:
; codeLenInByte = 45596
; NumSgprs: 73
; NumVgprs: 17
; NumAgprs: 0
; TotalNumVgprs: 17
; ScratchSize: 0
; MemoryBound: 0
; FloatMode: 240
; IeeeMode: 1
; LDSByteSize: 0 bytes/workgroup (compile time only)
; SGPRBlocks: 9
; VGPRBlocks: 2
; NumSGPRsForWavesPerEU: 73
; NumVGPRsForWavesPerEU: 17
; AccumOffset: 20
; Occupancy: 8
; WaveLimiterHint : 1
; COMPUTE_PGM_RSRC2:SCRATCH_EN: 0
; COMPUTE_PGM_RSRC2:USER_SGPR: 6
; COMPUTE_PGM_RSRC2:TRAP_HANDLER: 0
; COMPUTE_PGM_RSRC2:TGID_X_EN: 1
; COMPUTE_PGM_RSRC2:TGID_Y_EN: 0
; COMPUTE_PGM_RSRC2:TGID_Z_EN: 0
; COMPUTE_PGM_RSRC2:TIDIG_COMP_CNT: 0
; COMPUTE_PGM_RSRC3_GFX90A:ACCUM_OFFSET: 4
; COMPUTE_PGM_RSRC3_GFX90A:TG_SPLIT: 0
	.section	.text._ZN2at6native29vectorized_elementwise_kernelILi16ENS0_11FillFunctorIN3c1014Float8_e8m0fnuEEESt5arrayIPcLm1EEEEviT0_T1_,"axG",@progbits,_ZN2at6native29vectorized_elementwise_kernelILi16ENS0_11FillFunctorIN3c1014Float8_e8m0fnuEEESt5arrayIPcLm1EEEEviT0_T1_,comdat
	.protected	_ZN2at6native29vectorized_elementwise_kernelILi16ENS0_11FillFunctorIN3c1014Float8_e8m0fnuEEESt5arrayIPcLm1EEEEviT0_T1_ ; -- Begin function _ZN2at6native29vectorized_elementwise_kernelILi16ENS0_11FillFunctorIN3c1014Float8_e8m0fnuEEESt5arrayIPcLm1EEEEviT0_T1_
	.globl	_ZN2at6native29vectorized_elementwise_kernelILi16ENS0_11FillFunctorIN3c1014Float8_e8m0fnuEEESt5arrayIPcLm1EEEEviT0_T1_
	.p2align	8
	.type	_ZN2at6native29vectorized_elementwise_kernelILi16ENS0_11FillFunctorIN3c1014Float8_e8m0fnuEEESt5arrayIPcLm1EEEEviT0_T1_,@function
_ZN2at6native29vectorized_elementwise_kernelILi16ENS0_11FillFunctorIN3c1014Float8_e8m0fnuEEESt5arrayIPcLm1EEEEviT0_T1_: ; @_ZN2at6native29vectorized_elementwise_kernelILi16ENS0_11FillFunctorIN3c1014Float8_e8m0fnuEEESt5arrayIPcLm1EEEEviT0_T1_
; %bb.0:
	s_load_dwordx4 s[0:3], s[4:5], 0x0
	s_lshl_b32 s8, s6, 12
	s_waitcnt lgkmcnt(0)
	s_sub_i32 s0, s0, s8
	s_cmpk_gt_i32 s0, 0xfff
	s_cbranch_scc0 .LBB144_4
; %bb.1:
	s_ashr_i32 s5, s8, 31
	s_add_u32 s4, s2, s8
	s_addc_u32 s5, s3, s5
	v_lshlrev_b32_e32 v1, 4, v0
	v_mov_b32_e32 v2, s5
	v_add_co_u32_e32 v5, vcc, s4, v1
	v_addc_co_u32_e32 v6, vcc, 0, v2, vcc
	v_lshlrev_b16_e64 v2, 8, s1
	v_or_b32_sdwa v7, s1, v2 dst_sel:DWORD dst_unused:UNUSED_PAD src0_sel:BYTE_0 src1_sel:DWORD
	v_lshlrev_b32_e32 v2, 16, v7
	v_mov_b32_e32 v4, s1
	v_or_b32_sdwa v2, v7, v2 dst_sel:DWORD dst_unused:UNUSED_PAD src0_sel:WORD_0 src1_sel:DWORD
	v_mov_b32_e32 v3, v2
	global_store_byte v1, v4, s[4:5] offset:14
	global_store_short v1, v7, s[4:5] offset:12
	v_mov_b32_e32 v4, v2
	global_store_dwordx3 v1, v[2:4], s[4:5]
	s_nop 0
	v_add_co_u32_e32 v2, vcc, 15, v5
	v_addc_co_u32_e32 v3, vcc, 0, v6, vcc
	s_mov_b64 s[4:5], -1
	s_cbranch_execz .LBB144_5
; %bb.2:
	s_and_saveexec_b64 s[2:3], s[4:5]
	s_cbranch_execz .LBB144_24
.LBB144_3:
	v_mov_b32_e32 v0, s1
	global_store_byte v[2:3], v0, off
	s_endpgm
.LBB144_4:
	s_mov_b64 s[4:5], 0
                                        ; implicit-def: $vgpr2_vgpr3
.LBB144_5:
	v_cmp_gt_i32_e32 vcc, s0, v0
	s_and_saveexec_b64 s[6:7], vcc
	s_cbranch_execz .LBB144_25
; %bb.6:
	v_or_b32_e32 v1, 0x100, v0
	v_or_b32_e32 v0, s8, v0
	v_mov_b32_e32 v2, s1
	global_store_byte v0, v2, s[2:3]
	v_mov_b32_e32 v0, v1
	s_or_b64 exec, exec, s[6:7]
	v_cmp_gt_i32_e32 vcc, s0, v0
	s_and_saveexec_b64 s[6:7], vcc
	s_cbranch_execnz .LBB144_26
.LBB144_7:
	s_or_b64 exec, exec, s[6:7]
	v_cmp_gt_i32_e32 vcc, s0, v0
	s_and_saveexec_b64 s[6:7], vcc
	s_cbranch_execz .LBB144_27
.LBB144_8:
	v_add_u32_e32 v1, s8, v0
	v_add_u32_e32 v0, 0x100, v0
	v_mov_b32_e32 v2, s1
	global_store_byte v1, v2, s[2:3]
	s_or_b64 exec, exec, s[6:7]
	v_cmp_gt_i32_e32 vcc, s0, v0
	s_and_saveexec_b64 s[6:7], vcc
	s_cbranch_execnz .LBB144_28
.LBB144_9:
	s_or_b64 exec, exec, s[6:7]
	v_cmp_gt_i32_e32 vcc, s0, v0
	s_and_saveexec_b64 s[6:7], vcc
	s_cbranch_execz .LBB144_29
.LBB144_10:
	v_add_u32_e32 v1, s8, v0
	v_add_u32_e32 v0, 0x100, v0
	v_mov_b32_e32 v2, s1
	global_store_byte v1, v2, s[2:3]
	s_or_b64 exec, exec, s[6:7]
	v_cmp_gt_i32_e32 vcc, s0, v0
	s_and_saveexec_b64 s[6:7], vcc
	s_cbranch_execnz .LBB144_30
.LBB144_11:
	s_or_b64 exec, exec, s[6:7]
	v_cmp_gt_i32_e32 vcc, s0, v0
	s_and_saveexec_b64 s[6:7], vcc
	s_cbranch_execz .LBB144_31
.LBB144_12:
	v_add_u32_e32 v1, s8, v0
	v_add_u32_e32 v0, 0x100, v0
	v_mov_b32_e32 v2, s1
	global_store_byte v1, v2, s[2:3]
	s_or_b64 exec, exec, s[6:7]
	v_cmp_gt_i32_e32 vcc, s0, v0
	s_and_saveexec_b64 s[6:7], vcc
	s_cbranch_execnz .LBB144_32
.LBB144_13:
	s_or_b64 exec, exec, s[6:7]
	v_cmp_gt_i32_e32 vcc, s0, v0
	s_and_saveexec_b64 s[6:7], vcc
	s_cbranch_execz .LBB144_33
.LBB144_14:
	v_add_u32_e32 v1, s8, v0
	v_add_u32_e32 v0, 0x100, v0
	v_mov_b32_e32 v2, s1
	global_store_byte v1, v2, s[2:3]
	s_or_b64 exec, exec, s[6:7]
	v_cmp_gt_i32_e32 vcc, s0, v0
	s_and_saveexec_b64 s[6:7], vcc
	s_cbranch_execnz .LBB144_34
.LBB144_15:
	s_or_b64 exec, exec, s[6:7]
	v_cmp_gt_i32_e32 vcc, s0, v0
	s_and_saveexec_b64 s[6:7], vcc
	s_cbranch_execz .LBB144_35
.LBB144_16:
	v_add_u32_e32 v1, s8, v0
	v_add_u32_e32 v0, 0x100, v0
	v_mov_b32_e32 v2, s1
	global_store_byte v1, v2, s[2:3]
	s_or_b64 exec, exec, s[6:7]
	v_cmp_gt_i32_e32 vcc, s0, v0
	s_and_saveexec_b64 s[6:7], vcc
	s_cbranch_execnz .LBB144_36
.LBB144_17:
	s_or_b64 exec, exec, s[6:7]
	v_cmp_gt_i32_e32 vcc, s0, v0
	s_and_saveexec_b64 s[6:7], vcc
	s_cbranch_execz .LBB144_37
.LBB144_18:
	v_add_u32_e32 v1, s8, v0
	v_add_u32_e32 v0, 0x100, v0
	v_mov_b32_e32 v2, s1
	global_store_byte v1, v2, s[2:3]
	s_or_b64 exec, exec, s[6:7]
	v_cmp_gt_i32_e32 vcc, s0, v0
	s_and_saveexec_b64 s[6:7], vcc
	s_cbranch_execnz .LBB144_38
.LBB144_19:
	s_or_b64 exec, exec, s[6:7]
	v_cmp_gt_i32_e32 vcc, s0, v0
	s_and_saveexec_b64 s[6:7], vcc
	s_cbranch_execz .LBB144_21
.LBB144_20:
	v_add_u32_e32 v1, s8, v0
	v_add_u32_e32 v0, 0x100, v0
	v_mov_b32_e32 v2, s1
	global_store_byte v1, v2, s[2:3]
.LBB144_21:
	s_or_b64 exec, exec, s[6:7]
	v_cmp_gt_i32_e32 vcc, s0, v0
                                        ; implicit-def: $vgpr2_vgpr3
	s_and_saveexec_b64 s[6:7], vcc
; %bb.22:
	v_add_u32_e32 v0, s8, v0
	v_mov_b32_e32 v1, s3
	v_add_co_u32_e32 v2, vcc, s2, v0
	v_addc_co_u32_e32 v3, vcc, 0, v1, vcc
	s_or_b64 s[4:5], s[4:5], exec
; %bb.23:
	s_or_b64 exec, exec, s[6:7]
	s_and_saveexec_b64 s[2:3], s[4:5]
	s_cbranch_execnz .LBB144_3
.LBB144_24:
	s_endpgm
.LBB144_25:
	s_or_b64 exec, exec, s[6:7]
	v_cmp_gt_i32_e32 vcc, s0, v0
	s_and_saveexec_b64 s[6:7], vcc
	s_cbranch_execz .LBB144_7
.LBB144_26:
	v_add_u32_e32 v1, s8, v0
	v_add_u32_e32 v0, 0x100, v0
	v_mov_b32_e32 v2, s1
	global_store_byte v1, v2, s[2:3]
	s_or_b64 exec, exec, s[6:7]
	v_cmp_gt_i32_e32 vcc, s0, v0
	s_and_saveexec_b64 s[6:7], vcc
	s_cbranch_execnz .LBB144_8
.LBB144_27:
	s_or_b64 exec, exec, s[6:7]
	v_cmp_gt_i32_e32 vcc, s0, v0
	s_and_saveexec_b64 s[6:7], vcc
	s_cbranch_execz .LBB144_9
.LBB144_28:
	v_add_u32_e32 v1, s8, v0
	v_add_u32_e32 v0, 0x100, v0
	v_mov_b32_e32 v2, s1
	global_store_byte v1, v2, s[2:3]
	s_or_b64 exec, exec, s[6:7]
	v_cmp_gt_i32_e32 vcc, s0, v0
	s_and_saveexec_b64 s[6:7], vcc
	s_cbranch_execnz .LBB144_10
.LBB144_29:
	s_or_b64 exec, exec, s[6:7]
	v_cmp_gt_i32_e32 vcc, s0, v0
	s_and_saveexec_b64 s[6:7], vcc
	s_cbranch_execz .LBB144_11
.LBB144_30:
	v_add_u32_e32 v1, s8, v0
	v_add_u32_e32 v0, 0x100, v0
	v_mov_b32_e32 v2, s1
	global_store_byte v1, v2, s[2:3]
	s_or_b64 exec, exec, s[6:7]
	v_cmp_gt_i32_e32 vcc, s0, v0
	s_and_saveexec_b64 s[6:7], vcc
	s_cbranch_execnz .LBB144_12
.LBB144_31:
	s_or_b64 exec, exec, s[6:7]
	v_cmp_gt_i32_e32 vcc, s0, v0
	s_and_saveexec_b64 s[6:7], vcc
	s_cbranch_execz .LBB144_13
.LBB144_32:
	v_add_u32_e32 v1, s8, v0
	v_add_u32_e32 v0, 0x100, v0
	v_mov_b32_e32 v2, s1
	global_store_byte v1, v2, s[2:3]
	s_or_b64 exec, exec, s[6:7]
	v_cmp_gt_i32_e32 vcc, s0, v0
	s_and_saveexec_b64 s[6:7], vcc
	s_cbranch_execnz .LBB144_14
.LBB144_33:
	s_or_b64 exec, exec, s[6:7]
	v_cmp_gt_i32_e32 vcc, s0, v0
	s_and_saveexec_b64 s[6:7], vcc
	s_cbranch_execz .LBB144_15
.LBB144_34:
	v_add_u32_e32 v1, s8, v0
	v_add_u32_e32 v0, 0x100, v0
	v_mov_b32_e32 v2, s1
	global_store_byte v1, v2, s[2:3]
	s_or_b64 exec, exec, s[6:7]
	v_cmp_gt_i32_e32 vcc, s0, v0
	s_and_saveexec_b64 s[6:7], vcc
	s_cbranch_execnz .LBB144_16
.LBB144_35:
	s_or_b64 exec, exec, s[6:7]
	v_cmp_gt_i32_e32 vcc, s0, v0
	s_and_saveexec_b64 s[6:7], vcc
	s_cbranch_execz .LBB144_17
.LBB144_36:
	v_add_u32_e32 v1, s8, v0
	v_add_u32_e32 v0, 0x100, v0
	v_mov_b32_e32 v2, s1
	global_store_byte v1, v2, s[2:3]
	s_or_b64 exec, exec, s[6:7]
	v_cmp_gt_i32_e32 vcc, s0, v0
	s_and_saveexec_b64 s[6:7], vcc
	s_cbranch_execnz .LBB144_18
.LBB144_37:
	s_or_b64 exec, exec, s[6:7]
	v_cmp_gt_i32_e32 vcc, s0, v0
	s_and_saveexec_b64 s[6:7], vcc
	s_cbranch_execz .LBB144_19
.LBB144_38:
	v_add_u32_e32 v1, s8, v0
	v_add_u32_e32 v0, 0x100, v0
	v_mov_b32_e32 v2, s1
	global_store_byte v1, v2, s[2:3]
	s_or_b64 exec, exec, s[6:7]
	v_cmp_gt_i32_e32 vcc, s0, v0
	s_and_saveexec_b64 s[6:7], vcc
	s_cbranch_execz .LBB144_21
	s_branch .LBB144_20
	.section	.rodata,"a",@progbits
	.p2align	6, 0x0
	.amdhsa_kernel _ZN2at6native29vectorized_elementwise_kernelILi16ENS0_11FillFunctorIN3c1014Float8_e8m0fnuEEESt5arrayIPcLm1EEEEviT0_T1_
		.amdhsa_group_segment_fixed_size 0
		.amdhsa_private_segment_fixed_size 0
		.amdhsa_kernarg_size 16
		.amdhsa_user_sgpr_count 6
		.amdhsa_user_sgpr_private_segment_buffer 1
		.amdhsa_user_sgpr_dispatch_ptr 0
		.amdhsa_user_sgpr_queue_ptr 0
		.amdhsa_user_sgpr_kernarg_segment_ptr 1
		.amdhsa_user_sgpr_dispatch_id 0
		.amdhsa_user_sgpr_flat_scratch_init 0
		.amdhsa_user_sgpr_kernarg_preload_length 0
		.amdhsa_user_sgpr_kernarg_preload_offset 0
		.amdhsa_user_sgpr_private_segment_size 0
		.amdhsa_uses_dynamic_stack 0
		.amdhsa_system_sgpr_private_segment_wavefront_offset 0
		.amdhsa_system_sgpr_workgroup_id_x 1
		.amdhsa_system_sgpr_workgroup_id_y 0
		.amdhsa_system_sgpr_workgroup_id_z 0
		.amdhsa_system_sgpr_workgroup_info 0
		.amdhsa_system_vgpr_workitem_id 0
		.amdhsa_next_free_vgpr 8
		.amdhsa_next_free_sgpr 9
		.amdhsa_accum_offset 8
		.amdhsa_reserve_vcc 1
		.amdhsa_reserve_flat_scratch 0
		.amdhsa_float_round_mode_32 0
		.amdhsa_float_round_mode_16_64 0
		.amdhsa_float_denorm_mode_32 3
		.amdhsa_float_denorm_mode_16_64 3
		.amdhsa_dx10_clamp 1
		.amdhsa_ieee_mode 1
		.amdhsa_fp16_overflow 0
		.amdhsa_tg_split 0
		.amdhsa_exception_fp_ieee_invalid_op 0
		.amdhsa_exception_fp_denorm_src 0
		.amdhsa_exception_fp_ieee_div_zero 0
		.amdhsa_exception_fp_ieee_overflow 0
		.amdhsa_exception_fp_ieee_underflow 0
		.amdhsa_exception_fp_ieee_inexact 0
		.amdhsa_exception_int_div_zero 0
	.end_amdhsa_kernel
	.section	.text._ZN2at6native29vectorized_elementwise_kernelILi16ENS0_11FillFunctorIN3c1014Float8_e8m0fnuEEESt5arrayIPcLm1EEEEviT0_T1_,"axG",@progbits,_ZN2at6native29vectorized_elementwise_kernelILi16ENS0_11FillFunctorIN3c1014Float8_e8m0fnuEEESt5arrayIPcLm1EEEEviT0_T1_,comdat
.Lfunc_end144:
	.size	_ZN2at6native29vectorized_elementwise_kernelILi16ENS0_11FillFunctorIN3c1014Float8_e8m0fnuEEESt5arrayIPcLm1EEEEviT0_T1_, .Lfunc_end144-_ZN2at6native29vectorized_elementwise_kernelILi16ENS0_11FillFunctorIN3c1014Float8_e8m0fnuEEESt5arrayIPcLm1EEEEviT0_T1_
                                        ; -- End function
	.section	.AMDGPU.csdata,"",@progbits
; Kernel info:
; codeLenInByte = 1044
; NumSgprs: 13
; NumVgprs: 8
; NumAgprs: 0
; TotalNumVgprs: 8
; ScratchSize: 0
; MemoryBound: 0
; FloatMode: 240
; IeeeMode: 1
; LDSByteSize: 0 bytes/workgroup (compile time only)
; SGPRBlocks: 1
; VGPRBlocks: 0
; NumSGPRsForWavesPerEU: 13
; NumVGPRsForWavesPerEU: 8
; AccumOffset: 8
; Occupancy: 8
; WaveLimiterHint : 0
; COMPUTE_PGM_RSRC2:SCRATCH_EN: 0
; COMPUTE_PGM_RSRC2:USER_SGPR: 6
; COMPUTE_PGM_RSRC2:TRAP_HANDLER: 0
; COMPUTE_PGM_RSRC2:TGID_X_EN: 1
; COMPUTE_PGM_RSRC2:TGID_Y_EN: 0
; COMPUTE_PGM_RSRC2:TGID_Z_EN: 0
; COMPUTE_PGM_RSRC2:TIDIG_COMP_CNT: 0
; COMPUTE_PGM_RSRC3_GFX90A:ACCUM_OFFSET: 1
; COMPUTE_PGM_RSRC3_GFX90A:TG_SPLIT: 0
	.section	.text._ZN2at6native29vectorized_elementwise_kernelILi8ENS0_11FillFunctorIN3c1014Float8_e8m0fnuEEESt5arrayIPcLm1EEEEviT0_T1_,"axG",@progbits,_ZN2at6native29vectorized_elementwise_kernelILi8ENS0_11FillFunctorIN3c1014Float8_e8m0fnuEEESt5arrayIPcLm1EEEEviT0_T1_,comdat
	.protected	_ZN2at6native29vectorized_elementwise_kernelILi8ENS0_11FillFunctorIN3c1014Float8_e8m0fnuEEESt5arrayIPcLm1EEEEviT0_T1_ ; -- Begin function _ZN2at6native29vectorized_elementwise_kernelILi8ENS0_11FillFunctorIN3c1014Float8_e8m0fnuEEESt5arrayIPcLm1EEEEviT0_T1_
	.globl	_ZN2at6native29vectorized_elementwise_kernelILi8ENS0_11FillFunctorIN3c1014Float8_e8m0fnuEEESt5arrayIPcLm1EEEEviT0_T1_
	.p2align	8
	.type	_ZN2at6native29vectorized_elementwise_kernelILi8ENS0_11FillFunctorIN3c1014Float8_e8m0fnuEEESt5arrayIPcLm1EEEEviT0_T1_,@function
_ZN2at6native29vectorized_elementwise_kernelILi8ENS0_11FillFunctorIN3c1014Float8_e8m0fnuEEESt5arrayIPcLm1EEEEviT0_T1_: ; @_ZN2at6native29vectorized_elementwise_kernelILi8ENS0_11FillFunctorIN3c1014Float8_e8m0fnuEEESt5arrayIPcLm1EEEEviT0_T1_
; %bb.0:
	s_load_dwordx4 s[0:3], s[4:5], 0x0
	s_lshl_b32 s6, s6, 12
	s_mov_b64 s[4:5], -1
	s_waitcnt lgkmcnt(0)
	s_sub_i32 s0, s0, s6
	s_cmpk_gt_i32 s0, 0xfff
	s_cbranch_scc0 .LBB145_2
; %bb.1:
	s_ashr_i32 s5, s6, 31
	s_add_u32 s4, s2, s6
	s_addc_u32 s5, s3, s5
	s_and_b32 s7, s1, 0xff
	s_mul_i32 s8, s7, 0x1010101
	s_mov_b32 s9, s8
	v_lshlrev_b32_e32 v1, 3, v0
	v_pk_mov_b32 v[2:3], s[8:9], s[8:9] op_sel:[0,1]
	global_store_dwordx2 v1, v[2:3], s[4:5]
	global_store_dwordx2 v1, v[2:3], s[4:5] offset:2048
	s_mov_b64 s[4:5], 0
.LBB145_2:
	s_andn2_b64 vcc, exec, s[4:5]
	s_cbranch_vccnz .LBB145_20
; %bb.3:
	v_cmp_gt_i32_e32 vcc, s0, v0
	s_and_saveexec_b64 s[4:5], vcc
	s_cbranch_execnz .LBB145_21
; %bb.4:
	s_or_b64 exec, exec, s[4:5]
	v_cmp_gt_i32_e32 vcc, s0, v0
	s_and_saveexec_b64 s[4:5], vcc
	s_cbranch_execnz .LBB145_22
.LBB145_5:
	s_or_b64 exec, exec, s[4:5]
	v_cmp_gt_i32_e32 vcc, s0, v0
	s_and_saveexec_b64 s[4:5], vcc
	s_cbranch_execnz .LBB145_23
.LBB145_6:
	s_or_b64 exec, exec, s[4:5]
	v_cmp_gt_i32_e32 vcc, s0, v0
	s_and_saveexec_b64 s[4:5], vcc
	s_cbranch_execnz .LBB145_24
.LBB145_7:
	s_or_b64 exec, exec, s[4:5]
	v_cmp_gt_i32_e32 vcc, s0, v0
	s_and_saveexec_b64 s[4:5], vcc
	s_cbranch_execnz .LBB145_25
.LBB145_8:
	s_or_b64 exec, exec, s[4:5]
	v_cmp_gt_i32_e32 vcc, s0, v0
	s_and_saveexec_b64 s[4:5], vcc
	s_cbranch_execnz .LBB145_26
.LBB145_9:
	s_or_b64 exec, exec, s[4:5]
	v_cmp_gt_i32_e32 vcc, s0, v0
	s_and_saveexec_b64 s[4:5], vcc
	s_cbranch_execnz .LBB145_27
.LBB145_10:
	s_or_b64 exec, exec, s[4:5]
	v_cmp_gt_i32_e32 vcc, s0, v0
	s_and_saveexec_b64 s[4:5], vcc
	s_cbranch_execnz .LBB145_28
.LBB145_11:
	s_or_b64 exec, exec, s[4:5]
	v_cmp_gt_i32_e32 vcc, s0, v0
	s_and_saveexec_b64 s[4:5], vcc
	s_cbranch_execnz .LBB145_29
.LBB145_12:
	s_or_b64 exec, exec, s[4:5]
	v_cmp_gt_i32_e32 vcc, s0, v0
	s_and_saveexec_b64 s[4:5], vcc
	s_cbranch_execnz .LBB145_30
.LBB145_13:
	s_or_b64 exec, exec, s[4:5]
	v_cmp_gt_i32_e32 vcc, s0, v0
	s_and_saveexec_b64 s[4:5], vcc
	s_cbranch_execnz .LBB145_31
.LBB145_14:
	s_or_b64 exec, exec, s[4:5]
	v_cmp_gt_i32_e32 vcc, s0, v0
	s_and_saveexec_b64 s[4:5], vcc
	s_cbranch_execnz .LBB145_32
.LBB145_15:
	s_or_b64 exec, exec, s[4:5]
	v_cmp_gt_i32_e32 vcc, s0, v0
	s_and_saveexec_b64 s[4:5], vcc
	s_cbranch_execnz .LBB145_33
.LBB145_16:
	s_or_b64 exec, exec, s[4:5]
	v_cmp_gt_i32_e32 vcc, s0, v0
	s_and_saveexec_b64 s[4:5], vcc
	s_cbranch_execnz .LBB145_34
.LBB145_17:
	s_or_b64 exec, exec, s[4:5]
	v_cmp_gt_i32_e32 vcc, s0, v0
	s_and_saveexec_b64 s[4:5], vcc
	s_cbranch_execnz .LBB145_35
.LBB145_18:
	s_or_b64 exec, exec, s[4:5]
	v_cmp_gt_i32_e32 vcc, s0, v0
	s_and_saveexec_b64 s[4:5], vcc
	s_cbranch_execz .LBB145_20
.LBB145_19:
	v_add_u32_e32 v0, s6, v0
	v_mov_b32_e32 v1, s1
	global_store_byte v0, v1, s[2:3]
.LBB145_20:
	s_endpgm
.LBB145_21:
	v_or_b32_e32 v1, 0x100, v0
	v_or_b32_e32 v0, s6, v0
	v_mov_b32_e32 v2, s1
	global_store_byte v0, v2, s[2:3]
	v_mov_b32_e32 v0, v1
	s_or_b64 exec, exec, s[4:5]
	v_cmp_gt_i32_e32 vcc, s0, v0
	s_and_saveexec_b64 s[4:5], vcc
	s_cbranch_execz .LBB145_5
.LBB145_22:
	v_add_u32_e32 v1, s6, v0
	v_add_u32_e32 v0, 0x100, v0
	v_mov_b32_e32 v2, s1
	global_store_byte v1, v2, s[2:3]
	s_or_b64 exec, exec, s[4:5]
	v_cmp_gt_i32_e32 vcc, s0, v0
	s_and_saveexec_b64 s[4:5], vcc
	s_cbranch_execz .LBB145_6
.LBB145_23:
	v_add_u32_e32 v1, s6, v0
	v_add_u32_e32 v0, 0x100, v0
	v_mov_b32_e32 v2, s1
	global_store_byte v1, v2, s[2:3]
	s_or_b64 exec, exec, s[4:5]
	v_cmp_gt_i32_e32 vcc, s0, v0
	s_and_saveexec_b64 s[4:5], vcc
	s_cbranch_execz .LBB145_7
.LBB145_24:
	v_add_u32_e32 v1, s6, v0
	v_add_u32_e32 v0, 0x100, v0
	v_mov_b32_e32 v2, s1
	global_store_byte v1, v2, s[2:3]
	s_or_b64 exec, exec, s[4:5]
	v_cmp_gt_i32_e32 vcc, s0, v0
	s_and_saveexec_b64 s[4:5], vcc
	s_cbranch_execz .LBB145_8
.LBB145_25:
	v_add_u32_e32 v1, s6, v0
	v_add_u32_e32 v0, 0x100, v0
	v_mov_b32_e32 v2, s1
	global_store_byte v1, v2, s[2:3]
	s_or_b64 exec, exec, s[4:5]
	v_cmp_gt_i32_e32 vcc, s0, v0
	s_and_saveexec_b64 s[4:5], vcc
	s_cbranch_execz .LBB145_9
.LBB145_26:
	v_add_u32_e32 v1, s6, v0
	v_add_u32_e32 v0, 0x100, v0
	v_mov_b32_e32 v2, s1
	global_store_byte v1, v2, s[2:3]
	s_or_b64 exec, exec, s[4:5]
	v_cmp_gt_i32_e32 vcc, s0, v0
	s_and_saveexec_b64 s[4:5], vcc
	s_cbranch_execz .LBB145_10
.LBB145_27:
	v_add_u32_e32 v1, s6, v0
	v_add_u32_e32 v0, 0x100, v0
	v_mov_b32_e32 v2, s1
	global_store_byte v1, v2, s[2:3]
	s_or_b64 exec, exec, s[4:5]
	v_cmp_gt_i32_e32 vcc, s0, v0
	s_and_saveexec_b64 s[4:5], vcc
	s_cbranch_execz .LBB145_11
.LBB145_28:
	v_add_u32_e32 v1, s6, v0
	v_add_u32_e32 v0, 0x100, v0
	v_mov_b32_e32 v2, s1
	global_store_byte v1, v2, s[2:3]
	s_or_b64 exec, exec, s[4:5]
	v_cmp_gt_i32_e32 vcc, s0, v0
	s_and_saveexec_b64 s[4:5], vcc
	s_cbranch_execz .LBB145_12
.LBB145_29:
	v_add_u32_e32 v1, s6, v0
	v_add_u32_e32 v0, 0x100, v0
	v_mov_b32_e32 v2, s1
	global_store_byte v1, v2, s[2:3]
	s_or_b64 exec, exec, s[4:5]
	v_cmp_gt_i32_e32 vcc, s0, v0
	s_and_saveexec_b64 s[4:5], vcc
	s_cbranch_execz .LBB145_13
.LBB145_30:
	v_add_u32_e32 v1, s6, v0
	v_add_u32_e32 v0, 0x100, v0
	v_mov_b32_e32 v2, s1
	global_store_byte v1, v2, s[2:3]
	s_or_b64 exec, exec, s[4:5]
	v_cmp_gt_i32_e32 vcc, s0, v0
	s_and_saveexec_b64 s[4:5], vcc
	s_cbranch_execz .LBB145_14
.LBB145_31:
	v_add_u32_e32 v1, s6, v0
	v_add_u32_e32 v0, 0x100, v0
	v_mov_b32_e32 v2, s1
	global_store_byte v1, v2, s[2:3]
	s_or_b64 exec, exec, s[4:5]
	v_cmp_gt_i32_e32 vcc, s0, v0
	s_and_saveexec_b64 s[4:5], vcc
	s_cbranch_execz .LBB145_15
.LBB145_32:
	v_add_u32_e32 v1, s6, v0
	v_add_u32_e32 v0, 0x100, v0
	v_mov_b32_e32 v2, s1
	global_store_byte v1, v2, s[2:3]
	s_or_b64 exec, exec, s[4:5]
	v_cmp_gt_i32_e32 vcc, s0, v0
	s_and_saveexec_b64 s[4:5], vcc
	s_cbranch_execz .LBB145_16
.LBB145_33:
	v_add_u32_e32 v1, s6, v0
	v_add_u32_e32 v0, 0x100, v0
	v_mov_b32_e32 v2, s1
	global_store_byte v1, v2, s[2:3]
	s_or_b64 exec, exec, s[4:5]
	v_cmp_gt_i32_e32 vcc, s0, v0
	s_and_saveexec_b64 s[4:5], vcc
	s_cbranch_execz .LBB145_17
.LBB145_34:
	v_add_u32_e32 v1, s6, v0
	v_add_u32_e32 v0, 0x100, v0
	v_mov_b32_e32 v2, s1
	global_store_byte v1, v2, s[2:3]
	s_or_b64 exec, exec, s[4:5]
	v_cmp_gt_i32_e32 vcc, s0, v0
	s_and_saveexec_b64 s[4:5], vcc
	s_cbranch_execz .LBB145_18
.LBB145_35:
	v_add_u32_e32 v1, s6, v0
	v_add_u32_e32 v0, 0x100, v0
	v_mov_b32_e32 v2, s1
	global_store_byte v1, v2, s[2:3]
	s_or_b64 exec, exec, s[4:5]
	v_cmp_gt_i32_e32 vcc, s0, v0
	s_and_saveexec_b64 s[4:5], vcc
	s_cbranch_execnz .LBB145_19
	s_branch .LBB145_20
	.section	.rodata,"a",@progbits
	.p2align	6, 0x0
	.amdhsa_kernel _ZN2at6native29vectorized_elementwise_kernelILi8ENS0_11FillFunctorIN3c1014Float8_e8m0fnuEEESt5arrayIPcLm1EEEEviT0_T1_
		.amdhsa_group_segment_fixed_size 0
		.amdhsa_private_segment_fixed_size 0
		.amdhsa_kernarg_size 16
		.amdhsa_user_sgpr_count 6
		.amdhsa_user_sgpr_private_segment_buffer 1
		.amdhsa_user_sgpr_dispatch_ptr 0
		.amdhsa_user_sgpr_queue_ptr 0
		.amdhsa_user_sgpr_kernarg_segment_ptr 1
		.amdhsa_user_sgpr_dispatch_id 0
		.amdhsa_user_sgpr_flat_scratch_init 0
		.amdhsa_user_sgpr_kernarg_preload_length 0
		.amdhsa_user_sgpr_kernarg_preload_offset 0
		.amdhsa_user_sgpr_private_segment_size 0
		.amdhsa_uses_dynamic_stack 0
		.amdhsa_system_sgpr_private_segment_wavefront_offset 0
		.amdhsa_system_sgpr_workgroup_id_x 1
		.amdhsa_system_sgpr_workgroup_id_y 0
		.amdhsa_system_sgpr_workgroup_id_z 0
		.amdhsa_system_sgpr_workgroup_info 0
		.amdhsa_system_vgpr_workitem_id 0
		.amdhsa_next_free_vgpr 4
		.amdhsa_next_free_sgpr 10
		.amdhsa_accum_offset 4
		.amdhsa_reserve_vcc 1
		.amdhsa_reserve_flat_scratch 0
		.amdhsa_float_round_mode_32 0
		.amdhsa_float_round_mode_16_64 0
		.amdhsa_float_denorm_mode_32 3
		.amdhsa_float_denorm_mode_16_64 3
		.amdhsa_dx10_clamp 1
		.amdhsa_ieee_mode 1
		.amdhsa_fp16_overflow 0
		.amdhsa_tg_split 0
		.amdhsa_exception_fp_ieee_invalid_op 0
		.amdhsa_exception_fp_denorm_src 0
		.amdhsa_exception_fp_ieee_div_zero 0
		.amdhsa_exception_fp_ieee_overflow 0
		.amdhsa_exception_fp_ieee_underflow 0
		.amdhsa_exception_fp_ieee_inexact 0
		.amdhsa_exception_int_div_zero 0
	.end_amdhsa_kernel
	.section	.text._ZN2at6native29vectorized_elementwise_kernelILi8ENS0_11FillFunctorIN3c1014Float8_e8m0fnuEEESt5arrayIPcLm1EEEEviT0_T1_,"axG",@progbits,_ZN2at6native29vectorized_elementwise_kernelILi8ENS0_11FillFunctorIN3c1014Float8_e8m0fnuEEESt5arrayIPcLm1EEEEviT0_T1_,comdat
.Lfunc_end145:
	.size	_ZN2at6native29vectorized_elementwise_kernelILi8ENS0_11FillFunctorIN3c1014Float8_e8m0fnuEEESt5arrayIPcLm1EEEEviT0_T1_, .Lfunc_end145-_ZN2at6native29vectorized_elementwise_kernelILi8ENS0_11FillFunctorIN3c1014Float8_e8m0fnuEEESt5arrayIPcLm1EEEEviT0_T1_
                                        ; -- End function
	.section	.AMDGPU.csdata,"",@progbits
; Kernel info:
; codeLenInByte = 984
; NumSgprs: 14
; NumVgprs: 4
; NumAgprs: 0
; TotalNumVgprs: 4
; ScratchSize: 0
; MemoryBound: 0
; FloatMode: 240
; IeeeMode: 1
; LDSByteSize: 0 bytes/workgroup (compile time only)
; SGPRBlocks: 1
; VGPRBlocks: 0
; NumSGPRsForWavesPerEU: 14
; NumVGPRsForWavesPerEU: 4
; AccumOffset: 4
; Occupancy: 8
; WaveLimiterHint : 1
; COMPUTE_PGM_RSRC2:SCRATCH_EN: 0
; COMPUTE_PGM_RSRC2:USER_SGPR: 6
; COMPUTE_PGM_RSRC2:TRAP_HANDLER: 0
; COMPUTE_PGM_RSRC2:TGID_X_EN: 1
; COMPUTE_PGM_RSRC2:TGID_Y_EN: 0
; COMPUTE_PGM_RSRC2:TGID_Z_EN: 0
; COMPUTE_PGM_RSRC2:TIDIG_COMP_CNT: 0
; COMPUTE_PGM_RSRC3_GFX90A:ACCUM_OFFSET: 0
; COMPUTE_PGM_RSRC3_GFX90A:TG_SPLIT: 0
	.section	.text._ZN2at6native29vectorized_elementwise_kernelILi4ENS0_11FillFunctorIN3c1014Float8_e8m0fnuEEESt5arrayIPcLm1EEEEviT0_T1_,"axG",@progbits,_ZN2at6native29vectorized_elementwise_kernelILi4ENS0_11FillFunctorIN3c1014Float8_e8m0fnuEEESt5arrayIPcLm1EEEEviT0_T1_,comdat
	.protected	_ZN2at6native29vectorized_elementwise_kernelILi4ENS0_11FillFunctorIN3c1014Float8_e8m0fnuEEESt5arrayIPcLm1EEEEviT0_T1_ ; -- Begin function _ZN2at6native29vectorized_elementwise_kernelILi4ENS0_11FillFunctorIN3c1014Float8_e8m0fnuEEESt5arrayIPcLm1EEEEviT0_T1_
	.globl	_ZN2at6native29vectorized_elementwise_kernelILi4ENS0_11FillFunctorIN3c1014Float8_e8m0fnuEEESt5arrayIPcLm1EEEEviT0_T1_
	.p2align	8
	.type	_ZN2at6native29vectorized_elementwise_kernelILi4ENS0_11FillFunctorIN3c1014Float8_e8m0fnuEEESt5arrayIPcLm1EEEEviT0_T1_,@function
_ZN2at6native29vectorized_elementwise_kernelILi4ENS0_11FillFunctorIN3c1014Float8_e8m0fnuEEESt5arrayIPcLm1EEEEviT0_T1_: ; @_ZN2at6native29vectorized_elementwise_kernelILi4ENS0_11FillFunctorIN3c1014Float8_e8m0fnuEEESt5arrayIPcLm1EEEEviT0_T1_
; %bb.0:
	s_load_dwordx4 s[0:3], s[4:5], 0x0
	s_lshl_b32 s6, s6, 12
	s_mov_b64 s[4:5], -1
	s_waitcnt lgkmcnt(0)
	s_sub_i32 s0, s0, s6
	s_cmpk_gt_i32 s0, 0xfff
	s_cbranch_scc0 .LBB146_2
; %bb.1:
	s_ashr_i32 s5, s6, 31
	s_add_u32 s4, s2, s6
	s_addc_u32 s5, s3, s5
	s_and_b32 s7, s1, 0xff
	s_mul_i32 s7, s7, 0x1010101
	v_lshlrev_b32_e32 v1, 2, v0
	v_mov_b32_e32 v2, s7
	global_store_dword v1, v2, s[4:5]
	global_store_dword v1, v2, s[4:5] offset:1024
	global_store_dword v1, v2, s[4:5] offset:2048
	;; [unrolled: 1-line block ×3, first 2 shown]
	s_mov_b64 s[4:5], 0
.LBB146_2:
	s_andn2_b64 vcc, exec, s[4:5]
	s_cbranch_vccnz .LBB146_20
; %bb.3:
	v_cmp_gt_i32_e32 vcc, s0, v0
	s_and_saveexec_b64 s[4:5], vcc
	s_cbranch_execnz .LBB146_21
; %bb.4:
	s_or_b64 exec, exec, s[4:5]
	v_cmp_gt_i32_e32 vcc, s0, v0
	s_and_saveexec_b64 s[4:5], vcc
	s_cbranch_execnz .LBB146_22
.LBB146_5:
	s_or_b64 exec, exec, s[4:5]
	v_cmp_gt_i32_e32 vcc, s0, v0
	s_and_saveexec_b64 s[4:5], vcc
	s_cbranch_execnz .LBB146_23
.LBB146_6:
	s_or_b64 exec, exec, s[4:5]
	v_cmp_gt_i32_e32 vcc, s0, v0
	s_and_saveexec_b64 s[4:5], vcc
	s_cbranch_execnz .LBB146_24
.LBB146_7:
	s_or_b64 exec, exec, s[4:5]
	v_cmp_gt_i32_e32 vcc, s0, v0
	s_and_saveexec_b64 s[4:5], vcc
	s_cbranch_execnz .LBB146_25
.LBB146_8:
	s_or_b64 exec, exec, s[4:5]
	v_cmp_gt_i32_e32 vcc, s0, v0
	s_and_saveexec_b64 s[4:5], vcc
	s_cbranch_execnz .LBB146_26
.LBB146_9:
	s_or_b64 exec, exec, s[4:5]
	v_cmp_gt_i32_e32 vcc, s0, v0
	s_and_saveexec_b64 s[4:5], vcc
	s_cbranch_execnz .LBB146_27
.LBB146_10:
	s_or_b64 exec, exec, s[4:5]
	v_cmp_gt_i32_e32 vcc, s0, v0
	s_and_saveexec_b64 s[4:5], vcc
	s_cbranch_execnz .LBB146_28
.LBB146_11:
	s_or_b64 exec, exec, s[4:5]
	v_cmp_gt_i32_e32 vcc, s0, v0
	s_and_saveexec_b64 s[4:5], vcc
	s_cbranch_execnz .LBB146_29
.LBB146_12:
	s_or_b64 exec, exec, s[4:5]
	v_cmp_gt_i32_e32 vcc, s0, v0
	s_and_saveexec_b64 s[4:5], vcc
	s_cbranch_execnz .LBB146_30
.LBB146_13:
	s_or_b64 exec, exec, s[4:5]
	v_cmp_gt_i32_e32 vcc, s0, v0
	s_and_saveexec_b64 s[4:5], vcc
	s_cbranch_execnz .LBB146_31
.LBB146_14:
	s_or_b64 exec, exec, s[4:5]
	v_cmp_gt_i32_e32 vcc, s0, v0
	s_and_saveexec_b64 s[4:5], vcc
	s_cbranch_execnz .LBB146_32
.LBB146_15:
	s_or_b64 exec, exec, s[4:5]
	v_cmp_gt_i32_e32 vcc, s0, v0
	s_and_saveexec_b64 s[4:5], vcc
	s_cbranch_execnz .LBB146_33
.LBB146_16:
	s_or_b64 exec, exec, s[4:5]
	v_cmp_gt_i32_e32 vcc, s0, v0
	s_and_saveexec_b64 s[4:5], vcc
	s_cbranch_execnz .LBB146_34
.LBB146_17:
	s_or_b64 exec, exec, s[4:5]
	v_cmp_gt_i32_e32 vcc, s0, v0
	s_and_saveexec_b64 s[4:5], vcc
	s_cbranch_execnz .LBB146_35
.LBB146_18:
	s_or_b64 exec, exec, s[4:5]
	v_cmp_gt_i32_e32 vcc, s0, v0
	s_and_saveexec_b64 s[4:5], vcc
	s_cbranch_execz .LBB146_20
.LBB146_19:
	v_add_u32_e32 v0, s6, v0
	v_mov_b32_e32 v1, s1
	global_store_byte v0, v1, s[2:3]
.LBB146_20:
	s_endpgm
.LBB146_21:
	v_or_b32_e32 v1, 0x100, v0
	v_or_b32_e32 v0, s6, v0
	v_mov_b32_e32 v2, s1
	global_store_byte v0, v2, s[2:3]
	v_mov_b32_e32 v0, v1
	s_or_b64 exec, exec, s[4:5]
	v_cmp_gt_i32_e32 vcc, s0, v0
	s_and_saveexec_b64 s[4:5], vcc
	s_cbranch_execz .LBB146_5
.LBB146_22:
	v_add_u32_e32 v1, s6, v0
	v_add_u32_e32 v0, 0x100, v0
	v_mov_b32_e32 v2, s1
	global_store_byte v1, v2, s[2:3]
	s_or_b64 exec, exec, s[4:5]
	v_cmp_gt_i32_e32 vcc, s0, v0
	s_and_saveexec_b64 s[4:5], vcc
	s_cbranch_execz .LBB146_6
.LBB146_23:
	v_add_u32_e32 v1, s6, v0
	v_add_u32_e32 v0, 0x100, v0
	v_mov_b32_e32 v2, s1
	global_store_byte v1, v2, s[2:3]
	s_or_b64 exec, exec, s[4:5]
	v_cmp_gt_i32_e32 vcc, s0, v0
	s_and_saveexec_b64 s[4:5], vcc
	s_cbranch_execz .LBB146_7
.LBB146_24:
	v_add_u32_e32 v1, s6, v0
	v_add_u32_e32 v0, 0x100, v0
	v_mov_b32_e32 v2, s1
	global_store_byte v1, v2, s[2:3]
	s_or_b64 exec, exec, s[4:5]
	v_cmp_gt_i32_e32 vcc, s0, v0
	s_and_saveexec_b64 s[4:5], vcc
	s_cbranch_execz .LBB146_8
.LBB146_25:
	v_add_u32_e32 v1, s6, v0
	v_add_u32_e32 v0, 0x100, v0
	v_mov_b32_e32 v2, s1
	global_store_byte v1, v2, s[2:3]
	s_or_b64 exec, exec, s[4:5]
	v_cmp_gt_i32_e32 vcc, s0, v0
	s_and_saveexec_b64 s[4:5], vcc
	s_cbranch_execz .LBB146_9
.LBB146_26:
	v_add_u32_e32 v1, s6, v0
	v_add_u32_e32 v0, 0x100, v0
	v_mov_b32_e32 v2, s1
	global_store_byte v1, v2, s[2:3]
	s_or_b64 exec, exec, s[4:5]
	v_cmp_gt_i32_e32 vcc, s0, v0
	s_and_saveexec_b64 s[4:5], vcc
	s_cbranch_execz .LBB146_10
.LBB146_27:
	v_add_u32_e32 v1, s6, v0
	v_add_u32_e32 v0, 0x100, v0
	v_mov_b32_e32 v2, s1
	global_store_byte v1, v2, s[2:3]
	s_or_b64 exec, exec, s[4:5]
	v_cmp_gt_i32_e32 vcc, s0, v0
	s_and_saveexec_b64 s[4:5], vcc
	s_cbranch_execz .LBB146_11
.LBB146_28:
	v_add_u32_e32 v1, s6, v0
	v_add_u32_e32 v0, 0x100, v0
	v_mov_b32_e32 v2, s1
	global_store_byte v1, v2, s[2:3]
	s_or_b64 exec, exec, s[4:5]
	v_cmp_gt_i32_e32 vcc, s0, v0
	s_and_saveexec_b64 s[4:5], vcc
	s_cbranch_execz .LBB146_12
.LBB146_29:
	v_add_u32_e32 v1, s6, v0
	v_add_u32_e32 v0, 0x100, v0
	v_mov_b32_e32 v2, s1
	global_store_byte v1, v2, s[2:3]
	s_or_b64 exec, exec, s[4:5]
	v_cmp_gt_i32_e32 vcc, s0, v0
	s_and_saveexec_b64 s[4:5], vcc
	s_cbranch_execz .LBB146_13
.LBB146_30:
	v_add_u32_e32 v1, s6, v0
	v_add_u32_e32 v0, 0x100, v0
	v_mov_b32_e32 v2, s1
	global_store_byte v1, v2, s[2:3]
	s_or_b64 exec, exec, s[4:5]
	v_cmp_gt_i32_e32 vcc, s0, v0
	s_and_saveexec_b64 s[4:5], vcc
	s_cbranch_execz .LBB146_14
.LBB146_31:
	v_add_u32_e32 v1, s6, v0
	v_add_u32_e32 v0, 0x100, v0
	v_mov_b32_e32 v2, s1
	global_store_byte v1, v2, s[2:3]
	s_or_b64 exec, exec, s[4:5]
	v_cmp_gt_i32_e32 vcc, s0, v0
	s_and_saveexec_b64 s[4:5], vcc
	s_cbranch_execz .LBB146_15
.LBB146_32:
	v_add_u32_e32 v1, s6, v0
	v_add_u32_e32 v0, 0x100, v0
	v_mov_b32_e32 v2, s1
	global_store_byte v1, v2, s[2:3]
	s_or_b64 exec, exec, s[4:5]
	v_cmp_gt_i32_e32 vcc, s0, v0
	s_and_saveexec_b64 s[4:5], vcc
	s_cbranch_execz .LBB146_16
.LBB146_33:
	v_add_u32_e32 v1, s6, v0
	v_add_u32_e32 v0, 0x100, v0
	v_mov_b32_e32 v2, s1
	global_store_byte v1, v2, s[2:3]
	s_or_b64 exec, exec, s[4:5]
	v_cmp_gt_i32_e32 vcc, s0, v0
	s_and_saveexec_b64 s[4:5], vcc
	s_cbranch_execz .LBB146_17
.LBB146_34:
	v_add_u32_e32 v1, s6, v0
	v_add_u32_e32 v0, 0x100, v0
	v_mov_b32_e32 v2, s1
	global_store_byte v1, v2, s[2:3]
	s_or_b64 exec, exec, s[4:5]
	v_cmp_gt_i32_e32 vcc, s0, v0
	s_and_saveexec_b64 s[4:5], vcc
	s_cbranch_execz .LBB146_18
.LBB146_35:
	v_add_u32_e32 v1, s6, v0
	v_add_u32_e32 v0, 0x100, v0
	v_mov_b32_e32 v2, s1
	global_store_byte v1, v2, s[2:3]
	s_or_b64 exec, exec, s[4:5]
	v_cmp_gt_i32_e32 vcc, s0, v0
	s_and_saveexec_b64 s[4:5], vcc
	s_cbranch_execnz .LBB146_19
	s_branch .LBB146_20
	.section	.rodata,"a",@progbits
	.p2align	6, 0x0
	.amdhsa_kernel _ZN2at6native29vectorized_elementwise_kernelILi4ENS0_11FillFunctorIN3c1014Float8_e8m0fnuEEESt5arrayIPcLm1EEEEviT0_T1_
		.amdhsa_group_segment_fixed_size 0
		.amdhsa_private_segment_fixed_size 0
		.amdhsa_kernarg_size 16
		.amdhsa_user_sgpr_count 6
		.amdhsa_user_sgpr_private_segment_buffer 1
		.amdhsa_user_sgpr_dispatch_ptr 0
		.amdhsa_user_sgpr_queue_ptr 0
		.amdhsa_user_sgpr_kernarg_segment_ptr 1
		.amdhsa_user_sgpr_dispatch_id 0
		.amdhsa_user_sgpr_flat_scratch_init 0
		.amdhsa_user_sgpr_kernarg_preload_length 0
		.amdhsa_user_sgpr_kernarg_preload_offset 0
		.amdhsa_user_sgpr_private_segment_size 0
		.amdhsa_uses_dynamic_stack 0
		.amdhsa_system_sgpr_private_segment_wavefront_offset 0
		.amdhsa_system_sgpr_workgroup_id_x 1
		.amdhsa_system_sgpr_workgroup_id_y 0
		.amdhsa_system_sgpr_workgroup_id_z 0
		.amdhsa_system_sgpr_workgroup_info 0
		.amdhsa_system_vgpr_workitem_id 0
		.amdhsa_next_free_vgpr 3
		.amdhsa_next_free_sgpr 8
		.amdhsa_accum_offset 4
		.amdhsa_reserve_vcc 1
		.amdhsa_reserve_flat_scratch 0
		.amdhsa_float_round_mode_32 0
		.amdhsa_float_round_mode_16_64 0
		.amdhsa_float_denorm_mode_32 3
		.amdhsa_float_denorm_mode_16_64 3
		.amdhsa_dx10_clamp 1
		.amdhsa_ieee_mode 1
		.amdhsa_fp16_overflow 0
		.amdhsa_tg_split 0
		.amdhsa_exception_fp_ieee_invalid_op 0
		.amdhsa_exception_fp_denorm_src 0
		.amdhsa_exception_fp_ieee_div_zero 0
		.amdhsa_exception_fp_ieee_overflow 0
		.amdhsa_exception_fp_ieee_underflow 0
		.amdhsa_exception_fp_ieee_inexact 0
		.amdhsa_exception_int_div_zero 0
	.end_amdhsa_kernel
	.section	.text._ZN2at6native29vectorized_elementwise_kernelILi4ENS0_11FillFunctorIN3c1014Float8_e8m0fnuEEESt5arrayIPcLm1EEEEviT0_T1_,"axG",@progbits,_ZN2at6native29vectorized_elementwise_kernelILi4ENS0_11FillFunctorIN3c1014Float8_e8m0fnuEEESt5arrayIPcLm1EEEEviT0_T1_,comdat
.Lfunc_end146:
	.size	_ZN2at6native29vectorized_elementwise_kernelILi4ENS0_11FillFunctorIN3c1014Float8_e8m0fnuEEESt5arrayIPcLm1EEEEviT0_T1_, .Lfunc_end146-_ZN2at6native29vectorized_elementwise_kernelILi4ENS0_11FillFunctorIN3c1014Float8_e8m0fnuEEESt5arrayIPcLm1EEEEviT0_T1_
                                        ; -- End function
	.section	.AMDGPU.csdata,"",@progbits
; Kernel info:
; codeLenInByte = 992
; NumSgprs: 12
; NumVgprs: 3
; NumAgprs: 0
; TotalNumVgprs: 3
; ScratchSize: 0
; MemoryBound: 0
; FloatMode: 240
; IeeeMode: 1
; LDSByteSize: 0 bytes/workgroup (compile time only)
; SGPRBlocks: 1
; VGPRBlocks: 0
; NumSGPRsForWavesPerEU: 12
; NumVGPRsForWavesPerEU: 3
; AccumOffset: 4
; Occupancy: 8
; WaveLimiterHint : 1
; COMPUTE_PGM_RSRC2:SCRATCH_EN: 0
; COMPUTE_PGM_RSRC2:USER_SGPR: 6
; COMPUTE_PGM_RSRC2:TRAP_HANDLER: 0
; COMPUTE_PGM_RSRC2:TGID_X_EN: 1
; COMPUTE_PGM_RSRC2:TGID_Y_EN: 0
; COMPUTE_PGM_RSRC2:TGID_Z_EN: 0
; COMPUTE_PGM_RSRC2:TIDIG_COMP_CNT: 0
; COMPUTE_PGM_RSRC3_GFX90A:ACCUM_OFFSET: 0
; COMPUTE_PGM_RSRC3_GFX90A:TG_SPLIT: 0
	.section	.text._ZN2at6native29vectorized_elementwise_kernelILi2ENS0_11FillFunctorIN3c1014Float8_e8m0fnuEEESt5arrayIPcLm1EEEEviT0_T1_,"axG",@progbits,_ZN2at6native29vectorized_elementwise_kernelILi2ENS0_11FillFunctorIN3c1014Float8_e8m0fnuEEESt5arrayIPcLm1EEEEviT0_T1_,comdat
	.protected	_ZN2at6native29vectorized_elementwise_kernelILi2ENS0_11FillFunctorIN3c1014Float8_e8m0fnuEEESt5arrayIPcLm1EEEEviT0_T1_ ; -- Begin function _ZN2at6native29vectorized_elementwise_kernelILi2ENS0_11FillFunctorIN3c1014Float8_e8m0fnuEEESt5arrayIPcLm1EEEEviT0_T1_
	.globl	_ZN2at6native29vectorized_elementwise_kernelILi2ENS0_11FillFunctorIN3c1014Float8_e8m0fnuEEESt5arrayIPcLm1EEEEviT0_T1_
	.p2align	8
	.type	_ZN2at6native29vectorized_elementwise_kernelILi2ENS0_11FillFunctorIN3c1014Float8_e8m0fnuEEESt5arrayIPcLm1EEEEviT0_T1_,@function
_ZN2at6native29vectorized_elementwise_kernelILi2ENS0_11FillFunctorIN3c1014Float8_e8m0fnuEEESt5arrayIPcLm1EEEEviT0_T1_: ; @_ZN2at6native29vectorized_elementwise_kernelILi2ENS0_11FillFunctorIN3c1014Float8_e8m0fnuEEESt5arrayIPcLm1EEEEviT0_T1_
; %bb.0:
	s_load_dwordx4 s[0:3], s[4:5], 0x0
	s_lshl_b32 s6, s6, 12
	s_mov_b64 s[4:5], -1
	s_waitcnt lgkmcnt(0)
	s_sub_i32 s0, s0, s6
	s_cmpk_gt_i32 s0, 0xfff
	s_cbranch_scc0 .LBB147_2
; %bb.1:
	s_ashr_i32 s5, s6, 31
	s_add_u32 s4, s2, s6
	v_mov_b32_e32 v2, 0x101
	s_addc_u32 s5, s3, s5
	v_lshlrev_b32_e32 v1, 1, v0
	v_mul_lo_u16_sdwa v2, s1, v2 dst_sel:DWORD dst_unused:UNUSED_PAD src0_sel:BYTE_0 src1_sel:DWORD
	global_store_short v1, v2, s[4:5]
	global_store_short v1, v2, s[4:5] offset:512
	global_store_short v1, v2, s[4:5] offset:1024
	;; [unrolled: 1-line block ×7, first 2 shown]
	s_mov_b64 s[4:5], 0
.LBB147_2:
	s_andn2_b64 vcc, exec, s[4:5]
	s_cbranch_vccnz .LBB147_20
; %bb.3:
	v_cmp_gt_i32_e32 vcc, s0, v0
	s_and_saveexec_b64 s[4:5], vcc
	s_cbranch_execnz .LBB147_21
; %bb.4:
	s_or_b64 exec, exec, s[4:5]
	v_cmp_gt_i32_e32 vcc, s0, v0
	s_and_saveexec_b64 s[4:5], vcc
	s_cbranch_execnz .LBB147_22
.LBB147_5:
	s_or_b64 exec, exec, s[4:5]
	v_cmp_gt_i32_e32 vcc, s0, v0
	s_and_saveexec_b64 s[4:5], vcc
	s_cbranch_execnz .LBB147_23
.LBB147_6:
	s_or_b64 exec, exec, s[4:5]
	v_cmp_gt_i32_e32 vcc, s0, v0
	s_and_saveexec_b64 s[4:5], vcc
	s_cbranch_execnz .LBB147_24
.LBB147_7:
	s_or_b64 exec, exec, s[4:5]
	v_cmp_gt_i32_e32 vcc, s0, v0
	s_and_saveexec_b64 s[4:5], vcc
	s_cbranch_execnz .LBB147_25
.LBB147_8:
	s_or_b64 exec, exec, s[4:5]
	v_cmp_gt_i32_e32 vcc, s0, v0
	s_and_saveexec_b64 s[4:5], vcc
	s_cbranch_execnz .LBB147_26
.LBB147_9:
	s_or_b64 exec, exec, s[4:5]
	v_cmp_gt_i32_e32 vcc, s0, v0
	s_and_saveexec_b64 s[4:5], vcc
	s_cbranch_execnz .LBB147_27
.LBB147_10:
	s_or_b64 exec, exec, s[4:5]
	v_cmp_gt_i32_e32 vcc, s0, v0
	s_and_saveexec_b64 s[4:5], vcc
	s_cbranch_execnz .LBB147_28
.LBB147_11:
	s_or_b64 exec, exec, s[4:5]
	v_cmp_gt_i32_e32 vcc, s0, v0
	s_and_saveexec_b64 s[4:5], vcc
	s_cbranch_execnz .LBB147_29
.LBB147_12:
	s_or_b64 exec, exec, s[4:5]
	v_cmp_gt_i32_e32 vcc, s0, v0
	s_and_saveexec_b64 s[4:5], vcc
	s_cbranch_execnz .LBB147_30
.LBB147_13:
	s_or_b64 exec, exec, s[4:5]
	v_cmp_gt_i32_e32 vcc, s0, v0
	s_and_saveexec_b64 s[4:5], vcc
	s_cbranch_execnz .LBB147_31
.LBB147_14:
	s_or_b64 exec, exec, s[4:5]
	v_cmp_gt_i32_e32 vcc, s0, v0
	s_and_saveexec_b64 s[4:5], vcc
	s_cbranch_execnz .LBB147_32
.LBB147_15:
	s_or_b64 exec, exec, s[4:5]
	v_cmp_gt_i32_e32 vcc, s0, v0
	s_and_saveexec_b64 s[4:5], vcc
	s_cbranch_execnz .LBB147_33
.LBB147_16:
	s_or_b64 exec, exec, s[4:5]
	v_cmp_gt_i32_e32 vcc, s0, v0
	s_and_saveexec_b64 s[4:5], vcc
	s_cbranch_execnz .LBB147_34
.LBB147_17:
	s_or_b64 exec, exec, s[4:5]
	v_cmp_gt_i32_e32 vcc, s0, v0
	s_and_saveexec_b64 s[4:5], vcc
	s_cbranch_execnz .LBB147_35
.LBB147_18:
	s_or_b64 exec, exec, s[4:5]
	v_cmp_gt_i32_e32 vcc, s0, v0
	s_and_saveexec_b64 s[4:5], vcc
	s_cbranch_execz .LBB147_20
.LBB147_19:
	v_add_u32_e32 v0, s6, v0
	v_mov_b32_e32 v1, s1
	global_store_byte v0, v1, s[2:3]
.LBB147_20:
	s_endpgm
.LBB147_21:
	v_or_b32_e32 v1, 0x100, v0
	v_or_b32_e32 v0, s6, v0
	v_mov_b32_e32 v2, s1
	global_store_byte v0, v2, s[2:3]
	v_mov_b32_e32 v0, v1
	s_or_b64 exec, exec, s[4:5]
	v_cmp_gt_i32_e32 vcc, s0, v0
	s_and_saveexec_b64 s[4:5], vcc
	s_cbranch_execz .LBB147_5
.LBB147_22:
	v_add_u32_e32 v1, s6, v0
	v_add_u32_e32 v0, 0x100, v0
	v_mov_b32_e32 v2, s1
	global_store_byte v1, v2, s[2:3]
	s_or_b64 exec, exec, s[4:5]
	v_cmp_gt_i32_e32 vcc, s0, v0
	s_and_saveexec_b64 s[4:5], vcc
	s_cbranch_execz .LBB147_6
.LBB147_23:
	v_add_u32_e32 v1, s6, v0
	v_add_u32_e32 v0, 0x100, v0
	v_mov_b32_e32 v2, s1
	global_store_byte v1, v2, s[2:3]
	s_or_b64 exec, exec, s[4:5]
	v_cmp_gt_i32_e32 vcc, s0, v0
	s_and_saveexec_b64 s[4:5], vcc
	s_cbranch_execz .LBB147_7
.LBB147_24:
	v_add_u32_e32 v1, s6, v0
	v_add_u32_e32 v0, 0x100, v0
	v_mov_b32_e32 v2, s1
	global_store_byte v1, v2, s[2:3]
	s_or_b64 exec, exec, s[4:5]
	v_cmp_gt_i32_e32 vcc, s0, v0
	s_and_saveexec_b64 s[4:5], vcc
	s_cbranch_execz .LBB147_8
.LBB147_25:
	v_add_u32_e32 v1, s6, v0
	v_add_u32_e32 v0, 0x100, v0
	v_mov_b32_e32 v2, s1
	global_store_byte v1, v2, s[2:3]
	s_or_b64 exec, exec, s[4:5]
	v_cmp_gt_i32_e32 vcc, s0, v0
	s_and_saveexec_b64 s[4:5], vcc
	s_cbranch_execz .LBB147_9
.LBB147_26:
	v_add_u32_e32 v1, s6, v0
	v_add_u32_e32 v0, 0x100, v0
	v_mov_b32_e32 v2, s1
	global_store_byte v1, v2, s[2:3]
	s_or_b64 exec, exec, s[4:5]
	v_cmp_gt_i32_e32 vcc, s0, v0
	s_and_saveexec_b64 s[4:5], vcc
	s_cbranch_execz .LBB147_10
.LBB147_27:
	v_add_u32_e32 v1, s6, v0
	v_add_u32_e32 v0, 0x100, v0
	v_mov_b32_e32 v2, s1
	global_store_byte v1, v2, s[2:3]
	s_or_b64 exec, exec, s[4:5]
	v_cmp_gt_i32_e32 vcc, s0, v0
	s_and_saveexec_b64 s[4:5], vcc
	s_cbranch_execz .LBB147_11
.LBB147_28:
	v_add_u32_e32 v1, s6, v0
	v_add_u32_e32 v0, 0x100, v0
	v_mov_b32_e32 v2, s1
	global_store_byte v1, v2, s[2:3]
	s_or_b64 exec, exec, s[4:5]
	v_cmp_gt_i32_e32 vcc, s0, v0
	s_and_saveexec_b64 s[4:5], vcc
	s_cbranch_execz .LBB147_12
.LBB147_29:
	v_add_u32_e32 v1, s6, v0
	v_add_u32_e32 v0, 0x100, v0
	v_mov_b32_e32 v2, s1
	global_store_byte v1, v2, s[2:3]
	s_or_b64 exec, exec, s[4:5]
	v_cmp_gt_i32_e32 vcc, s0, v0
	s_and_saveexec_b64 s[4:5], vcc
	s_cbranch_execz .LBB147_13
.LBB147_30:
	v_add_u32_e32 v1, s6, v0
	v_add_u32_e32 v0, 0x100, v0
	v_mov_b32_e32 v2, s1
	global_store_byte v1, v2, s[2:3]
	s_or_b64 exec, exec, s[4:5]
	v_cmp_gt_i32_e32 vcc, s0, v0
	s_and_saveexec_b64 s[4:5], vcc
	s_cbranch_execz .LBB147_14
.LBB147_31:
	v_add_u32_e32 v1, s6, v0
	v_add_u32_e32 v0, 0x100, v0
	v_mov_b32_e32 v2, s1
	global_store_byte v1, v2, s[2:3]
	s_or_b64 exec, exec, s[4:5]
	v_cmp_gt_i32_e32 vcc, s0, v0
	s_and_saveexec_b64 s[4:5], vcc
	s_cbranch_execz .LBB147_15
.LBB147_32:
	v_add_u32_e32 v1, s6, v0
	v_add_u32_e32 v0, 0x100, v0
	v_mov_b32_e32 v2, s1
	global_store_byte v1, v2, s[2:3]
	s_or_b64 exec, exec, s[4:5]
	v_cmp_gt_i32_e32 vcc, s0, v0
	s_and_saveexec_b64 s[4:5], vcc
	s_cbranch_execz .LBB147_16
.LBB147_33:
	v_add_u32_e32 v1, s6, v0
	v_add_u32_e32 v0, 0x100, v0
	v_mov_b32_e32 v2, s1
	global_store_byte v1, v2, s[2:3]
	s_or_b64 exec, exec, s[4:5]
	v_cmp_gt_i32_e32 vcc, s0, v0
	s_and_saveexec_b64 s[4:5], vcc
	s_cbranch_execz .LBB147_17
.LBB147_34:
	v_add_u32_e32 v1, s6, v0
	v_add_u32_e32 v0, 0x100, v0
	v_mov_b32_e32 v2, s1
	global_store_byte v1, v2, s[2:3]
	s_or_b64 exec, exec, s[4:5]
	v_cmp_gt_i32_e32 vcc, s0, v0
	s_and_saveexec_b64 s[4:5], vcc
	s_cbranch_execz .LBB147_18
.LBB147_35:
	v_add_u32_e32 v1, s6, v0
	v_add_u32_e32 v0, 0x100, v0
	v_mov_b32_e32 v2, s1
	global_store_byte v1, v2, s[2:3]
	s_or_b64 exec, exec, s[4:5]
	v_cmp_gt_i32_e32 vcc, s0, v0
	s_and_saveexec_b64 s[4:5], vcc
	s_cbranch_execnz .LBB147_19
	s_branch .LBB147_20
	.section	.rodata,"a",@progbits
	.p2align	6, 0x0
	.amdhsa_kernel _ZN2at6native29vectorized_elementwise_kernelILi2ENS0_11FillFunctorIN3c1014Float8_e8m0fnuEEESt5arrayIPcLm1EEEEviT0_T1_
		.amdhsa_group_segment_fixed_size 0
		.amdhsa_private_segment_fixed_size 0
		.amdhsa_kernarg_size 16
		.amdhsa_user_sgpr_count 6
		.amdhsa_user_sgpr_private_segment_buffer 1
		.amdhsa_user_sgpr_dispatch_ptr 0
		.amdhsa_user_sgpr_queue_ptr 0
		.amdhsa_user_sgpr_kernarg_segment_ptr 1
		.amdhsa_user_sgpr_dispatch_id 0
		.amdhsa_user_sgpr_flat_scratch_init 0
		.amdhsa_user_sgpr_kernarg_preload_length 0
		.amdhsa_user_sgpr_kernarg_preload_offset 0
		.amdhsa_user_sgpr_private_segment_size 0
		.amdhsa_uses_dynamic_stack 0
		.amdhsa_system_sgpr_private_segment_wavefront_offset 0
		.amdhsa_system_sgpr_workgroup_id_x 1
		.amdhsa_system_sgpr_workgroup_id_y 0
		.amdhsa_system_sgpr_workgroup_id_z 0
		.amdhsa_system_sgpr_workgroup_info 0
		.amdhsa_system_vgpr_workitem_id 0
		.amdhsa_next_free_vgpr 3
		.amdhsa_next_free_sgpr 7
		.amdhsa_accum_offset 4
		.amdhsa_reserve_vcc 1
		.amdhsa_reserve_flat_scratch 0
		.amdhsa_float_round_mode_32 0
		.amdhsa_float_round_mode_16_64 0
		.amdhsa_float_denorm_mode_32 3
		.amdhsa_float_denorm_mode_16_64 3
		.amdhsa_dx10_clamp 1
		.amdhsa_ieee_mode 1
		.amdhsa_fp16_overflow 0
		.amdhsa_tg_split 0
		.amdhsa_exception_fp_ieee_invalid_op 0
		.amdhsa_exception_fp_denorm_src 0
		.amdhsa_exception_fp_ieee_div_zero 0
		.amdhsa_exception_fp_ieee_overflow 0
		.amdhsa_exception_fp_ieee_underflow 0
		.amdhsa_exception_fp_ieee_inexact 0
		.amdhsa_exception_int_div_zero 0
	.end_amdhsa_kernel
	.section	.text._ZN2at6native29vectorized_elementwise_kernelILi2ENS0_11FillFunctorIN3c1014Float8_e8m0fnuEEESt5arrayIPcLm1EEEEviT0_T1_,"axG",@progbits,_ZN2at6native29vectorized_elementwise_kernelILi2ENS0_11FillFunctorIN3c1014Float8_e8m0fnuEEESt5arrayIPcLm1EEEEviT0_T1_,comdat
.Lfunc_end147:
	.size	_ZN2at6native29vectorized_elementwise_kernelILi2ENS0_11FillFunctorIN3c1014Float8_e8m0fnuEEESt5arrayIPcLm1EEEEviT0_T1_, .Lfunc_end147-_ZN2at6native29vectorized_elementwise_kernelILi2ENS0_11FillFunctorIN3c1014Float8_e8m0fnuEEESt5arrayIPcLm1EEEEviT0_T1_
                                        ; -- End function
	.section	.AMDGPU.csdata,"",@progbits
; Kernel info:
; codeLenInByte = 1020
; NumSgprs: 11
; NumVgprs: 3
; NumAgprs: 0
; TotalNumVgprs: 3
; ScratchSize: 0
; MemoryBound: 0
; FloatMode: 240
; IeeeMode: 1
; LDSByteSize: 0 bytes/workgroup (compile time only)
; SGPRBlocks: 1
; VGPRBlocks: 0
; NumSGPRsForWavesPerEU: 11
; NumVGPRsForWavesPerEU: 3
; AccumOffset: 4
; Occupancy: 8
; WaveLimiterHint : 1
; COMPUTE_PGM_RSRC2:SCRATCH_EN: 0
; COMPUTE_PGM_RSRC2:USER_SGPR: 6
; COMPUTE_PGM_RSRC2:TRAP_HANDLER: 0
; COMPUTE_PGM_RSRC2:TGID_X_EN: 1
; COMPUTE_PGM_RSRC2:TGID_Y_EN: 0
; COMPUTE_PGM_RSRC2:TGID_Z_EN: 0
; COMPUTE_PGM_RSRC2:TIDIG_COMP_CNT: 0
; COMPUTE_PGM_RSRC3_GFX90A:ACCUM_OFFSET: 0
; COMPUTE_PGM_RSRC3_GFX90A:TG_SPLIT: 0
	.section	.text._ZN2at6native27unrolled_elementwise_kernelINS0_11FillFunctorIN3c1014Float8_e8m0fnuEEESt5arrayIPcLm1EELi4E23TrivialOffsetCalculatorILi0EjES9_ILi1EjENS0_6memory15LoadWithoutCastENSC_16StoreWithoutCastEEEviT_T0_T2_T3_T4_T5_,"axG",@progbits,_ZN2at6native27unrolled_elementwise_kernelINS0_11FillFunctorIN3c1014Float8_e8m0fnuEEESt5arrayIPcLm1EELi4E23TrivialOffsetCalculatorILi0EjES9_ILi1EjENS0_6memory15LoadWithoutCastENSC_16StoreWithoutCastEEEviT_T0_T2_T3_T4_T5_,comdat
	.protected	_ZN2at6native27unrolled_elementwise_kernelINS0_11FillFunctorIN3c1014Float8_e8m0fnuEEESt5arrayIPcLm1EELi4E23TrivialOffsetCalculatorILi0EjES9_ILi1EjENS0_6memory15LoadWithoutCastENSC_16StoreWithoutCastEEEviT_T0_T2_T3_T4_T5_ ; -- Begin function _ZN2at6native27unrolled_elementwise_kernelINS0_11FillFunctorIN3c1014Float8_e8m0fnuEEESt5arrayIPcLm1EELi4E23TrivialOffsetCalculatorILi0EjES9_ILi1EjENS0_6memory15LoadWithoutCastENSC_16StoreWithoutCastEEEviT_T0_T2_T3_T4_T5_
	.globl	_ZN2at6native27unrolled_elementwise_kernelINS0_11FillFunctorIN3c1014Float8_e8m0fnuEEESt5arrayIPcLm1EELi4E23TrivialOffsetCalculatorILi0EjES9_ILi1EjENS0_6memory15LoadWithoutCastENSC_16StoreWithoutCastEEEviT_T0_T2_T3_T4_T5_
	.p2align	8
	.type	_ZN2at6native27unrolled_elementwise_kernelINS0_11FillFunctorIN3c1014Float8_e8m0fnuEEESt5arrayIPcLm1EELi4E23TrivialOffsetCalculatorILi0EjES9_ILi1EjENS0_6memory15LoadWithoutCastENSC_16StoreWithoutCastEEEviT_T0_T2_T3_T4_T5_,@function
_ZN2at6native27unrolled_elementwise_kernelINS0_11FillFunctorIN3c1014Float8_e8m0fnuEEESt5arrayIPcLm1EELi4E23TrivialOffsetCalculatorILi0EjES9_ILi1EjENS0_6memory15LoadWithoutCastENSC_16StoreWithoutCastEEEviT_T0_T2_T3_T4_T5_: ; @_ZN2at6native27unrolled_elementwise_kernelINS0_11FillFunctorIN3c1014Float8_e8m0fnuEEESt5arrayIPcLm1EELi4E23TrivialOffsetCalculatorILi0EjES9_ILi1EjENS0_6memory15LoadWithoutCastENSC_16StoreWithoutCastEEEviT_T0_T2_T3_T4_T5_
; %bb.0:
	s_load_dwordx4 s[0:3], s[4:5], 0x0
	s_lshl_b32 s6, s6, 10
	s_waitcnt lgkmcnt(0)
	s_sub_i32 s0, s0, s6
	v_cmp_gt_i32_e32 vcc, s0, v0
	s_and_saveexec_b64 s[4:5], vcc
	s_cbranch_execnz .LBB148_5
; %bb.1:
	s_or_b64 exec, exec, s[4:5]
	v_cmp_gt_i32_e32 vcc, s0, v0
	s_and_saveexec_b64 s[4:5], vcc
	s_cbranch_execnz .LBB148_6
.LBB148_2:
	s_or_b64 exec, exec, s[4:5]
	v_cmp_gt_i32_e32 vcc, s0, v0
	s_and_saveexec_b64 s[4:5], vcc
	s_cbranch_execnz .LBB148_7
.LBB148_3:
	s_or_b64 exec, exec, s[4:5]
	v_cmp_gt_i32_e32 vcc, s0, v0
	s_and_saveexec_b64 s[4:5], vcc
	s_cbranch_execnz .LBB148_8
.LBB148_4:
	s_endpgm
.LBB148_5:
	v_or_b32_e32 v1, s6, v0
	v_or_b32_e32 v0, 0x100, v0
	v_mov_b32_e32 v2, s1
	global_store_byte v1, v2, s[2:3]
	s_or_b64 exec, exec, s[4:5]
	v_cmp_gt_i32_e32 vcc, s0, v0
	s_and_saveexec_b64 s[4:5], vcc
	s_cbranch_execz .LBB148_2
.LBB148_6:
	v_add_u32_e32 v1, 0x100, v0
	v_add_u32_e32 v0, s6, v0
	v_mov_b32_e32 v2, s1
	global_store_byte v0, v2, s[2:3]
	v_mov_b32_e32 v0, v1
	s_or_b64 exec, exec, s[4:5]
	v_cmp_gt_i32_e32 vcc, s0, v0
	s_and_saveexec_b64 s[4:5], vcc
	s_cbranch_execz .LBB148_3
.LBB148_7:
	v_add_u32_e32 v1, 0x100, v0
	v_add_u32_e32 v0, s6, v0
	v_mov_b32_e32 v2, s1
	global_store_byte v0, v2, s[2:3]
	v_mov_b32_e32 v0, v1
	s_or_b64 exec, exec, s[4:5]
	v_cmp_gt_i32_e32 vcc, s0, v0
	s_and_saveexec_b64 s[4:5], vcc
	s_cbranch_execz .LBB148_4
.LBB148_8:
	v_add_u32_e32 v0, s6, v0
	v_mov_b32_e32 v1, s1
	global_store_byte v0, v1, s[2:3]
	s_endpgm
	.section	.rodata,"a",@progbits
	.p2align	6, 0x0
	.amdhsa_kernel _ZN2at6native27unrolled_elementwise_kernelINS0_11FillFunctorIN3c1014Float8_e8m0fnuEEESt5arrayIPcLm1EELi4E23TrivialOffsetCalculatorILi0EjES9_ILi1EjENS0_6memory15LoadWithoutCastENSC_16StoreWithoutCastEEEviT_T0_T2_T3_T4_T5_
		.amdhsa_group_segment_fixed_size 0
		.amdhsa_private_segment_fixed_size 0
		.amdhsa_kernarg_size 20
		.amdhsa_user_sgpr_count 6
		.amdhsa_user_sgpr_private_segment_buffer 1
		.amdhsa_user_sgpr_dispatch_ptr 0
		.amdhsa_user_sgpr_queue_ptr 0
		.amdhsa_user_sgpr_kernarg_segment_ptr 1
		.amdhsa_user_sgpr_dispatch_id 0
		.amdhsa_user_sgpr_flat_scratch_init 0
		.amdhsa_user_sgpr_kernarg_preload_length 0
		.amdhsa_user_sgpr_kernarg_preload_offset 0
		.amdhsa_user_sgpr_private_segment_size 0
		.amdhsa_uses_dynamic_stack 0
		.amdhsa_system_sgpr_private_segment_wavefront_offset 0
		.amdhsa_system_sgpr_workgroup_id_x 1
		.amdhsa_system_sgpr_workgroup_id_y 0
		.amdhsa_system_sgpr_workgroup_id_z 0
		.amdhsa_system_sgpr_workgroup_info 0
		.amdhsa_system_vgpr_workitem_id 0
		.amdhsa_next_free_vgpr 3
		.amdhsa_next_free_sgpr 7
		.amdhsa_accum_offset 4
		.amdhsa_reserve_vcc 1
		.amdhsa_reserve_flat_scratch 0
		.amdhsa_float_round_mode_32 0
		.amdhsa_float_round_mode_16_64 0
		.amdhsa_float_denorm_mode_32 3
		.amdhsa_float_denorm_mode_16_64 3
		.amdhsa_dx10_clamp 1
		.amdhsa_ieee_mode 1
		.amdhsa_fp16_overflow 0
		.amdhsa_tg_split 0
		.amdhsa_exception_fp_ieee_invalid_op 0
		.amdhsa_exception_fp_denorm_src 0
		.amdhsa_exception_fp_ieee_div_zero 0
		.amdhsa_exception_fp_ieee_overflow 0
		.amdhsa_exception_fp_ieee_underflow 0
		.amdhsa_exception_fp_ieee_inexact 0
		.amdhsa_exception_int_div_zero 0
	.end_amdhsa_kernel
	.section	.text._ZN2at6native27unrolled_elementwise_kernelINS0_11FillFunctorIN3c1014Float8_e8m0fnuEEESt5arrayIPcLm1EELi4E23TrivialOffsetCalculatorILi0EjES9_ILi1EjENS0_6memory15LoadWithoutCastENSC_16StoreWithoutCastEEEviT_T0_T2_T3_T4_T5_,"axG",@progbits,_ZN2at6native27unrolled_elementwise_kernelINS0_11FillFunctorIN3c1014Float8_e8m0fnuEEESt5arrayIPcLm1EELi4E23TrivialOffsetCalculatorILi0EjES9_ILi1EjENS0_6memory15LoadWithoutCastENSC_16StoreWithoutCastEEEviT_T0_T2_T3_T4_T5_,comdat
.Lfunc_end148:
	.size	_ZN2at6native27unrolled_elementwise_kernelINS0_11FillFunctorIN3c1014Float8_e8m0fnuEEESt5arrayIPcLm1EELi4E23TrivialOffsetCalculatorILi0EjES9_ILi1EjENS0_6memory15LoadWithoutCastENSC_16StoreWithoutCastEEEviT_T0_T2_T3_T4_T5_, .Lfunc_end148-_ZN2at6native27unrolled_elementwise_kernelINS0_11FillFunctorIN3c1014Float8_e8m0fnuEEESt5arrayIPcLm1EELi4E23TrivialOffsetCalculatorILi0EjES9_ILi1EjENS0_6memory15LoadWithoutCastENSC_16StoreWithoutCastEEEviT_T0_T2_T3_T4_T5_
                                        ; -- End function
	.section	.AMDGPU.csdata,"",@progbits
; Kernel info:
; codeLenInByte = 232
; NumSgprs: 11
; NumVgprs: 3
; NumAgprs: 0
; TotalNumVgprs: 3
; ScratchSize: 0
; MemoryBound: 0
; FloatMode: 240
; IeeeMode: 1
; LDSByteSize: 0 bytes/workgroup (compile time only)
; SGPRBlocks: 1
; VGPRBlocks: 0
; NumSGPRsForWavesPerEU: 11
; NumVGPRsForWavesPerEU: 3
; AccumOffset: 4
; Occupancy: 8
; WaveLimiterHint : 0
; COMPUTE_PGM_RSRC2:SCRATCH_EN: 0
; COMPUTE_PGM_RSRC2:USER_SGPR: 6
; COMPUTE_PGM_RSRC2:TRAP_HANDLER: 0
; COMPUTE_PGM_RSRC2:TGID_X_EN: 1
; COMPUTE_PGM_RSRC2:TGID_Y_EN: 0
; COMPUTE_PGM_RSRC2:TGID_Z_EN: 0
; COMPUTE_PGM_RSRC2:TIDIG_COMP_CNT: 0
; COMPUTE_PGM_RSRC3_GFX90A:ACCUM_OFFSET: 0
; COMPUTE_PGM_RSRC3_GFX90A:TG_SPLIT: 0
	.section	.text._ZN2at6native32elementwise_kernel_manual_unrollILi128ELi8EZNS0_22gpu_kernel_impl_nocastINS0_11FillFunctorIN3c1014Float8_e8m0fnuEEEEEvRNS_18TensorIteratorBaseERKT_EUlibE_EEviT1_,"axG",@progbits,_ZN2at6native32elementwise_kernel_manual_unrollILi128ELi8EZNS0_22gpu_kernel_impl_nocastINS0_11FillFunctorIN3c1014Float8_e8m0fnuEEEEEvRNS_18TensorIteratorBaseERKT_EUlibE_EEviT1_,comdat
	.protected	_ZN2at6native32elementwise_kernel_manual_unrollILi128ELi8EZNS0_22gpu_kernel_impl_nocastINS0_11FillFunctorIN3c1014Float8_e8m0fnuEEEEEvRNS_18TensorIteratorBaseERKT_EUlibE_EEviT1_ ; -- Begin function _ZN2at6native32elementwise_kernel_manual_unrollILi128ELi8EZNS0_22gpu_kernel_impl_nocastINS0_11FillFunctorIN3c1014Float8_e8m0fnuEEEEEvRNS_18TensorIteratorBaseERKT_EUlibE_EEviT1_
	.globl	_ZN2at6native32elementwise_kernel_manual_unrollILi128ELi8EZNS0_22gpu_kernel_impl_nocastINS0_11FillFunctorIN3c1014Float8_e8m0fnuEEEEEvRNS_18TensorIteratorBaseERKT_EUlibE_EEviT1_
	.p2align	8
	.type	_ZN2at6native32elementwise_kernel_manual_unrollILi128ELi8EZNS0_22gpu_kernel_impl_nocastINS0_11FillFunctorIN3c1014Float8_e8m0fnuEEEEEvRNS_18TensorIteratorBaseERKT_EUlibE_EEviT1_,@function
_ZN2at6native32elementwise_kernel_manual_unrollILi128ELi8EZNS0_22gpu_kernel_impl_nocastINS0_11FillFunctorIN3c1014Float8_e8m0fnuEEEEEvRNS_18TensorIteratorBaseERKT_EUlibE_EEviT1_: ; @_ZN2at6native32elementwise_kernel_manual_unrollILi128ELi8EZNS0_22gpu_kernel_impl_nocastINS0_11FillFunctorIN3c1014Float8_e8m0fnuEEEEEvRNS_18TensorIteratorBaseERKT_EUlibE_EEviT1_
; %bb.0:
	s_load_dword s48, s[4:5], 0x0
	s_load_dword s33, s[4:5], 0x8
	s_or_b32 s4, s4, 8
	v_lshl_or_b32 v12, s6, 10, v0
	v_or_b32_e32 v16, 0x380, v12
	s_waitcnt lgkmcnt(0)
	v_cmp_le_i32_e32 vcc, s48, v16
	s_add_i32 s46, s33, -1
	s_cmp_gt_u32 s46, 1
	s_cselect_b64 s[6:7], -1, 0
	s_and_saveexec_b64 s[0:1], vcc
	s_xor_b64 s[24:25], exec, s[0:1]
	s_cbranch_execz .LBB149_7
; %bb.1:
	s_load_dwordx4 s[0:3], s[4:5], 0x4
	s_load_dwordx2 s[30:31], s[4:5], 0x14
	s_load_dwordx2 s[28:29], s[4:5], 0xc4
	;; [unrolled: 1-line block ×3, first 2 shown]
	s_load_dword s47, s[4:5], 0x110
	s_cmp_lg_u32 s33, 0
	s_cselect_b64 s[38:39], -1, 0
	s_add_u32 s36, s4, 0xc4
	s_addc_u32 s37, s5, 0
	s_min_u32 s49, s46, 15
	s_cmp_gt_u32 s33, 1
	s_cselect_b64 s[34:35], -1, 0
	v_cmp_gt_i32_e32 vcc, s48, v12
	s_and_saveexec_b64 s[40:41], vcc
	s_cbranch_execz .LBB149_14
; %bb.2:
	s_andn2_b64 vcc, exec, s[6:7]
	s_cbranch_vccnz .LBB149_21
; %bb.3:
	s_andn2_b64 vcc, exec, s[38:39]
	s_cbranch_vccnz .LBB149_121
; %bb.4:
	s_add_i32 s51, s49, 1
	s_mov_b32 s50, 0
	s_cmp_eq_u32 s46, 2
	v_mov_b32_e32 v0, 0
	s_cbranch_scc1 .LBB149_123
; %bb.5:
	s_and_b32 s50, s51, 28
	s_mov_b32 s52, 0
	v_mov_b32_e32 v0, 0
	s_mov_b64 s[42:43], s[4:5]
	s_mov_b64 s[44:45], s[36:37]
	v_mov_b32_e32 v2, v12
.LBB149_6:                              ; =>This Inner Loop Header: Depth=1
	s_load_dwordx8 s[8:15], s[42:43], 0x4
	s_load_dwordx4 s[16:19], s[42:43], 0x24
	s_load_dwordx4 s[20:23], s[44:45], 0x0
	s_add_u32 s42, s42, 48
	s_addc_u32 s43, s43, 0
	s_waitcnt lgkmcnt(0)
	v_mul_hi_u32 v1, s9, v2
	v_add_u32_e32 v1, v2, v1
	v_lshrrev_b32_e32 v1, s10, v1
	v_mul_lo_u32 v3, v1, s8
	v_mul_hi_u32 v4, s12, v1
	v_sub_u32_e32 v2, v2, v3
	v_add_u32_e32 v3, v1, v4
	v_lshrrev_b32_e32 v3, s13, v3
	v_mul_lo_u32 v4, v3, s11
	v_mul_hi_u32 v5, s15, v3
	v_sub_u32_e32 v1, v1, v4
	v_add_u32_e32 v4, v3, v5
	v_mul_lo_u32 v2, v2, s20
	v_mul_lo_u32 v1, v1, s21
	v_lshrrev_b32_e32 v4, s16, v4
	v_add3_u32 v0, v2, v0, v1
	v_mul_hi_u32 v2, s18, v4
	v_add_u32_e32 v2, v4, v2
	v_mul_lo_u32 v1, v4, s14
	v_lshrrev_b32_e32 v2, s19, v2
	s_add_i32 s52, s52, 4
	v_sub_u32_e32 v1, v3, v1
	v_mul_lo_u32 v3, v2, s17
	s_add_u32 s44, s44, 16
	v_sub_u32_e32 v3, v4, v3
	s_addc_u32 s45, s45, 0
	v_mul_lo_u32 v1, v1, s22
	v_mul_lo_u32 v3, v3, s23
	s_cmp_lg_u32 s50, s52
	v_add3_u32 v0, v1, v0, v3
	s_cbranch_scc1 .LBB149_6
	s_branch .LBB149_124
.LBB149_7:
	s_andn2_saveexec_b64 s[0:1], s[24:25]
	s_cbranch_execz .LBB149_213
.LBB149_8:
	v_cndmask_b32_e64 v0, 0, 1, s[6:7]
	v_cmp_ne_u32_e64 s[0:1], 1, v0
	s_andn2_b64 vcc, exec, s[6:7]
	s_cbranch_vccnz .LBB149_20
; %bb.9:
	s_mov_b32 s24, 0
	s_cmp_eq_u32 s33, 0
	v_mov_b32_e32 v0, 0
	s_cbranch_scc1 .LBB149_26
; %bb.10:
	s_min_u32 s25, s46, 15
	s_add_i32 s25, s25, 1
	s_cmp_eq_u32 s46, 2
	v_mov_b32_e32 v0, 0
	s_cbranch_scc1 .LBB149_23
; %bb.11:
	s_add_u32 s2, s4, 0xc4
	s_addc_u32 s3, s5, 0
	s_and_b32 s24, s25, 28
	s_mov_b32 s26, 0
	v_mov_b32_e32 v0, 0
	s_mov_b64 s[6:7], s[4:5]
	v_mov_b32_e32 v2, v12
.LBB149_12:                             ; =>This Inner Loop Header: Depth=1
	s_load_dwordx8 s[8:15], s[6:7], 0x4
	s_load_dwordx4 s[16:19], s[6:7], 0x24
	s_load_dwordx4 s[20:23], s[2:3], 0x0
	s_add_u32 s6, s6, 48
	s_addc_u32 s7, s7, 0
	s_waitcnt lgkmcnt(0)
	v_mul_hi_u32 v1, s9, v2
	v_add_u32_e32 v1, v2, v1
	v_lshrrev_b32_e32 v1, s10, v1
	v_mul_lo_u32 v3, v1, s8
	v_mul_hi_u32 v4, s12, v1
	v_sub_u32_e32 v2, v2, v3
	v_add_u32_e32 v3, v1, v4
	v_lshrrev_b32_e32 v3, s13, v3
	v_mul_lo_u32 v4, v3, s11
	v_mul_hi_u32 v5, s15, v3
	v_sub_u32_e32 v1, v1, v4
	v_add_u32_e32 v4, v3, v5
	v_mul_lo_u32 v2, v2, s20
	v_mul_lo_u32 v1, v1, s21
	v_lshrrev_b32_e32 v4, s16, v4
	v_add3_u32 v0, v2, v0, v1
	v_mul_hi_u32 v2, s18, v4
	v_add_u32_e32 v2, v4, v2
	v_mul_lo_u32 v1, v4, s14
	v_lshrrev_b32_e32 v2, s19, v2
	s_add_i32 s26, s26, 4
	v_sub_u32_e32 v1, v3, v1
	v_mul_lo_u32 v3, v2, s17
	s_add_u32 s2, s2, 16
	v_sub_u32_e32 v3, v4, v3
	s_addc_u32 s3, s3, 0
	v_mul_lo_u32 v1, v1, s22
	v_mul_lo_u32 v3, v3, s23
	s_cmp_lg_u32 s24, s26
	v_add3_u32 v0, v1, v0, v3
	s_cbranch_scc1 .LBB149_12
; %bb.13:
	s_and_b32 s8, s25, 3
	s_cmp_eq_u32 s8, 0
	s_cbranch_scc0 .LBB149_24
	s_branch .LBB149_26
.LBB149_14:
	s_or_b64 exec, exec, s[40:41]
	v_cmp_gt_i32_e32 vcc, s48, v12
	s_and_saveexec_b64 s[40:41], vcc
	s_cbranch_execz .LBB149_131
.LBB149_15:
	s_andn2_b64 vcc, exec, s[6:7]
	s_cbranch_vccnz .LBB149_22
; %bb.16:
	s_andn2_b64 vcc, exec, s[38:39]
	s_cbranch_vccnz .LBB149_122
; %bb.17:
	s_add_i32 s51, s49, 1
	s_mov_b32 s50, 0
	s_cmp_eq_u32 s46, 2
	v_mov_b32_e32 v0, 0
	s_cbranch_scc1 .LBB149_139
; %bb.18:
	s_and_b32 s50, s51, 28
	s_mov_b32 s52, 0
	v_mov_b32_e32 v0, 0
	s_mov_b64 s[42:43], s[4:5]
	s_mov_b64 s[44:45], s[36:37]
	v_mov_b32_e32 v2, v12
.LBB149_19:                             ; =>This Inner Loop Header: Depth=1
	s_load_dwordx8 s[8:15], s[42:43], 0x4
	s_load_dwordx4 s[16:19], s[42:43], 0x24
	s_load_dwordx4 s[20:23], s[44:45], 0x0
	s_add_u32 s42, s42, 48
	s_addc_u32 s43, s43, 0
	s_waitcnt lgkmcnt(0)
	v_mul_hi_u32 v1, s9, v2
	v_add_u32_e32 v1, v2, v1
	v_lshrrev_b32_e32 v1, s10, v1
	v_mul_lo_u32 v3, v1, s8
	v_mul_hi_u32 v4, s12, v1
	v_sub_u32_e32 v2, v2, v3
	v_add_u32_e32 v3, v1, v4
	v_lshrrev_b32_e32 v3, s13, v3
	v_mul_lo_u32 v4, v3, s11
	v_mul_hi_u32 v5, s15, v3
	v_sub_u32_e32 v1, v1, v4
	v_add_u32_e32 v4, v3, v5
	v_mul_lo_u32 v2, v2, s20
	v_mul_lo_u32 v1, v1, s21
	v_lshrrev_b32_e32 v4, s16, v4
	v_add3_u32 v0, v2, v0, v1
	v_mul_hi_u32 v2, s18, v4
	v_add_u32_e32 v2, v4, v2
	v_mul_lo_u32 v1, v4, s14
	v_lshrrev_b32_e32 v2, s19, v2
	s_add_i32 s52, s52, 4
	v_sub_u32_e32 v1, v3, v1
	v_mul_lo_u32 v3, v2, s17
	s_add_u32 s44, s44, 16
	v_sub_u32_e32 v3, v4, v3
	s_addc_u32 s45, s45, 0
	v_mul_lo_u32 v1, v1, s22
	v_mul_lo_u32 v3, v3, s23
	s_cmp_eq_u32 s50, s52
	v_add3_u32 v0, v1, v0, v3
	s_cbranch_scc0 .LBB149_19
	s_branch .LBB149_140
.LBB149_20:
                                        ; implicit-def: $vgpr0
	s_branch .LBB149_27
.LBB149_21:
                                        ; implicit-def: $vgpr0
	s_branch .LBB149_128
.LBB149_22:
                                        ; implicit-def: $vgpr0
	s_branch .LBB149_144
.LBB149_23:
	v_mov_b32_e32 v2, v12
	s_and_b32 s8, s25, 3
	s_cmp_eq_u32 s8, 0
	s_cbranch_scc1 .LBB149_26
.LBB149_24:
	s_lshl_b32 s2, s24, 2
	s_add_u32 s2, s2, s4
	s_addc_u32 s3, 0, s5
	s_add_u32 s2, s2, 0xc4
	s_addc_u32 s3, s3, 0
	s_mul_i32 s6, s24, 12
	s_add_u32 s6, s4, s6
	s_addc_u32 s7, 0, s5
.LBB149_25:                             ; =>This Inner Loop Header: Depth=1
	s_load_dwordx2 s[10:11], s[6:7], 0x4
	s_load_dword s9, s[6:7], 0xc
	s_load_dword s12, s[2:3], 0x0
	s_add_u32 s6, s6, 12
	s_addc_u32 s7, s7, 0
	s_waitcnt lgkmcnt(0)
	v_mul_hi_u32 v1, s11, v2
	v_add_u32_e32 v1, v2, v1
	v_lshrrev_b32_e32 v1, s9, v1
	s_add_u32 s2, s2, 4
	v_mul_lo_u32 v3, v1, s10
	s_addc_u32 s3, s3, 0
	s_add_i32 s8, s8, -1
	v_sub_u32_e32 v3, v2, v3
	s_cmp_lg_u32 s8, 0
	v_mov_b32_e32 v2, v1
	v_mad_u64_u32 v[0:1], s[10:11], v3, s12, v[0:1]
	s_cbranch_scc1 .LBB149_25
.LBB149_26:
	s_cbranch_execnz .LBB149_29
.LBB149_27:
	s_load_dwordx4 s[8:11], s[4:5], 0x4
	s_load_dword s2, s[4:5], 0xc4
	s_cmp_lt_u32 s33, 2
	s_waitcnt lgkmcnt(0)
	v_mul_hi_u32 v0, s9, v12
	v_add_u32_e32 v0, v12, v0
	v_lshrrev_b32_e32 v1, s10, v0
	v_mul_lo_u32 v0, v1, s8
	v_sub_u32_e32 v0, v12, v0
	v_mul_lo_u32 v0, v0, s2
	s_cbranch_scc1 .LBB149_29
; %bb.28:
	s_load_dwordx4 s[8:11], s[4:5], 0x10
	s_load_dword s2, s[4:5], 0xc8
	s_waitcnt lgkmcnt(0)
	v_mul_hi_u32 v2, s9, v1
	v_add_u32_e32 v2, v1, v2
	v_lshrrev_b32_e32 v2, s10, v2
	v_mul_lo_u32 v2, v2, s8
	v_sub_u32_e32 v1, v1, v2
	v_mad_u64_u32 v[0:1], s[2:3], v1, s2, v[0:1]
.LBB149_29:
	s_and_b64 vcc, exec, s[0:1]
	v_add_u32_e32 v1, 0x80, v12
	s_cbranch_vccnz .LBB149_35
; %bb.30:
	s_mov_b32 s24, 0
	s_cmp_eq_u32 s33, 0
	v_mov_b32_e32 v2, 0
	s_cbranch_scc1 .LBB149_39
; %bb.31:
	s_min_u32 s25, s46, 15
	s_add_i32 s25, s25, 1
	s_cmp_eq_u32 s46, 2
	v_mov_b32_e32 v2, 0
	s_cbranch_scc1 .LBB149_36
; %bb.32:
	s_add_u32 s2, s4, 0xc4
	s_addc_u32 s3, s5, 0
	s_and_b32 s24, s25, 28
	s_mov_b32 s26, 0
	v_mov_b32_e32 v2, 0
	s_mov_b64 s[6:7], s[4:5]
	v_mov_b32_e32 v4, v1
.LBB149_33:                             ; =>This Inner Loop Header: Depth=1
	s_load_dwordx8 s[8:15], s[6:7], 0x4
	s_load_dwordx4 s[16:19], s[6:7], 0x24
	s_load_dwordx4 s[20:23], s[2:3], 0x0
	s_add_u32 s6, s6, 48
	s_addc_u32 s7, s7, 0
	s_waitcnt lgkmcnt(0)
	v_mul_hi_u32 v3, s9, v4
	v_add_u32_e32 v3, v4, v3
	v_lshrrev_b32_e32 v3, s10, v3
	v_mul_lo_u32 v5, v3, s8
	v_mul_hi_u32 v6, s12, v3
	v_sub_u32_e32 v4, v4, v5
	v_add_u32_e32 v5, v3, v6
	v_lshrrev_b32_e32 v5, s13, v5
	v_mul_lo_u32 v6, v5, s11
	v_mul_hi_u32 v7, s15, v5
	v_sub_u32_e32 v3, v3, v6
	v_add_u32_e32 v6, v5, v7
	v_mul_lo_u32 v4, v4, s20
	v_mul_lo_u32 v3, v3, s21
	v_lshrrev_b32_e32 v6, s16, v6
	v_add3_u32 v2, v4, v2, v3
	v_mul_hi_u32 v4, s18, v6
	v_add_u32_e32 v4, v6, v4
	v_mul_lo_u32 v3, v6, s14
	v_lshrrev_b32_e32 v4, s19, v4
	s_add_i32 s26, s26, 4
	v_sub_u32_e32 v3, v5, v3
	v_mul_lo_u32 v5, v4, s17
	s_add_u32 s2, s2, 16
	v_sub_u32_e32 v5, v6, v5
	s_addc_u32 s3, s3, 0
	v_mul_lo_u32 v3, v3, s22
	v_mul_lo_u32 v5, v5, s23
	s_cmp_lg_u32 s24, s26
	v_add3_u32 v2, v3, v2, v5
	s_cbranch_scc1 .LBB149_33
; %bb.34:
	s_and_b32 s8, s25, 3
	s_cmp_eq_u32 s8, 0
	s_cbranch_scc0 .LBB149_37
	s_branch .LBB149_39
.LBB149_35:
                                        ; implicit-def: $vgpr2
	s_branch .LBB149_40
.LBB149_36:
	v_mov_b32_e32 v4, v1
	s_and_b32 s8, s25, 3
	s_cmp_eq_u32 s8, 0
	s_cbranch_scc1 .LBB149_39
.LBB149_37:
	s_lshl_b32 s2, s24, 2
	s_add_u32 s2, s2, s4
	s_addc_u32 s3, 0, s5
	s_add_u32 s2, s2, 0xc4
	s_addc_u32 s3, s3, 0
	s_mul_i32 s6, s24, 12
	s_add_u32 s6, s4, s6
	s_addc_u32 s7, 0, s5
.LBB149_38:                             ; =>This Inner Loop Header: Depth=1
	s_load_dwordx2 s[10:11], s[6:7], 0x4
	s_load_dword s9, s[6:7], 0xc
	s_load_dword s12, s[2:3], 0x0
	s_add_u32 s6, s6, 12
	s_addc_u32 s7, s7, 0
	s_waitcnt lgkmcnt(0)
	v_mul_hi_u32 v3, s11, v4
	v_add_u32_e32 v3, v4, v3
	v_lshrrev_b32_e32 v3, s9, v3
	s_add_u32 s2, s2, 4
	v_mul_lo_u32 v5, v3, s10
	s_addc_u32 s3, s3, 0
	s_add_i32 s8, s8, -1
	v_sub_u32_e32 v5, v4, v5
	s_cmp_lg_u32 s8, 0
	v_mov_b32_e32 v4, v3
	v_mad_u64_u32 v[2:3], s[10:11], v5, s12, v[2:3]
	s_cbranch_scc1 .LBB149_38
.LBB149_39:
	s_cbranch_execnz .LBB149_42
.LBB149_40:
	s_load_dwordx4 s[8:11], s[4:5], 0x4
	s_load_dword s2, s[4:5], 0xc4
	s_cmp_lt_u32 s33, 2
	s_waitcnt lgkmcnt(0)
	v_mul_hi_u32 v2, s9, v1
	v_add_u32_e32 v2, v1, v2
	v_lshrrev_b32_e32 v3, s10, v2
	v_mul_lo_u32 v2, v3, s8
	v_sub_u32_e32 v1, v1, v2
	v_mul_lo_u32 v2, v1, s2
	s_cbranch_scc1 .LBB149_42
; %bb.41:
	s_load_dwordx4 s[8:11], s[4:5], 0x10
	s_load_dword s2, s[4:5], 0xc8
	s_waitcnt lgkmcnt(0)
	v_mul_hi_u32 v1, s9, v3
	v_add_u32_e32 v1, v3, v1
	v_lshrrev_b32_e32 v1, s10, v1
	v_mul_lo_u32 v1, v1, s8
	v_sub_u32_e32 v1, v3, v1
	v_mad_u64_u32 v[2:3], s[2:3], v1, s2, v[2:3]
.LBB149_42:
	s_and_b64 vcc, exec, s[0:1]
	v_add_u32_e32 v1, 0x100, v12
	s_cbranch_vccnz .LBB149_48
; %bb.43:
	s_mov_b32 s24, 0
	s_cmp_eq_u32 s33, 0
	v_mov_b32_e32 v4, 0
	s_cbranch_scc1 .LBB149_52
; %bb.44:
	s_min_u32 s25, s46, 15
	s_add_i32 s25, s25, 1
	s_cmp_eq_u32 s46, 2
	v_mov_b32_e32 v4, 0
	s_cbranch_scc1 .LBB149_49
; %bb.45:
	s_add_u32 s2, s4, 0xc4
	s_addc_u32 s3, s5, 0
	s_and_b32 s24, s25, 28
	s_mov_b32 s26, 0
	v_mov_b32_e32 v4, 0
	s_mov_b64 s[6:7], s[4:5]
	v_mov_b32_e32 v3, v1
.LBB149_46:                             ; =>This Inner Loop Header: Depth=1
	s_load_dwordx8 s[8:15], s[6:7], 0x4
	s_load_dwordx4 s[16:19], s[6:7], 0x24
	s_load_dwordx4 s[20:23], s[2:3], 0x0
	s_add_u32 s6, s6, 48
	s_addc_u32 s7, s7, 0
	s_waitcnt lgkmcnt(0)
	v_mul_hi_u32 v5, s9, v3
	v_add_u32_e32 v5, v3, v5
	v_lshrrev_b32_e32 v5, s10, v5
	v_mul_lo_u32 v6, v5, s8
	v_mul_hi_u32 v7, s12, v5
	v_sub_u32_e32 v3, v3, v6
	v_add_u32_e32 v6, v5, v7
	v_lshrrev_b32_e32 v6, s13, v6
	v_mul_lo_u32 v7, v6, s11
	v_mul_hi_u32 v8, s15, v6
	v_sub_u32_e32 v5, v5, v7
	v_add_u32_e32 v7, v6, v8
	v_mul_lo_u32 v3, v3, s20
	v_mul_lo_u32 v5, v5, s21
	v_lshrrev_b32_e32 v7, s16, v7
	v_add3_u32 v4, v3, v4, v5
	v_mul_lo_u32 v3, v7, s14
	v_mul_hi_u32 v5, s18, v7
	v_sub_u32_e32 v3, v6, v3
	v_add_u32_e32 v5, v7, v5
	v_mul_lo_u32 v6, v3, s22
	v_lshrrev_b32_e32 v3, s19, v5
	s_add_i32 s26, s26, 4
	v_mul_lo_u32 v5, v3, s17
	s_add_u32 s2, s2, 16
	v_sub_u32_e32 v5, v7, v5
	s_addc_u32 s3, s3, 0
	v_mul_lo_u32 v5, v5, s23
	s_cmp_lg_u32 s24, s26
	v_add3_u32 v4, v6, v4, v5
	s_cbranch_scc1 .LBB149_46
; %bb.47:
	s_and_b32 s8, s25, 3
	s_cmp_eq_u32 s8, 0
	s_cbranch_scc0 .LBB149_50
	s_branch .LBB149_52
.LBB149_48:
                                        ; implicit-def: $vgpr4
	s_branch .LBB149_53
.LBB149_49:
	v_mov_b32_e32 v3, v1
	s_and_b32 s8, s25, 3
	s_cmp_eq_u32 s8, 0
	s_cbranch_scc1 .LBB149_52
.LBB149_50:
	s_lshl_b32 s2, s24, 2
	s_add_u32 s2, s2, s4
	s_addc_u32 s3, 0, s5
	s_add_u32 s2, s2, 0xc4
	s_addc_u32 s3, s3, 0
	s_mul_i32 s6, s24, 12
	s_add_u32 s6, s4, s6
	s_addc_u32 s7, 0, s5
.LBB149_51:                             ; =>This Inner Loop Header: Depth=1
	s_load_dwordx2 s[10:11], s[6:7], 0x4
	s_load_dword s9, s[6:7], 0xc
	s_load_dword s12, s[2:3], 0x0
	s_add_u32 s6, s6, 12
	s_addc_u32 s7, s7, 0
	s_waitcnt lgkmcnt(0)
	v_mul_hi_u32 v5, s11, v3
	v_add_u32_e32 v5, v3, v5
	v_lshrrev_b32_e32 v5, s9, v5
	s_add_u32 s2, s2, 4
	v_mul_lo_u32 v6, v5, s10
	s_addc_u32 s3, s3, 0
	s_add_i32 s8, s8, -1
	v_sub_u32_e32 v6, v3, v6
	s_cmp_lg_u32 s8, 0
	v_mov_b32_e32 v3, v5
	v_mad_u64_u32 v[4:5], s[10:11], v6, s12, v[4:5]
	s_cbranch_scc1 .LBB149_51
.LBB149_52:
	s_cbranch_execnz .LBB149_55
.LBB149_53:
	s_load_dwordx4 s[8:11], s[4:5], 0x4
	s_load_dword s2, s[4:5], 0xc4
	s_cmp_lt_u32 s33, 2
	s_waitcnt lgkmcnt(0)
	v_mul_hi_u32 v3, s9, v1
	v_add_u32_e32 v3, v1, v3
	v_lshrrev_b32_e32 v3, s10, v3
	v_mul_lo_u32 v4, v3, s8
	v_sub_u32_e32 v1, v1, v4
	v_mul_lo_u32 v4, v1, s2
	s_cbranch_scc1 .LBB149_55
; %bb.54:
	s_load_dwordx4 s[8:11], s[4:5], 0x10
	s_load_dword s2, s[4:5], 0xc8
	s_waitcnt lgkmcnt(0)
	v_mul_hi_u32 v1, s9, v3
	v_add_u32_e32 v1, v3, v1
	v_lshrrev_b32_e32 v1, s10, v1
	v_mul_lo_u32 v1, v1, s8
	v_sub_u32_e32 v1, v3, v1
	v_mad_u64_u32 v[4:5], s[2:3], v1, s2, v[4:5]
.LBB149_55:
	s_and_b64 vcc, exec, s[0:1]
	v_add_u32_e32 v1, 0x180, v12
	s_cbranch_vccnz .LBB149_61
; %bb.56:
	s_mov_b32 s24, 0
	s_cmp_eq_u32 s33, 0
	v_mov_b32_e32 v6, 0
	s_cbranch_scc1 .LBB149_65
; %bb.57:
	s_min_u32 s25, s46, 15
	s_add_i32 s25, s25, 1
	s_cmp_eq_u32 s46, 2
	v_mov_b32_e32 v6, 0
	s_cbranch_scc1 .LBB149_62
; %bb.58:
	s_add_u32 s2, s4, 0xc4
	s_addc_u32 s3, s5, 0
	s_and_b32 s24, s25, 28
	s_mov_b32 s26, 0
	v_mov_b32_e32 v6, 0
	s_mov_b64 s[6:7], s[4:5]
	v_mov_b32_e32 v3, v1
.LBB149_59:                             ; =>This Inner Loop Header: Depth=1
	s_load_dwordx8 s[8:15], s[6:7], 0x4
	s_load_dwordx4 s[16:19], s[6:7], 0x24
	s_load_dwordx4 s[20:23], s[2:3], 0x0
	s_add_u32 s6, s6, 48
	s_addc_u32 s7, s7, 0
	s_waitcnt lgkmcnt(0)
	v_mul_hi_u32 v5, s9, v3
	v_add_u32_e32 v5, v3, v5
	v_lshrrev_b32_e32 v5, s10, v5
	v_mul_lo_u32 v7, v5, s8
	v_mul_hi_u32 v8, s12, v5
	v_sub_u32_e32 v3, v3, v7
	v_add_u32_e32 v7, v5, v8
	v_lshrrev_b32_e32 v7, s13, v7
	v_mul_lo_u32 v8, v7, s11
	v_mul_hi_u32 v9, s15, v7
	v_sub_u32_e32 v5, v5, v8
	v_add_u32_e32 v8, v7, v9
	v_mul_lo_u32 v3, v3, s20
	v_mul_lo_u32 v5, v5, s21
	v_lshrrev_b32_e32 v8, s16, v8
	v_add3_u32 v5, v3, v6, v5
	v_mul_lo_u32 v3, v8, s14
	v_mul_hi_u32 v6, s18, v8
	v_sub_u32_e32 v3, v7, v3
	v_add_u32_e32 v6, v8, v6
	v_mul_lo_u32 v7, v3, s22
	v_lshrrev_b32_e32 v3, s19, v6
	s_add_i32 s26, s26, 4
	v_mul_lo_u32 v6, v3, s17
	s_add_u32 s2, s2, 16
	v_sub_u32_e32 v6, v8, v6
	s_addc_u32 s3, s3, 0
	v_mul_lo_u32 v6, v6, s23
	s_cmp_lg_u32 s24, s26
	v_add3_u32 v6, v7, v5, v6
	s_cbranch_scc1 .LBB149_59
; %bb.60:
	s_and_b32 s8, s25, 3
	s_cmp_eq_u32 s8, 0
	s_cbranch_scc0 .LBB149_63
	s_branch .LBB149_65
.LBB149_61:
                                        ; implicit-def: $vgpr6
	s_branch .LBB149_66
.LBB149_62:
	v_mov_b32_e32 v3, v1
	s_and_b32 s8, s25, 3
	s_cmp_eq_u32 s8, 0
	s_cbranch_scc1 .LBB149_65
.LBB149_63:
	s_lshl_b32 s2, s24, 2
	s_add_u32 s2, s2, s4
	s_addc_u32 s3, 0, s5
	s_add_u32 s2, s2, 0xc4
	s_addc_u32 s3, s3, 0
	s_mul_i32 s6, s24, 12
	s_add_u32 s6, s4, s6
	s_addc_u32 s7, 0, s5
.LBB149_64:                             ; =>This Inner Loop Header: Depth=1
	s_load_dwordx2 s[10:11], s[6:7], 0x4
	s_load_dword s9, s[6:7], 0xc
	s_load_dword s12, s[2:3], 0x0
	s_add_u32 s6, s6, 12
	s_addc_u32 s7, s7, 0
	s_waitcnt lgkmcnt(0)
	v_mul_hi_u32 v5, s11, v3
	v_add_u32_e32 v5, v3, v5
	v_lshrrev_b32_e32 v5, s9, v5
	s_add_u32 s2, s2, 4
	v_mul_lo_u32 v7, v5, s10
	s_addc_u32 s3, s3, 0
	s_add_i32 s8, s8, -1
	v_sub_u32_e32 v7, v3, v7
	s_cmp_lg_u32 s8, 0
	v_mov_b32_e32 v3, v5
	v_mad_u64_u32 v[6:7], s[10:11], v7, s12, v[6:7]
	s_cbranch_scc1 .LBB149_64
.LBB149_65:
	s_cbranch_execnz .LBB149_68
.LBB149_66:
	s_load_dwordx4 s[8:11], s[4:5], 0x4
	s_load_dword s2, s[4:5], 0xc4
	s_cmp_lt_u32 s33, 2
	s_waitcnt lgkmcnt(0)
	v_mul_hi_u32 v3, s9, v1
	v_add_u32_e32 v3, v1, v3
	v_lshrrev_b32_e32 v3, s10, v3
	v_mul_lo_u32 v5, v3, s8
	v_sub_u32_e32 v1, v1, v5
	v_mul_lo_u32 v6, v1, s2
	s_cbranch_scc1 .LBB149_68
; %bb.67:
	s_load_dwordx4 s[8:11], s[4:5], 0x10
	s_load_dword s2, s[4:5], 0xc8
	s_waitcnt lgkmcnt(0)
	v_mul_hi_u32 v1, s9, v3
	v_add_u32_e32 v1, v3, v1
	v_lshrrev_b32_e32 v1, s10, v1
	v_mul_lo_u32 v1, v1, s8
	v_sub_u32_e32 v1, v3, v1
	v_mad_u64_u32 v[6:7], s[2:3], v1, s2, v[6:7]
.LBB149_68:
	s_and_b64 vcc, exec, s[0:1]
	v_add_u32_e32 v1, 0x200, v12
	s_cbranch_vccnz .LBB149_74
; %bb.69:
	s_mov_b32 s24, 0
	s_cmp_eq_u32 s33, 0
	v_mov_b32_e32 v8, 0
	s_cbranch_scc1 .LBB149_78
; %bb.70:
	s_min_u32 s25, s46, 15
	s_add_i32 s25, s25, 1
	s_cmp_eq_u32 s46, 2
	v_mov_b32_e32 v8, 0
	s_cbranch_scc1 .LBB149_75
; %bb.71:
	s_add_u32 s2, s4, 0xc4
	s_addc_u32 s3, s5, 0
	s_and_b32 s24, s25, 28
	s_mov_b32 s26, 0
	v_mov_b32_e32 v8, 0
	s_mov_b64 s[6:7], s[4:5]
	v_mov_b32_e32 v3, v1
.LBB149_72:                             ; =>This Inner Loop Header: Depth=1
	s_load_dwordx8 s[8:15], s[6:7], 0x4
	s_load_dwordx4 s[16:19], s[6:7], 0x24
	s_load_dwordx4 s[20:23], s[2:3], 0x0
	s_add_u32 s6, s6, 48
	s_addc_u32 s7, s7, 0
	s_waitcnt lgkmcnt(0)
	v_mul_hi_u32 v5, s9, v3
	v_add_u32_e32 v5, v3, v5
	v_lshrrev_b32_e32 v5, s10, v5
	v_mul_lo_u32 v7, v5, s8
	v_mul_hi_u32 v9, s12, v5
	v_sub_u32_e32 v3, v3, v7
	v_add_u32_e32 v7, v5, v9
	v_lshrrev_b32_e32 v7, s13, v7
	v_mul_lo_u32 v9, v7, s11
	v_mul_hi_u32 v10, s15, v7
	v_sub_u32_e32 v5, v5, v9
	v_add_u32_e32 v9, v7, v10
	v_mul_lo_u32 v3, v3, s20
	v_mul_lo_u32 v5, v5, s21
	v_lshrrev_b32_e32 v9, s16, v9
	v_add3_u32 v5, v3, v8, v5
	v_mul_lo_u32 v3, v9, s14
	v_mul_hi_u32 v8, s18, v9
	v_sub_u32_e32 v3, v7, v3
	v_add_u32_e32 v7, v9, v8
	v_mul_lo_u32 v8, v3, s22
	v_lshrrev_b32_e32 v3, s19, v7
	s_add_i32 s26, s26, 4
	v_mul_lo_u32 v7, v3, s17
	s_add_u32 s2, s2, 16
	v_sub_u32_e32 v7, v9, v7
	s_addc_u32 s3, s3, 0
	v_mul_lo_u32 v7, v7, s23
	s_cmp_lg_u32 s24, s26
	v_add3_u32 v8, v8, v5, v7
	s_cbranch_scc1 .LBB149_72
; %bb.73:
	s_and_b32 s8, s25, 3
	s_cmp_eq_u32 s8, 0
	s_cbranch_scc0 .LBB149_76
	s_branch .LBB149_78
.LBB149_74:
                                        ; implicit-def: $vgpr8
	s_branch .LBB149_79
.LBB149_75:
	v_mov_b32_e32 v3, v1
	s_and_b32 s8, s25, 3
	s_cmp_eq_u32 s8, 0
	s_cbranch_scc1 .LBB149_78
.LBB149_76:
	s_lshl_b32 s2, s24, 2
	s_add_u32 s2, s2, s4
	s_addc_u32 s3, 0, s5
	s_add_u32 s2, s2, 0xc4
	s_addc_u32 s3, s3, 0
	s_mul_i32 s6, s24, 12
	s_add_u32 s6, s4, s6
	s_addc_u32 s7, 0, s5
.LBB149_77:                             ; =>This Inner Loop Header: Depth=1
	s_load_dwordx2 s[10:11], s[6:7], 0x4
	s_load_dword s9, s[6:7], 0xc
	s_load_dword s12, s[2:3], 0x0
	s_add_u32 s6, s6, 12
	s_addc_u32 s7, s7, 0
	s_waitcnt lgkmcnt(0)
	v_mul_hi_u32 v5, s11, v3
	v_add_u32_e32 v5, v3, v5
	v_lshrrev_b32_e32 v5, s9, v5
	s_add_u32 s2, s2, 4
	v_mul_lo_u32 v7, v5, s10
	s_addc_u32 s3, s3, 0
	s_add_i32 s8, s8, -1
	v_sub_u32_e32 v7, v3, v7
	s_cmp_lg_u32 s8, 0
	v_mov_b32_e32 v3, v5
	v_mad_u64_u32 v[8:9], s[10:11], v7, s12, v[8:9]
	s_cbranch_scc1 .LBB149_77
.LBB149_78:
	s_cbranch_execnz .LBB149_81
.LBB149_79:
	s_load_dwordx4 s[8:11], s[4:5], 0x4
	s_load_dword s2, s[4:5], 0xc4
	s_cmp_lt_u32 s33, 2
	s_waitcnt lgkmcnt(0)
	v_mul_hi_u32 v3, s9, v1
	v_add_u32_e32 v3, v1, v3
	v_lshrrev_b32_e32 v3, s10, v3
	v_mul_lo_u32 v5, v3, s8
	v_sub_u32_e32 v1, v1, v5
	v_mul_lo_u32 v8, v1, s2
	s_cbranch_scc1 .LBB149_81
; %bb.80:
	s_load_dwordx4 s[8:11], s[4:5], 0x10
	s_load_dword s2, s[4:5], 0xc8
	s_waitcnt lgkmcnt(0)
	v_mul_hi_u32 v1, s9, v3
	v_add_u32_e32 v1, v3, v1
	v_lshrrev_b32_e32 v1, s10, v1
	v_mul_lo_u32 v1, v1, s8
	v_sub_u32_e32 v1, v3, v1
	v_mad_u64_u32 v[8:9], s[2:3], v1, s2, v[8:9]
.LBB149_81:
	s_and_b64 vcc, exec, s[0:1]
	v_add_u32_e32 v1, 0x280, v12
	s_cbranch_vccnz .LBB149_87
; %bb.82:
	s_mov_b32 s24, 0
	s_cmp_eq_u32 s33, 0
	v_mov_b32_e32 v10, 0
	s_cbranch_scc1 .LBB149_91
; %bb.83:
	s_min_u32 s25, s46, 15
	s_add_i32 s25, s25, 1
	s_cmp_eq_u32 s46, 2
	v_mov_b32_e32 v10, 0
	s_cbranch_scc1 .LBB149_88
; %bb.84:
	s_add_u32 s2, s4, 0xc4
	s_addc_u32 s3, s5, 0
	s_and_b32 s24, s25, 28
	s_mov_b32 s26, 0
	v_mov_b32_e32 v10, 0
	s_mov_b64 s[6:7], s[4:5]
	v_mov_b32_e32 v3, v1
.LBB149_85:                             ; =>This Inner Loop Header: Depth=1
	s_load_dwordx8 s[8:15], s[6:7], 0x4
	s_load_dwordx4 s[16:19], s[6:7], 0x24
	s_load_dwordx4 s[20:23], s[2:3], 0x0
	s_add_u32 s6, s6, 48
	s_addc_u32 s7, s7, 0
	s_waitcnt lgkmcnt(0)
	v_mul_hi_u32 v5, s9, v3
	v_add_u32_e32 v5, v3, v5
	v_lshrrev_b32_e32 v5, s10, v5
	v_mul_lo_u32 v7, v5, s8
	v_mul_hi_u32 v9, s12, v5
	v_sub_u32_e32 v3, v3, v7
	v_add_u32_e32 v7, v5, v9
	v_lshrrev_b32_e32 v7, s13, v7
	v_mul_lo_u32 v9, v7, s11
	v_mul_hi_u32 v11, s15, v7
	v_sub_u32_e32 v5, v5, v9
	v_add_u32_e32 v9, v7, v11
	v_mul_lo_u32 v3, v3, s20
	v_mul_lo_u32 v5, v5, s21
	v_lshrrev_b32_e32 v9, s16, v9
	v_add3_u32 v5, v3, v10, v5
	v_mul_lo_u32 v3, v9, s14
	v_mul_hi_u32 v10, s18, v9
	v_sub_u32_e32 v3, v7, v3
	v_add_u32_e32 v7, v9, v10
	v_mul_lo_u32 v10, v3, s22
	v_lshrrev_b32_e32 v3, s19, v7
	s_add_i32 s26, s26, 4
	v_mul_lo_u32 v7, v3, s17
	s_add_u32 s2, s2, 16
	v_sub_u32_e32 v7, v9, v7
	s_addc_u32 s3, s3, 0
	v_mul_lo_u32 v7, v7, s23
	s_cmp_lg_u32 s24, s26
	v_add3_u32 v10, v10, v5, v7
	s_cbranch_scc1 .LBB149_85
; %bb.86:
	s_and_b32 s8, s25, 3
	s_cmp_eq_u32 s8, 0
	s_cbranch_scc0 .LBB149_89
	s_branch .LBB149_91
.LBB149_87:
                                        ; implicit-def: $vgpr10
	s_branch .LBB149_92
.LBB149_88:
	v_mov_b32_e32 v3, v1
	s_and_b32 s8, s25, 3
	s_cmp_eq_u32 s8, 0
	s_cbranch_scc1 .LBB149_91
.LBB149_89:
	s_lshl_b32 s2, s24, 2
	s_add_u32 s2, s2, s4
	s_addc_u32 s3, 0, s5
	s_add_u32 s2, s2, 0xc4
	s_addc_u32 s3, s3, 0
	s_mul_i32 s6, s24, 12
	s_add_u32 s6, s4, s6
	s_addc_u32 s7, 0, s5
.LBB149_90:                             ; =>This Inner Loop Header: Depth=1
	s_load_dwordx2 s[10:11], s[6:7], 0x4
	s_load_dword s9, s[6:7], 0xc
	s_load_dword s12, s[2:3], 0x0
	s_add_u32 s6, s6, 12
	s_addc_u32 s7, s7, 0
	s_waitcnt lgkmcnt(0)
	v_mul_hi_u32 v5, s11, v3
	v_add_u32_e32 v5, v3, v5
	v_lshrrev_b32_e32 v5, s9, v5
	s_add_u32 s2, s2, 4
	v_mul_lo_u32 v7, v5, s10
	s_addc_u32 s3, s3, 0
	s_add_i32 s8, s8, -1
	v_sub_u32_e32 v7, v3, v7
	s_cmp_lg_u32 s8, 0
	v_mov_b32_e32 v3, v5
	v_mad_u64_u32 v[10:11], s[10:11], v7, s12, v[10:11]
	s_cbranch_scc1 .LBB149_90
.LBB149_91:
	s_cbranch_execnz .LBB149_94
.LBB149_92:
	s_load_dwordx4 s[8:11], s[4:5], 0x4
	s_load_dword s2, s[4:5], 0xc4
	s_cmp_lt_u32 s33, 2
	s_waitcnt lgkmcnt(0)
	v_mul_hi_u32 v3, s9, v1
	v_add_u32_e32 v3, v1, v3
	v_lshrrev_b32_e32 v3, s10, v3
	v_mul_lo_u32 v5, v3, s8
	v_sub_u32_e32 v1, v1, v5
	v_mul_lo_u32 v10, v1, s2
	s_cbranch_scc1 .LBB149_94
; %bb.93:
	s_load_dwordx4 s[8:11], s[4:5], 0x10
	s_load_dword s2, s[4:5], 0xc8
	s_waitcnt lgkmcnt(0)
	v_mul_hi_u32 v1, s9, v3
	v_add_u32_e32 v1, v3, v1
	v_lshrrev_b32_e32 v1, s10, v1
	v_mul_lo_u32 v1, v1, s8
	v_sub_u32_e32 v1, v3, v1
	v_mad_u64_u32 v[10:11], s[2:3], v1, s2, v[10:11]
.LBB149_94:
	s_and_b64 vcc, exec, s[0:1]
	v_add_u32_e32 v1, 0x300, v12
	s_cbranch_vccnz .LBB149_100
; %bb.95:
	s_mov_b32 s24, 0
	s_cmp_eq_u32 s33, 0
	v_mov_b32_e32 v12, 0
	s_cbranch_scc1 .LBB149_104
; %bb.96:
	s_min_u32 s25, s46, 15
	s_add_i32 s25, s25, 1
	s_cmp_eq_u32 s46, 2
	v_mov_b32_e32 v12, 0
	s_cbranch_scc1 .LBB149_101
; %bb.97:
	s_add_u32 s2, s4, 0xc4
	s_addc_u32 s3, s5, 0
	s_and_b32 s24, s25, 28
	s_mov_b32 s26, 0
	v_mov_b32_e32 v12, 0
	s_mov_b64 s[6:7], s[4:5]
	v_mov_b32_e32 v3, v1
.LBB149_98:                             ; =>This Inner Loop Header: Depth=1
	s_load_dwordx8 s[8:15], s[6:7], 0x4
	s_load_dwordx4 s[16:19], s[6:7], 0x24
	s_load_dwordx4 s[20:23], s[2:3], 0x0
	s_add_u32 s6, s6, 48
	s_addc_u32 s7, s7, 0
	s_waitcnt lgkmcnt(0)
	v_mul_hi_u32 v5, s9, v3
	v_add_u32_e32 v5, v3, v5
	v_lshrrev_b32_e32 v5, s10, v5
	v_mul_lo_u32 v7, v5, s8
	v_mul_hi_u32 v9, s12, v5
	v_sub_u32_e32 v3, v3, v7
	v_add_u32_e32 v7, v5, v9
	v_lshrrev_b32_e32 v7, s13, v7
	v_mul_lo_u32 v9, v7, s11
	v_mul_hi_u32 v11, s15, v7
	v_sub_u32_e32 v5, v5, v9
	v_add_u32_e32 v9, v7, v11
	v_mul_lo_u32 v3, v3, s20
	v_mul_lo_u32 v5, v5, s21
	v_lshrrev_b32_e32 v9, s16, v9
	v_add3_u32 v5, v3, v12, v5
	v_mul_lo_u32 v3, v9, s14
	v_mul_hi_u32 v11, s18, v9
	v_sub_u32_e32 v3, v7, v3
	v_add_u32_e32 v7, v9, v11
	v_mul_lo_u32 v11, v3, s22
	v_lshrrev_b32_e32 v3, s19, v7
	s_add_i32 s26, s26, 4
	v_mul_lo_u32 v7, v3, s17
	s_add_u32 s2, s2, 16
	v_sub_u32_e32 v7, v9, v7
	s_addc_u32 s3, s3, 0
	v_mul_lo_u32 v7, v7, s23
	s_cmp_lg_u32 s24, s26
	v_add3_u32 v12, v11, v5, v7
	s_cbranch_scc1 .LBB149_98
; %bb.99:
	s_and_b32 s8, s25, 3
	s_cmp_eq_u32 s8, 0
	s_cbranch_scc0 .LBB149_102
	s_branch .LBB149_104
.LBB149_100:
                                        ; implicit-def: $vgpr12
	s_branch .LBB149_105
.LBB149_101:
	v_mov_b32_e32 v3, v1
	s_and_b32 s8, s25, 3
	s_cmp_eq_u32 s8, 0
	s_cbranch_scc1 .LBB149_104
.LBB149_102:
	s_lshl_b32 s2, s24, 2
	s_add_u32 s2, s2, s4
	s_addc_u32 s3, 0, s5
	s_add_u32 s2, s2, 0xc4
	s_addc_u32 s3, s3, 0
	s_mul_i32 s6, s24, 12
	s_add_u32 s6, s4, s6
	s_addc_u32 s7, 0, s5
.LBB149_103:                            ; =>This Inner Loop Header: Depth=1
	s_load_dwordx2 s[10:11], s[6:7], 0x4
	s_load_dword s9, s[6:7], 0xc
	s_load_dword s12, s[2:3], 0x0
	s_add_u32 s6, s6, 12
	s_addc_u32 s7, s7, 0
	s_waitcnt lgkmcnt(0)
	v_mul_hi_u32 v5, s11, v3
	v_add_u32_e32 v5, v3, v5
	v_lshrrev_b32_e32 v5, s9, v5
	s_add_u32 s2, s2, 4
	v_mul_lo_u32 v7, v5, s10
	s_addc_u32 s3, s3, 0
	s_add_i32 s8, s8, -1
	v_sub_u32_e32 v7, v3, v7
	s_cmp_lg_u32 s8, 0
	v_mov_b32_e32 v3, v5
	v_mad_u64_u32 v[12:13], s[10:11], v7, s12, v[12:13]
	s_cbranch_scc1 .LBB149_103
.LBB149_104:
	s_cbranch_execnz .LBB149_107
.LBB149_105:
	s_load_dwordx4 s[8:11], s[4:5], 0x4
	s_load_dword s2, s[4:5], 0xc4
	s_cmp_lt_u32 s33, 2
	s_waitcnt lgkmcnt(0)
	v_mul_hi_u32 v3, s9, v1
	v_add_u32_e32 v3, v1, v3
	v_lshrrev_b32_e32 v3, s10, v3
	v_mul_lo_u32 v5, v3, s8
	v_sub_u32_e32 v1, v1, v5
	v_mul_lo_u32 v12, v1, s2
	s_cbranch_scc1 .LBB149_107
; %bb.106:
	s_load_dwordx4 s[8:11], s[4:5], 0x10
	s_load_dword s2, s[4:5], 0xc8
	s_waitcnt lgkmcnt(0)
	v_mul_hi_u32 v1, s9, v3
	v_add_u32_e32 v1, v3, v1
	v_lshrrev_b32_e32 v1, s10, v1
	v_mul_lo_u32 v1, v1, s8
	v_sub_u32_e32 v1, v3, v1
	v_mad_u64_u32 v[12:13], s[2:3], v1, s2, v[12:13]
.LBB149_107:
	s_and_b64 vcc, exec, s[0:1]
	s_cbranch_vccnz .LBB149_113
; %bb.108:
	s_mov_b32 s22, 0
	s_cmp_eq_u32 s33, 0
	v_mov_b32_e32 v14, 0
	s_cbranch_scc1 .LBB149_117
; %bb.109:
	s_min_u32 s23, s46, 15
	s_add_i32 s23, s23, 1
	s_cmp_eq_u32 s46, 2
	v_mov_b32_e32 v14, 0
	s_cbranch_scc1 .LBB149_114
; %bb.110:
	s_add_u32 s6, s4, 0xc4
	s_addc_u32 s7, s5, 0
	s_and_b32 s22, s23, 28
	s_mov_b32 s24, 0
	v_mov_b32_e32 v14, 0
	s_mov_b64 s[20:21], s[4:5]
	v_mov_b32_e32 v1, v16
.LBB149_111:                            ; =>This Inner Loop Header: Depth=1
	s_load_dwordx8 s[8:15], s[20:21], 0x4
	s_load_dwordx4 s[0:3], s[20:21], 0x24
	s_load_dwordx4 s[16:19], s[6:7], 0x0
	s_add_u32 s20, s20, 48
	s_addc_u32 s21, s21, 0
	s_waitcnt lgkmcnt(0)
	v_mul_hi_u32 v3, s9, v1
	v_add_u32_e32 v3, v1, v3
	v_lshrrev_b32_e32 v3, s10, v3
	v_mul_lo_u32 v5, v3, s8
	v_mul_hi_u32 v7, s12, v3
	v_sub_u32_e32 v1, v1, v5
	v_add_u32_e32 v5, v3, v7
	v_lshrrev_b32_e32 v5, s13, v5
	v_mul_lo_u32 v7, v5, s11
	v_mul_hi_u32 v9, s15, v5
	v_sub_u32_e32 v3, v3, v7
	v_add_u32_e32 v7, v5, v9
	v_mul_lo_u32 v1, v1, s16
	v_mul_lo_u32 v3, v3, s17
	v_lshrrev_b32_e32 v7, s0, v7
	v_add3_u32 v3, v1, v14, v3
	v_mul_lo_u32 v1, v7, s14
	v_mul_hi_u32 v9, s2, v7
	v_sub_u32_e32 v1, v5, v1
	v_add_u32_e32 v5, v7, v9
	v_mul_lo_u32 v9, v1, s18
	v_lshrrev_b32_e32 v1, s3, v5
	s_add_i32 s24, s24, 4
	v_mul_lo_u32 v5, v1, s1
	s_add_u32 s6, s6, 16
	v_sub_u32_e32 v5, v7, v5
	s_addc_u32 s7, s7, 0
	v_mul_lo_u32 v5, v5, s19
	s_cmp_lg_u32 s22, s24
	v_add3_u32 v14, v9, v3, v5
	s_cbranch_scc1 .LBB149_111
; %bb.112:
	s_and_b32 s6, s23, 3
	s_cmp_eq_u32 s6, 0
	s_cbranch_scc0 .LBB149_115
	s_branch .LBB149_117
.LBB149_113:
                                        ; implicit-def: $vgpr14
	s_branch .LBB149_118
.LBB149_114:
	v_mov_b32_e32 v1, v16
	s_and_b32 s6, s23, 3
	s_cmp_eq_u32 s6, 0
	s_cbranch_scc1 .LBB149_117
.LBB149_115:
	s_lshl_b32 s0, s22, 2
	s_add_u32 s0, s0, s4
	s_addc_u32 s1, 0, s5
	s_add_u32 s0, s0, 0xc4
	s_addc_u32 s1, s1, 0
	s_mul_i32 s2, s22, 12
	s_add_u32 s2, s4, s2
	s_addc_u32 s3, 0, s5
.LBB149_116:                            ; =>This Inner Loop Header: Depth=1
	s_load_dwordx2 s[8:9], s[2:3], 0x4
	s_load_dword s7, s[2:3], 0xc
	s_load_dword s10, s[0:1], 0x0
	s_add_u32 s2, s2, 12
	s_addc_u32 s3, s3, 0
	s_waitcnt lgkmcnt(0)
	v_mul_hi_u32 v3, s9, v1
	v_add_u32_e32 v3, v1, v3
	v_lshrrev_b32_e32 v3, s7, v3
	s_add_u32 s0, s0, 4
	v_mul_lo_u32 v5, v3, s8
	s_addc_u32 s1, s1, 0
	s_add_i32 s6, s6, -1
	v_sub_u32_e32 v5, v1, v5
	s_cmp_lg_u32 s6, 0
	v_mov_b32_e32 v1, v3
	v_mad_u64_u32 v[14:15], s[8:9], v5, s10, v[14:15]
	s_cbranch_scc1 .LBB149_116
.LBB149_117:
	s_cbranch_execnz .LBB149_120
.LBB149_118:
	s_load_dwordx4 s[0:3], s[4:5], 0x4
	s_waitcnt lgkmcnt(0)
	s_load_dword s3, s[4:5], 0xc4
	s_cmp_lt_u32 s33, 2
	v_mul_hi_u32 v1, s1, v16
	v_add_u32_e32 v1, v16, v1
	v_lshrrev_b32_e32 v1, s2, v1
	v_mul_lo_u32 v3, v1, s0
	v_sub_u32_e32 v3, v16, v3
	s_waitcnt lgkmcnt(0)
	v_mul_lo_u32 v14, v3, s3
	s_cbranch_scc1 .LBB149_120
; %bb.119:
	s_load_dwordx4 s[0:3], s[4:5], 0x10
	s_waitcnt lgkmcnt(0)
	s_load_dword s3, s[4:5], 0xc8
	v_mul_hi_u32 v3, s1, v1
	v_add_u32_e32 v3, v1, v3
	v_lshrrev_b32_e32 v3, s2, v3
	v_mul_lo_u32 v3, v3, s0
	v_sub_u32_e32 v1, v1, v3
	s_waitcnt lgkmcnt(0)
	v_mad_u64_u32 v[14:15], s[0:1], v1, s3, v[14:15]
.LBB149_120:
	s_load_dword s2, s[4:5], 0x110
	s_load_dwordx2 s[0:1], s[4:5], 0x108
	s_waitcnt lgkmcnt(0)
	v_mov_b32_e32 v1, s2
	s_nop 0
	global_store_byte v0, v1, s[0:1]
	global_store_byte v2, v1, s[0:1]
	;; [unrolled: 1-line block ×8, first 2 shown]
	s_endpgm
.LBB149_121:
	v_mov_b32_e32 v0, 0
	s_branch .LBB149_127
.LBB149_122:
	v_mov_b32_e32 v0, 0
	s_branch .LBB149_143
.LBB149_123:
	v_mov_b32_e32 v2, v12
.LBB149_124:
	s_and_b32 s12, s51, 3
	s_cmp_eq_u32 s12, 0
	s_cbranch_scc1 .LBB149_127
; %bb.125:
	s_lshl_b32 s8, s50, 2
	s_add_u32 s8, s8, s4
	s_addc_u32 s9, s5, 0
	s_add_u32 s8, s8, 0xc4
	s_addc_u32 s9, s9, 0
	s_mul_i32 s10, s50, 12
	s_add_u32 s10, s4, s10
	s_addc_u32 s11, s5, 0
.LBB149_126:                            ; =>This Inner Loop Header: Depth=1
	s_load_dwordx2 s[14:15], s[10:11], 0x4
	s_load_dword s13, s[10:11], 0xc
	s_load_dword s16, s[8:9], 0x0
	s_add_u32 s10, s10, 12
	s_addc_u32 s11, s11, 0
	s_waitcnt lgkmcnt(0)
	v_mul_hi_u32 v1, s15, v2
	v_add_u32_e32 v1, v2, v1
	v_lshrrev_b32_e32 v1, s13, v1
	s_add_u32 s8, s8, 4
	v_mul_lo_u32 v3, v1, s14
	s_addc_u32 s9, s9, 0
	s_add_i32 s12, s12, -1
	v_sub_u32_e32 v3, v2, v3
	s_cmp_lg_u32 s12, 0
	v_mov_b32_e32 v2, v1
	v_mad_u64_u32 v[0:1], s[14:15], v3, s16, v[0:1]
	s_cbranch_scc1 .LBB149_126
.LBB149_127:
	s_cbranch_execnz .LBB149_130
.LBB149_128:
	s_waitcnt lgkmcnt(0)
	v_mul_hi_u32 v0, s1, v12
	v_add_u32_e32 v0, v12, v0
	v_lshrrev_b32_e32 v1, s2, v0
	v_mul_lo_u32 v0, v1, s0
	v_sub_u32_e32 v0, v12, v0
	s_andn2_b64 vcc, exec, s[34:35]
	v_mul_lo_u32 v0, v0, s28
	s_cbranch_vccnz .LBB149_130
; %bb.129:
	v_mul_hi_u32 v2, s30, v1
	v_add_u32_e32 v2, v1, v2
	v_lshrrev_b32_e32 v2, s31, v2
	v_mul_lo_u32 v2, v2, s3
	v_sub_u32_e32 v1, v1, v2
	v_mad_u64_u32 v[0:1], s[8:9], v1, s29, v[0:1]
.LBB149_130:
	s_waitcnt lgkmcnt(0)
	v_mov_b32_e32 v1, s47
	v_add_u32_e32 v12, 0x80, v12
	global_store_byte v0, v1, s[26:27]
	s_or_b64 exec, exec, s[40:41]
	v_cmp_gt_i32_e32 vcc, s48, v12
	s_and_saveexec_b64 s[40:41], vcc
	s_cbranch_execnz .LBB149_15
.LBB149_131:
	s_or_b64 exec, exec, s[40:41]
	v_cmp_gt_i32_e32 vcc, s48, v12
	s_and_saveexec_b64 s[40:41], vcc
	s_cbranch_execz .LBB149_147
.LBB149_132:
	s_andn2_b64 vcc, exec, s[6:7]
	s_cbranch_vccnz .LBB149_137
; %bb.133:
	s_andn2_b64 vcc, exec, s[38:39]
	s_cbranch_vccnz .LBB149_138
; %bb.134:
	s_add_i32 s51, s49, 1
	s_mov_b32 s50, 0
	s_cmp_eq_u32 s46, 2
	v_mov_b32_e32 v0, 0
	s_cbranch_scc1 .LBB149_155
; %bb.135:
	s_and_b32 s50, s51, 28
	s_mov_b32 s52, 0
	v_mov_b32_e32 v0, 0
	s_mov_b64 s[42:43], s[4:5]
	s_mov_b64 s[44:45], s[36:37]
	v_mov_b32_e32 v2, v12
.LBB149_136:                            ; =>This Inner Loop Header: Depth=1
	s_load_dwordx8 s[8:15], s[42:43], 0x4
	s_load_dwordx4 s[16:19], s[42:43], 0x24
	s_load_dwordx4 s[20:23], s[44:45], 0x0
	s_add_u32 s42, s42, 48
	s_addc_u32 s43, s43, 0
	s_waitcnt lgkmcnt(0)
	v_mul_hi_u32 v1, s9, v2
	v_add_u32_e32 v1, v2, v1
	v_lshrrev_b32_e32 v1, s10, v1
	v_mul_lo_u32 v3, v1, s8
	v_mul_hi_u32 v4, s12, v1
	v_sub_u32_e32 v2, v2, v3
	v_add_u32_e32 v3, v1, v4
	v_lshrrev_b32_e32 v3, s13, v3
	v_mul_lo_u32 v4, v3, s11
	v_mul_hi_u32 v5, s15, v3
	v_sub_u32_e32 v1, v1, v4
	v_add_u32_e32 v4, v3, v5
	v_mul_lo_u32 v2, v2, s20
	v_mul_lo_u32 v1, v1, s21
	v_lshrrev_b32_e32 v4, s16, v4
	v_add3_u32 v0, v2, v0, v1
	v_mul_hi_u32 v2, s18, v4
	v_add_u32_e32 v2, v4, v2
	v_mul_lo_u32 v1, v4, s14
	v_lshrrev_b32_e32 v2, s19, v2
	s_add_i32 s52, s52, 4
	v_sub_u32_e32 v1, v3, v1
	v_mul_lo_u32 v3, v2, s17
	s_add_u32 s44, s44, 16
	v_sub_u32_e32 v3, v4, v3
	s_addc_u32 s45, s45, 0
	v_mul_lo_u32 v1, v1, s22
	v_mul_lo_u32 v3, v3, s23
	s_cmp_eq_u32 s50, s52
	v_add3_u32 v0, v1, v0, v3
	s_cbranch_scc0 .LBB149_136
	s_branch .LBB149_156
.LBB149_137:
                                        ; implicit-def: $vgpr0
	s_branch .LBB149_160
.LBB149_138:
	v_mov_b32_e32 v0, 0
	s_branch .LBB149_159
.LBB149_139:
	v_mov_b32_e32 v2, v12
.LBB149_140:
	s_and_b32 s12, s51, 3
	s_cmp_eq_u32 s12, 0
	s_cbranch_scc1 .LBB149_143
; %bb.141:
	s_lshl_b32 s8, s50, 2
	s_add_u32 s8, s8, s4
	s_addc_u32 s9, s5, 0
	s_add_u32 s8, s8, 0xc4
	s_addc_u32 s9, s9, 0
	s_mul_i32 s10, s50, 12
	s_add_u32 s10, s4, s10
	s_addc_u32 s11, s5, 0
.LBB149_142:                            ; =>This Inner Loop Header: Depth=1
	s_load_dwordx2 s[14:15], s[10:11], 0x4
	s_load_dword s13, s[10:11], 0xc
	s_load_dword s16, s[8:9], 0x0
	s_add_u32 s10, s10, 12
	s_addc_u32 s11, s11, 0
	s_waitcnt lgkmcnt(0)
	v_mul_hi_u32 v1, s15, v2
	v_add_u32_e32 v1, v2, v1
	v_lshrrev_b32_e32 v1, s13, v1
	s_add_u32 s8, s8, 4
	v_mul_lo_u32 v3, v1, s14
	s_addc_u32 s9, s9, 0
	s_add_i32 s12, s12, -1
	v_sub_u32_e32 v3, v2, v3
	s_cmp_lg_u32 s12, 0
	v_mov_b32_e32 v2, v1
	v_mad_u64_u32 v[0:1], s[14:15], v3, s16, v[0:1]
	s_cbranch_scc1 .LBB149_142
.LBB149_143:
	s_cbranch_execnz .LBB149_146
.LBB149_144:
	s_waitcnt lgkmcnt(0)
	v_mul_hi_u32 v0, s1, v12
	v_add_u32_e32 v0, v12, v0
	v_lshrrev_b32_e32 v1, s2, v0
	v_mul_lo_u32 v0, v1, s0
	v_sub_u32_e32 v0, v12, v0
	s_andn2_b64 vcc, exec, s[34:35]
	v_mul_lo_u32 v0, v0, s28
	s_cbranch_vccnz .LBB149_146
; %bb.145:
	v_mul_hi_u32 v2, s30, v1
	v_add_u32_e32 v2, v1, v2
	v_lshrrev_b32_e32 v2, s31, v2
	v_mul_lo_u32 v2, v2, s3
	v_sub_u32_e32 v1, v1, v2
	v_mad_u64_u32 v[0:1], s[8:9], v1, s29, v[0:1]
.LBB149_146:
	s_waitcnt lgkmcnt(0)
	v_mov_b32_e32 v1, s47
	v_add_u32_e32 v12, 0x80, v12
	global_store_byte v0, v1, s[26:27]
	s_or_b64 exec, exec, s[40:41]
	v_cmp_gt_i32_e32 vcc, s48, v12
	s_and_saveexec_b64 s[40:41], vcc
	s_cbranch_execnz .LBB149_132
.LBB149_147:
	s_or_b64 exec, exec, s[40:41]
	v_cmp_gt_i32_e32 vcc, s48, v12
	s_and_saveexec_b64 s[40:41], vcc
	s_cbranch_execz .LBB149_163
.LBB149_148:
	s_andn2_b64 vcc, exec, s[6:7]
	s_cbranch_vccnz .LBB149_153
; %bb.149:
	s_andn2_b64 vcc, exec, s[38:39]
	s_cbranch_vccnz .LBB149_154
; %bb.150:
	s_add_i32 s51, s49, 1
	s_mov_b32 s50, 0
	s_cmp_eq_u32 s46, 2
	v_mov_b32_e32 v0, 0
	s_cbranch_scc1 .LBB149_171
; %bb.151:
	s_and_b32 s50, s51, 28
	s_mov_b32 s52, 0
	v_mov_b32_e32 v0, 0
	s_mov_b64 s[42:43], s[4:5]
	s_mov_b64 s[44:45], s[36:37]
	v_mov_b32_e32 v2, v12
.LBB149_152:                            ; =>This Inner Loop Header: Depth=1
	s_load_dwordx8 s[8:15], s[42:43], 0x4
	s_load_dwordx4 s[16:19], s[42:43], 0x24
	s_load_dwordx4 s[20:23], s[44:45], 0x0
	s_add_u32 s42, s42, 48
	s_addc_u32 s43, s43, 0
	s_waitcnt lgkmcnt(0)
	v_mul_hi_u32 v1, s9, v2
	v_add_u32_e32 v1, v2, v1
	v_lshrrev_b32_e32 v1, s10, v1
	v_mul_lo_u32 v3, v1, s8
	v_mul_hi_u32 v4, s12, v1
	v_sub_u32_e32 v2, v2, v3
	v_add_u32_e32 v3, v1, v4
	v_lshrrev_b32_e32 v3, s13, v3
	v_mul_lo_u32 v4, v3, s11
	v_mul_hi_u32 v5, s15, v3
	v_sub_u32_e32 v1, v1, v4
	v_add_u32_e32 v4, v3, v5
	v_mul_lo_u32 v2, v2, s20
	v_mul_lo_u32 v1, v1, s21
	v_lshrrev_b32_e32 v4, s16, v4
	v_add3_u32 v0, v2, v0, v1
	v_mul_hi_u32 v2, s18, v4
	v_add_u32_e32 v2, v4, v2
	v_mul_lo_u32 v1, v4, s14
	v_lshrrev_b32_e32 v2, s19, v2
	s_add_i32 s52, s52, 4
	v_sub_u32_e32 v1, v3, v1
	v_mul_lo_u32 v3, v2, s17
	s_add_u32 s44, s44, 16
	v_sub_u32_e32 v3, v4, v3
	s_addc_u32 s45, s45, 0
	v_mul_lo_u32 v1, v1, s22
	v_mul_lo_u32 v3, v3, s23
	s_cmp_eq_u32 s50, s52
	v_add3_u32 v0, v1, v0, v3
	s_cbranch_scc0 .LBB149_152
	s_branch .LBB149_172
.LBB149_153:
                                        ; implicit-def: $vgpr0
	s_branch .LBB149_176
.LBB149_154:
	v_mov_b32_e32 v0, 0
	s_branch .LBB149_175
.LBB149_155:
	v_mov_b32_e32 v2, v12
.LBB149_156:
	s_and_b32 s12, s51, 3
	s_cmp_eq_u32 s12, 0
	s_cbranch_scc1 .LBB149_159
; %bb.157:
	s_lshl_b32 s8, s50, 2
	s_add_u32 s8, s8, s4
	s_addc_u32 s9, s5, 0
	s_add_u32 s8, s8, 0xc4
	s_addc_u32 s9, s9, 0
	s_mul_i32 s10, s50, 12
	s_add_u32 s10, s4, s10
	s_addc_u32 s11, s5, 0
.LBB149_158:                            ; =>This Inner Loop Header: Depth=1
	s_load_dwordx2 s[14:15], s[10:11], 0x4
	s_load_dword s13, s[10:11], 0xc
	s_load_dword s16, s[8:9], 0x0
	s_add_u32 s10, s10, 12
	s_addc_u32 s11, s11, 0
	s_waitcnt lgkmcnt(0)
	v_mul_hi_u32 v1, s15, v2
	v_add_u32_e32 v1, v2, v1
	v_lshrrev_b32_e32 v1, s13, v1
	s_add_u32 s8, s8, 4
	v_mul_lo_u32 v3, v1, s14
	s_addc_u32 s9, s9, 0
	s_add_i32 s12, s12, -1
	v_sub_u32_e32 v3, v2, v3
	s_cmp_lg_u32 s12, 0
	v_mov_b32_e32 v2, v1
	v_mad_u64_u32 v[0:1], s[14:15], v3, s16, v[0:1]
	s_cbranch_scc1 .LBB149_158
.LBB149_159:
	s_cbranch_execnz .LBB149_162
.LBB149_160:
	s_waitcnt lgkmcnt(0)
	v_mul_hi_u32 v0, s1, v12
	v_add_u32_e32 v0, v12, v0
	v_lshrrev_b32_e32 v1, s2, v0
	v_mul_lo_u32 v0, v1, s0
	v_sub_u32_e32 v0, v12, v0
	s_andn2_b64 vcc, exec, s[34:35]
	v_mul_lo_u32 v0, v0, s28
	s_cbranch_vccnz .LBB149_162
; %bb.161:
	v_mul_hi_u32 v2, s30, v1
	v_add_u32_e32 v2, v1, v2
	v_lshrrev_b32_e32 v2, s31, v2
	v_mul_lo_u32 v2, v2, s3
	v_sub_u32_e32 v1, v1, v2
	v_mad_u64_u32 v[0:1], s[8:9], v1, s29, v[0:1]
.LBB149_162:
	s_waitcnt lgkmcnt(0)
	v_mov_b32_e32 v1, s47
	v_add_u32_e32 v12, 0x80, v12
	global_store_byte v0, v1, s[26:27]
	s_or_b64 exec, exec, s[40:41]
	v_cmp_gt_i32_e32 vcc, s48, v12
	s_and_saveexec_b64 s[40:41], vcc
	s_cbranch_execnz .LBB149_148
.LBB149_163:
	s_or_b64 exec, exec, s[40:41]
	v_cmp_gt_i32_e32 vcc, s48, v12
	s_and_saveexec_b64 s[40:41], vcc
	s_cbranch_execz .LBB149_179
.LBB149_164:
	s_andn2_b64 vcc, exec, s[6:7]
	s_cbranch_vccnz .LBB149_169
; %bb.165:
	s_andn2_b64 vcc, exec, s[38:39]
	s_cbranch_vccnz .LBB149_170
; %bb.166:
	s_add_i32 s51, s49, 1
	s_mov_b32 s50, 0
	s_cmp_eq_u32 s46, 2
	v_mov_b32_e32 v0, 0
	s_cbranch_scc1 .LBB149_187
; %bb.167:
	s_and_b32 s50, s51, 28
	s_mov_b32 s52, 0
	v_mov_b32_e32 v0, 0
	s_mov_b64 s[42:43], s[4:5]
	s_mov_b64 s[44:45], s[36:37]
	v_mov_b32_e32 v2, v12
.LBB149_168:                            ; =>This Inner Loop Header: Depth=1
	s_load_dwordx8 s[8:15], s[42:43], 0x4
	s_load_dwordx4 s[16:19], s[42:43], 0x24
	s_load_dwordx4 s[20:23], s[44:45], 0x0
	s_add_u32 s42, s42, 48
	s_addc_u32 s43, s43, 0
	s_waitcnt lgkmcnt(0)
	v_mul_hi_u32 v1, s9, v2
	v_add_u32_e32 v1, v2, v1
	v_lshrrev_b32_e32 v1, s10, v1
	v_mul_lo_u32 v3, v1, s8
	v_mul_hi_u32 v4, s12, v1
	v_sub_u32_e32 v2, v2, v3
	v_add_u32_e32 v3, v1, v4
	v_lshrrev_b32_e32 v3, s13, v3
	v_mul_lo_u32 v4, v3, s11
	v_mul_hi_u32 v5, s15, v3
	v_sub_u32_e32 v1, v1, v4
	v_add_u32_e32 v4, v3, v5
	v_mul_lo_u32 v2, v2, s20
	v_mul_lo_u32 v1, v1, s21
	v_lshrrev_b32_e32 v4, s16, v4
	v_add3_u32 v0, v2, v0, v1
	v_mul_hi_u32 v2, s18, v4
	v_add_u32_e32 v2, v4, v2
	v_mul_lo_u32 v1, v4, s14
	v_lshrrev_b32_e32 v2, s19, v2
	s_add_i32 s52, s52, 4
	v_sub_u32_e32 v1, v3, v1
	v_mul_lo_u32 v3, v2, s17
	s_add_u32 s44, s44, 16
	v_sub_u32_e32 v3, v4, v3
	s_addc_u32 s45, s45, 0
	v_mul_lo_u32 v1, v1, s22
	v_mul_lo_u32 v3, v3, s23
	s_cmp_eq_u32 s50, s52
	v_add3_u32 v0, v1, v0, v3
	s_cbranch_scc0 .LBB149_168
	s_branch .LBB149_188
.LBB149_169:
                                        ; implicit-def: $vgpr0
	s_branch .LBB149_192
.LBB149_170:
	v_mov_b32_e32 v0, 0
	s_branch .LBB149_191
.LBB149_171:
	v_mov_b32_e32 v2, v12
.LBB149_172:
	s_and_b32 s12, s51, 3
	s_cmp_eq_u32 s12, 0
	s_cbranch_scc1 .LBB149_175
; %bb.173:
	s_lshl_b32 s8, s50, 2
	s_add_u32 s8, s8, s4
	s_addc_u32 s9, s5, 0
	s_add_u32 s8, s8, 0xc4
	s_addc_u32 s9, s9, 0
	s_mul_i32 s10, s50, 12
	s_add_u32 s10, s4, s10
	s_addc_u32 s11, s5, 0
.LBB149_174:                            ; =>This Inner Loop Header: Depth=1
	s_load_dwordx2 s[14:15], s[10:11], 0x4
	s_load_dword s13, s[10:11], 0xc
	s_load_dword s16, s[8:9], 0x0
	s_add_u32 s10, s10, 12
	s_addc_u32 s11, s11, 0
	s_waitcnt lgkmcnt(0)
	v_mul_hi_u32 v1, s15, v2
	v_add_u32_e32 v1, v2, v1
	v_lshrrev_b32_e32 v1, s13, v1
	s_add_u32 s8, s8, 4
	v_mul_lo_u32 v3, v1, s14
	s_addc_u32 s9, s9, 0
	s_add_i32 s12, s12, -1
	v_sub_u32_e32 v3, v2, v3
	s_cmp_lg_u32 s12, 0
	v_mov_b32_e32 v2, v1
	v_mad_u64_u32 v[0:1], s[14:15], v3, s16, v[0:1]
	s_cbranch_scc1 .LBB149_174
.LBB149_175:
	s_cbranch_execnz .LBB149_178
.LBB149_176:
	s_waitcnt lgkmcnt(0)
	v_mul_hi_u32 v0, s1, v12
	v_add_u32_e32 v0, v12, v0
	v_lshrrev_b32_e32 v1, s2, v0
	v_mul_lo_u32 v0, v1, s0
	v_sub_u32_e32 v0, v12, v0
	s_andn2_b64 vcc, exec, s[34:35]
	v_mul_lo_u32 v0, v0, s28
	s_cbranch_vccnz .LBB149_178
; %bb.177:
	v_mul_hi_u32 v2, s30, v1
	v_add_u32_e32 v2, v1, v2
	v_lshrrev_b32_e32 v2, s31, v2
	v_mul_lo_u32 v2, v2, s3
	v_sub_u32_e32 v1, v1, v2
	v_mad_u64_u32 v[0:1], s[8:9], v1, s29, v[0:1]
.LBB149_178:
	s_waitcnt lgkmcnt(0)
	v_mov_b32_e32 v1, s47
	v_add_u32_e32 v12, 0x80, v12
	global_store_byte v0, v1, s[26:27]
	s_or_b64 exec, exec, s[40:41]
	v_cmp_gt_i32_e32 vcc, s48, v12
	s_and_saveexec_b64 s[40:41], vcc
	s_cbranch_execnz .LBB149_164
.LBB149_179:
	s_or_b64 exec, exec, s[40:41]
	v_cmp_gt_i32_e32 vcc, s48, v12
	s_and_saveexec_b64 s[40:41], vcc
	s_cbranch_execz .LBB149_195
.LBB149_180:
	s_andn2_b64 vcc, exec, s[6:7]
	s_cbranch_vccnz .LBB149_185
; %bb.181:
	s_andn2_b64 vcc, exec, s[38:39]
	s_cbranch_vccnz .LBB149_186
; %bb.182:
	s_add_i32 s51, s49, 1
	s_mov_b32 s50, 0
	s_cmp_eq_u32 s46, 2
	v_mov_b32_e32 v0, 0
	s_cbranch_scc1 .LBB149_203
; %bb.183:
	s_and_b32 s50, s51, 28
	s_mov_b32 s52, 0
	v_mov_b32_e32 v0, 0
	s_mov_b64 s[42:43], s[4:5]
	s_mov_b64 s[44:45], s[36:37]
	v_mov_b32_e32 v2, v12
.LBB149_184:                            ; =>This Inner Loop Header: Depth=1
	s_load_dwordx8 s[8:15], s[42:43], 0x4
	s_load_dwordx4 s[16:19], s[42:43], 0x24
	s_load_dwordx4 s[20:23], s[44:45], 0x0
	s_add_u32 s42, s42, 48
	s_addc_u32 s43, s43, 0
	s_waitcnt lgkmcnt(0)
	v_mul_hi_u32 v1, s9, v2
	v_add_u32_e32 v1, v2, v1
	v_lshrrev_b32_e32 v1, s10, v1
	v_mul_lo_u32 v3, v1, s8
	v_mul_hi_u32 v4, s12, v1
	v_sub_u32_e32 v2, v2, v3
	v_add_u32_e32 v3, v1, v4
	v_lshrrev_b32_e32 v3, s13, v3
	v_mul_lo_u32 v4, v3, s11
	v_mul_hi_u32 v5, s15, v3
	v_sub_u32_e32 v1, v1, v4
	v_add_u32_e32 v4, v3, v5
	v_mul_lo_u32 v2, v2, s20
	v_mul_lo_u32 v1, v1, s21
	v_lshrrev_b32_e32 v4, s16, v4
	v_add3_u32 v0, v2, v0, v1
	v_mul_hi_u32 v2, s18, v4
	v_add_u32_e32 v2, v4, v2
	v_mul_lo_u32 v1, v4, s14
	v_lshrrev_b32_e32 v2, s19, v2
	s_add_i32 s52, s52, 4
	v_sub_u32_e32 v1, v3, v1
	v_mul_lo_u32 v3, v2, s17
	s_add_u32 s44, s44, 16
	v_sub_u32_e32 v3, v4, v3
	s_addc_u32 s45, s45, 0
	v_mul_lo_u32 v1, v1, s22
	v_mul_lo_u32 v3, v3, s23
	s_cmp_eq_u32 s50, s52
	v_add3_u32 v0, v1, v0, v3
	s_cbranch_scc0 .LBB149_184
	s_branch .LBB149_204
.LBB149_185:
                                        ; implicit-def: $vgpr0
	s_branch .LBB149_208
.LBB149_186:
	v_mov_b32_e32 v0, 0
	s_branch .LBB149_207
.LBB149_187:
	v_mov_b32_e32 v2, v12
.LBB149_188:
	s_and_b32 s12, s51, 3
	s_cmp_eq_u32 s12, 0
	s_cbranch_scc1 .LBB149_191
; %bb.189:
	s_lshl_b32 s8, s50, 2
	s_add_u32 s8, s8, s4
	s_addc_u32 s9, s5, 0
	s_add_u32 s8, s8, 0xc4
	s_addc_u32 s9, s9, 0
	s_mul_i32 s10, s50, 12
	s_add_u32 s10, s4, s10
	s_addc_u32 s11, s5, 0
.LBB149_190:                            ; =>This Inner Loop Header: Depth=1
	s_load_dwordx2 s[14:15], s[10:11], 0x4
	s_load_dword s13, s[10:11], 0xc
	s_load_dword s16, s[8:9], 0x0
	s_add_u32 s10, s10, 12
	s_addc_u32 s11, s11, 0
	s_waitcnt lgkmcnt(0)
	v_mul_hi_u32 v1, s15, v2
	v_add_u32_e32 v1, v2, v1
	v_lshrrev_b32_e32 v1, s13, v1
	s_add_u32 s8, s8, 4
	v_mul_lo_u32 v3, v1, s14
	s_addc_u32 s9, s9, 0
	s_add_i32 s12, s12, -1
	v_sub_u32_e32 v3, v2, v3
	s_cmp_lg_u32 s12, 0
	v_mov_b32_e32 v2, v1
	v_mad_u64_u32 v[0:1], s[14:15], v3, s16, v[0:1]
	s_cbranch_scc1 .LBB149_190
.LBB149_191:
	s_cbranch_execnz .LBB149_194
.LBB149_192:
	s_waitcnt lgkmcnt(0)
	v_mul_hi_u32 v0, s1, v12
	v_add_u32_e32 v0, v12, v0
	v_lshrrev_b32_e32 v1, s2, v0
	v_mul_lo_u32 v0, v1, s0
	v_sub_u32_e32 v0, v12, v0
	s_andn2_b64 vcc, exec, s[34:35]
	v_mul_lo_u32 v0, v0, s28
	s_cbranch_vccnz .LBB149_194
; %bb.193:
	v_mul_hi_u32 v2, s30, v1
	v_add_u32_e32 v2, v1, v2
	v_lshrrev_b32_e32 v2, s31, v2
	v_mul_lo_u32 v2, v2, s3
	v_sub_u32_e32 v1, v1, v2
	v_mad_u64_u32 v[0:1], s[8:9], v1, s29, v[0:1]
.LBB149_194:
	s_waitcnt lgkmcnt(0)
	v_mov_b32_e32 v1, s47
	v_add_u32_e32 v12, 0x80, v12
	global_store_byte v0, v1, s[26:27]
	s_or_b64 exec, exec, s[40:41]
	v_cmp_gt_i32_e32 vcc, s48, v12
	s_and_saveexec_b64 s[40:41], vcc
	s_cbranch_execnz .LBB149_180
.LBB149_195:
	s_or_b64 exec, exec, s[40:41]
	v_cmp_gt_i32_e32 vcc, s48, v12
	s_and_saveexec_b64 s[40:41], vcc
	s_cbranch_execz .LBB149_211
.LBB149_196:
	s_andn2_b64 vcc, exec, s[6:7]
	s_cbranch_vccnz .LBB149_201
; %bb.197:
	s_andn2_b64 vcc, exec, s[38:39]
	s_cbranch_vccnz .LBB149_202
; %bb.198:
	s_add_i32 s51, s49, 1
	s_mov_b32 s50, 0
	s_cmp_eq_u32 s46, 2
	v_mov_b32_e32 v0, 0
	s_cbranch_scc1 .LBB149_214
; %bb.199:
	s_and_b32 s50, s51, 28
	s_mov_b32 s52, 0
	v_mov_b32_e32 v0, 0
	s_mov_b64 s[42:43], s[4:5]
	s_mov_b64 s[44:45], s[36:37]
	v_mov_b32_e32 v2, v12
.LBB149_200:                            ; =>This Inner Loop Header: Depth=1
	s_load_dwordx8 s[8:15], s[42:43], 0x4
	s_load_dwordx4 s[16:19], s[42:43], 0x24
	s_load_dwordx4 s[20:23], s[44:45], 0x0
	s_add_u32 s42, s42, 48
	s_addc_u32 s43, s43, 0
	s_waitcnt lgkmcnt(0)
	v_mul_hi_u32 v1, s9, v2
	v_add_u32_e32 v1, v2, v1
	v_lshrrev_b32_e32 v1, s10, v1
	v_mul_lo_u32 v3, v1, s8
	v_mul_hi_u32 v4, s12, v1
	v_sub_u32_e32 v2, v2, v3
	v_add_u32_e32 v3, v1, v4
	v_lshrrev_b32_e32 v3, s13, v3
	v_mul_lo_u32 v4, v3, s11
	v_mul_hi_u32 v5, s15, v3
	v_sub_u32_e32 v1, v1, v4
	v_add_u32_e32 v4, v3, v5
	v_mul_lo_u32 v2, v2, s20
	v_mul_lo_u32 v1, v1, s21
	v_lshrrev_b32_e32 v4, s16, v4
	v_add3_u32 v0, v2, v0, v1
	v_mul_hi_u32 v2, s18, v4
	v_add_u32_e32 v2, v4, v2
	v_mul_lo_u32 v1, v4, s14
	v_lshrrev_b32_e32 v2, s19, v2
	s_add_i32 s52, s52, 4
	v_sub_u32_e32 v1, v3, v1
	v_mul_lo_u32 v3, v2, s17
	s_add_u32 s44, s44, 16
	v_sub_u32_e32 v3, v4, v3
	s_addc_u32 s45, s45, 0
	v_mul_lo_u32 v1, v1, s22
	v_mul_lo_u32 v3, v3, s23
	s_cmp_eq_u32 s50, s52
	v_add3_u32 v0, v1, v0, v3
	s_cbranch_scc0 .LBB149_200
	s_branch .LBB149_215
.LBB149_201:
                                        ; implicit-def: $vgpr0
	s_branch .LBB149_219
.LBB149_202:
	v_mov_b32_e32 v0, 0
	s_branch .LBB149_218
.LBB149_203:
	v_mov_b32_e32 v2, v12
.LBB149_204:
	s_and_b32 s12, s51, 3
	s_cmp_eq_u32 s12, 0
	s_cbranch_scc1 .LBB149_207
; %bb.205:
	s_lshl_b32 s8, s50, 2
	s_add_u32 s8, s8, s4
	s_addc_u32 s9, s5, 0
	s_add_u32 s8, s8, 0xc4
	s_addc_u32 s9, s9, 0
	s_mul_i32 s10, s50, 12
	s_add_u32 s10, s4, s10
	s_addc_u32 s11, s5, 0
.LBB149_206:                            ; =>This Inner Loop Header: Depth=1
	s_load_dwordx2 s[14:15], s[10:11], 0x4
	s_load_dword s13, s[10:11], 0xc
	s_load_dword s16, s[8:9], 0x0
	s_add_u32 s10, s10, 12
	s_addc_u32 s11, s11, 0
	s_waitcnt lgkmcnt(0)
	v_mul_hi_u32 v1, s15, v2
	v_add_u32_e32 v1, v2, v1
	v_lshrrev_b32_e32 v1, s13, v1
	s_add_u32 s8, s8, 4
	v_mul_lo_u32 v3, v1, s14
	s_addc_u32 s9, s9, 0
	s_add_i32 s12, s12, -1
	v_sub_u32_e32 v3, v2, v3
	s_cmp_lg_u32 s12, 0
	v_mov_b32_e32 v2, v1
	v_mad_u64_u32 v[0:1], s[14:15], v3, s16, v[0:1]
	s_cbranch_scc1 .LBB149_206
.LBB149_207:
	s_cbranch_execnz .LBB149_210
.LBB149_208:
	s_waitcnt lgkmcnt(0)
	v_mul_hi_u32 v0, s1, v12
	v_add_u32_e32 v0, v12, v0
	v_lshrrev_b32_e32 v1, s2, v0
	v_mul_lo_u32 v0, v1, s0
	v_sub_u32_e32 v0, v12, v0
	s_andn2_b64 vcc, exec, s[34:35]
	v_mul_lo_u32 v0, v0, s28
	s_cbranch_vccnz .LBB149_210
; %bb.209:
	v_mul_hi_u32 v2, s30, v1
	v_add_u32_e32 v2, v1, v2
	v_lshrrev_b32_e32 v2, s31, v2
	v_mul_lo_u32 v2, v2, s3
	v_sub_u32_e32 v1, v1, v2
	v_mad_u64_u32 v[0:1], s[8:9], v1, s29, v[0:1]
.LBB149_210:
	s_waitcnt lgkmcnt(0)
	v_mov_b32_e32 v1, s47
	v_add_u32_e32 v12, 0x80, v12
	global_store_byte v0, v1, s[26:27]
	s_or_b64 exec, exec, s[40:41]
	v_cmp_gt_i32_e32 vcc, s48, v12
	s_and_saveexec_b64 s[40:41], vcc
	s_cbranch_execnz .LBB149_196
.LBB149_211:
	s_or_b64 exec, exec, s[40:41]
	v_cmp_gt_i32_e32 vcc, s48, v12
	s_and_saveexec_b64 s[40:41], vcc
	s_cbranch_execnz .LBB149_222
.LBB149_212:
	s_or_b64 exec, exec, s[40:41]
                                        ; implicit-def: $vgpr16
                                        ; implicit-def: $vgpr12
	s_waitcnt lgkmcnt(0)
	s_andn2_saveexec_b64 s[0:1], s[24:25]
	s_cbranch_execnz .LBB149_8
.LBB149_213:
	s_endpgm
.LBB149_214:
	v_mov_b32_e32 v2, v12
.LBB149_215:
	s_and_b32 s12, s51, 3
	s_cmp_eq_u32 s12, 0
	s_cbranch_scc1 .LBB149_218
; %bb.216:
	s_lshl_b32 s8, s50, 2
	s_add_u32 s8, s8, s4
	s_addc_u32 s9, s5, 0
	s_add_u32 s8, s8, 0xc4
	s_addc_u32 s9, s9, 0
	s_mul_i32 s10, s50, 12
	s_add_u32 s10, s4, s10
	s_addc_u32 s11, s5, 0
.LBB149_217:                            ; =>This Inner Loop Header: Depth=1
	s_load_dwordx2 s[14:15], s[10:11], 0x4
	s_load_dword s13, s[10:11], 0xc
	s_load_dword s16, s[8:9], 0x0
	s_add_u32 s10, s10, 12
	s_addc_u32 s11, s11, 0
	s_waitcnt lgkmcnt(0)
	v_mul_hi_u32 v1, s15, v2
	v_add_u32_e32 v1, v2, v1
	v_lshrrev_b32_e32 v1, s13, v1
	s_add_u32 s8, s8, 4
	v_mul_lo_u32 v3, v1, s14
	s_addc_u32 s9, s9, 0
	s_add_i32 s12, s12, -1
	v_sub_u32_e32 v3, v2, v3
	s_cmp_lg_u32 s12, 0
	v_mov_b32_e32 v2, v1
	v_mad_u64_u32 v[0:1], s[14:15], v3, s16, v[0:1]
	s_cbranch_scc1 .LBB149_217
.LBB149_218:
	s_cbranch_execnz .LBB149_221
.LBB149_219:
	s_waitcnt lgkmcnt(0)
	v_mul_hi_u32 v0, s1, v12
	v_add_u32_e32 v0, v12, v0
	v_lshrrev_b32_e32 v1, s2, v0
	v_mul_lo_u32 v0, v1, s0
	v_sub_u32_e32 v0, v12, v0
	s_andn2_b64 vcc, exec, s[34:35]
	v_mul_lo_u32 v0, v0, s28
	s_cbranch_vccnz .LBB149_221
; %bb.220:
	v_mul_hi_u32 v2, s30, v1
	v_add_u32_e32 v2, v1, v2
	v_lshrrev_b32_e32 v2, s31, v2
	v_mul_lo_u32 v2, v2, s3
	v_sub_u32_e32 v1, v1, v2
	v_mad_u64_u32 v[0:1], s[8:9], v1, s29, v[0:1]
.LBB149_221:
	s_waitcnt lgkmcnt(0)
	v_mov_b32_e32 v1, s47
	v_add_u32_e32 v12, 0x80, v12
	global_store_byte v0, v1, s[26:27]
	s_or_b64 exec, exec, s[40:41]
	v_cmp_gt_i32_e32 vcc, s48, v12
	s_and_saveexec_b64 s[40:41], vcc
	s_cbranch_execz .LBB149_212
.LBB149_222:
	s_andn2_b64 vcc, exec, s[6:7]
	s_cbranch_vccnz .LBB149_227
; %bb.223:
	s_andn2_b64 vcc, exec, s[38:39]
	s_cbranch_vccnz .LBB149_228
; %bb.224:
	s_add_i32 s49, s49, 1
	s_mov_b32 s42, 0
	s_cmp_eq_u32 s46, 2
	v_mov_b32_e32 v0, 0
	s_cbranch_scc1 .LBB149_229
; %bb.225:
	s_and_b32 s42, s49, 28
	s_mov_b32 s43, 0
	v_mov_b32_e32 v0, 0
	s_mov_b64 s[38:39], s[4:5]
	v_mov_b32_e32 v2, v12
.LBB149_226:                            ; =>This Inner Loop Header: Depth=1
	s_load_dwordx8 s[8:15], s[38:39], 0x4
	s_load_dwordx4 s[16:19], s[38:39], 0x24
	s_load_dwordx4 s[20:23], s[36:37], 0x0
	s_add_u32 s38, s38, 48
	s_addc_u32 s39, s39, 0
	s_waitcnt lgkmcnt(0)
	v_mul_hi_u32 v1, s9, v2
	v_add_u32_e32 v1, v2, v1
	v_lshrrev_b32_e32 v1, s10, v1
	v_mul_lo_u32 v3, v1, s8
	v_mul_hi_u32 v4, s12, v1
	v_sub_u32_e32 v2, v2, v3
	v_add_u32_e32 v3, v1, v4
	v_lshrrev_b32_e32 v3, s13, v3
	v_mul_lo_u32 v4, v3, s11
	v_mul_hi_u32 v5, s15, v3
	v_sub_u32_e32 v1, v1, v4
	v_add_u32_e32 v4, v3, v5
	v_mul_lo_u32 v2, v2, s20
	v_mul_lo_u32 v1, v1, s21
	v_lshrrev_b32_e32 v4, s16, v4
	v_add3_u32 v0, v2, v0, v1
	v_mul_hi_u32 v2, s18, v4
	v_add_u32_e32 v2, v4, v2
	v_mul_lo_u32 v1, v4, s14
	v_lshrrev_b32_e32 v2, s19, v2
	s_add_i32 s43, s43, 4
	v_sub_u32_e32 v1, v3, v1
	v_mul_lo_u32 v3, v2, s17
	s_add_u32 s36, s36, 16
	v_sub_u32_e32 v3, v4, v3
	s_addc_u32 s37, s37, 0
	v_mul_lo_u32 v1, v1, s22
	v_mul_lo_u32 v3, v3, s23
	s_cmp_eq_u32 s42, s43
	v_add3_u32 v0, v1, v0, v3
	s_cbranch_scc0 .LBB149_226
	s_branch .LBB149_230
.LBB149_227:
                                        ; implicit-def: $vgpr0
	s_branch .LBB149_234
.LBB149_228:
	v_mov_b32_e32 v0, 0
	s_branch .LBB149_233
.LBB149_229:
	v_mov_b32_e32 v2, v12
.LBB149_230:
	s_and_b32 s12, s49, 3
	s_cmp_eq_u32 s12, 0
	s_cbranch_scc1 .LBB149_233
; %bb.231:
	s_lshl_b32 s8, s42, 2
	s_add_u32 s8, s8, s4
	s_addc_u32 s9, s5, 0
	s_add_u32 s8, s8, 0xc4
	s_addc_u32 s9, s9, 0
	s_mul_i32 s10, s42, 12
	s_add_u32 s10, s4, s10
	s_addc_u32 s11, s5, 0
.LBB149_232:                            ; =>This Inner Loop Header: Depth=1
	s_load_dwordx2 s[14:15], s[10:11], 0x4
	s_load_dword s13, s[10:11], 0xc
	s_load_dword s16, s[8:9], 0x0
	s_add_u32 s10, s10, 12
	s_addc_u32 s11, s11, 0
	s_waitcnt lgkmcnt(0)
	v_mul_hi_u32 v1, s15, v2
	v_add_u32_e32 v1, v2, v1
	v_lshrrev_b32_e32 v1, s13, v1
	s_add_u32 s8, s8, 4
	v_mul_lo_u32 v3, v1, s14
	s_addc_u32 s9, s9, 0
	s_add_i32 s12, s12, -1
	v_sub_u32_e32 v3, v2, v3
	s_cmp_lg_u32 s12, 0
	v_mov_b32_e32 v2, v1
	v_mad_u64_u32 v[0:1], s[14:15], v3, s16, v[0:1]
	s_cbranch_scc1 .LBB149_232
.LBB149_233:
	s_cbranch_execnz .LBB149_236
.LBB149_234:
	s_waitcnt lgkmcnt(0)
	v_mul_hi_u32 v0, s1, v12
	v_add_u32_e32 v0, v12, v0
	v_lshrrev_b32_e32 v1, s2, v0
	v_mul_lo_u32 v0, v1, s0
	v_sub_u32_e32 v0, v12, v0
	s_andn2_b64 vcc, exec, s[34:35]
	v_mul_lo_u32 v0, v0, s28
	s_cbranch_vccnz .LBB149_236
; %bb.235:
	v_mul_hi_u32 v2, s30, v1
	v_add_u32_e32 v2, v1, v2
	v_lshrrev_b32_e32 v2, s31, v2
	v_mul_lo_u32 v2, v2, s3
	v_sub_u32_e32 v1, v1, v2
	v_mad_u64_u32 v[0:1], s[0:1], v1, s29, v[0:1]
.LBB149_236:
	s_waitcnt lgkmcnt(0)
	v_mov_b32_e32 v1, s47
	global_store_byte v0, v1, s[26:27]
	s_or_b64 exec, exec, s[40:41]
                                        ; implicit-def: $vgpr16
                                        ; implicit-def: $vgpr12
	s_andn2_saveexec_b64 s[0:1], s[24:25]
	s_cbranch_execz .LBB149_213
	s_branch .LBB149_8
	.section	.rodata,"a",@progbits
	.p2align	6, 0x0
	.amdhsa_kernel _ZN2at6native32elementwise_kernel_manual_unrollILi128ELi8EZNS0_22gpu_kernel_impl_nocastINS0_11FillFunctorIN3c1014Float8_e8m0fnuEEEEEvRNS_18TensorIteratorBaseERKT_EUlibE_EEviT1_
		.amdhsa_group_segment_fixed_size 0
		.amdhsa_private_segment_fixed_size 0
		.amdhsa_kernarg_size 288
		.amdhsa_user_sgpr_count 6
		.amdhsa_user_sgpr_private_segment_buffer 1
		.amdhsa_user_sgpr_dispatch_ptr 0
		.amdhsa_user_sgpr_queue_ptr 0
		.amdhsa_user_sgpr_kernarg_segment_ptr 1
		.amdhsa_user_sgpr_dispatch_id 0
		.amdhsa_user_sgpr_flat_scratch_init 0
		.amdhsa_user_sgpr_kernarg_preload_length 0
		.amdhsa_user_sgpr_kernarg_preload_offset 0
		.amdhsa_user_sgpr_private_segment_size 0
		.amdhsa_uses_dynamic_stack 0
		.amdhsa_system_sgpr_private_segment_wavefront_offset 0
		.amdhsa_system_sgpr_workgroup_id_x 1
		.amdhsa_system_sgpr_workgroup_id_y 0
		.amdhsa_system_sgpr_workgroup_id_z 0
		.amdhsa_system_sgpr_workgroup_info 0
		.amdhsa_system_vgpr_workitem_id 0
		.amdhsa_next_free_vgpr 17
		.amdhsa_next_free_sgpr 53
		.amdhsa_accum_offset 20
		.amdhsa_reserve_vcc 1
		.amdhsa_reserve_flat_scratch 0
		.amdhsa_float_round_mode_32 0
		.amdhsa_float_round_mode_16_64 0
		.amdhsa_float_denorm_mode_32 3
		.amdhsa_float_denorm_mode_16_64 3
		.amdhsa_dx10_clamp 1
		.amdhsa_ieee_mode 1
		.amdhsa_fp16_overflow 0
		.amdhsa_tg_split 0
		.amdhsa_exception_fp_ieee_invalid_op 0
		.amdhsa_exception_fp_denorm_src 0
		.amdhsa_exception_fp_ieee_div_zero 0
		.amdhsa_exception_fp_ieee_overflow 0
		.amdhsa_exception_fp_ieee_underflow 0
		.amdhsa_exception_fp_ieee_inexact 0
		.amdhsa_exception_int_div_zero 0
	.end_amdhsa_kernel
	.section	.text._ZN2at6native32elementwise_kernel_manual_unrollILi128ELi8EZNS0_22gpu_kernel_impl_nocastINS0_11FillFunctorIN3c1014Float8_e8m0fnuEEEEEvRNS_18TensorIteratorBaseERKT_EUlibE_EEviT1_,"axG",@progbits,_ZN2at6native32elementwise_kernel_manual_unrollILi128ELi8EZNS0_22gpu_kernel_impl_nocastINS0_11FillFunctorIN3c1014Float8_e8m0fnuEEEEEvRNS_18TensorIteratorBaseERKT_EUlibE_EEviT1_,comdat
.Lfunc_end149:
	.size	_ZN2at6native32elementwise_kernel_manual_unrollILi128ELi8EZNS0_22gpu_kernel_impl_nocastINS0_11FillFunctorIN3c1014Float8_e8m0fnuEEEEEvRNS_18TensorIteratorBaseERKT_EUlibE_EEviT1_, .Lfunc_end149-_ZN2at6native32elementwise_kernel_manual_unrollILi128ELi8EZNS0_22gpu_kernel_impl_nocastINS0_11FillFunctorIN3c1014Float8_e8m0fnuEEEEEvRNS_18TensorIteratorBaseERKT_EUlibE_EEviT1_
                                        ; -- End function
	.section	.AMDGPU.csdata,"",@progbits
; Kernel info:
; codeLenInByte = 9664
; NumSgprs: 57
; NumVgprs: 17
; NumAgprs: 0
; TotalNumVgprs: 17
; ScratchSize: 0
; MemoryBound: 0
; FloatMode: 240
; IeeeMode: 1
; LDSByteSize: 0 bytes/workgroup (compile time only)
; SGPRBlocks: 7
; VGPRBlocks: 2
; NumSGPRsForWavesPerEU: 57
; NumVGPRsForWavesPerEU: 17
; AccumOffset: 20
; Occupancy: 8
; WaveLimiterHint : 1
; COMPUTE_PGM_RSRC2:SCRATCH_EN: 0
; COMPUTE_PGM_RSRC2:USER_SGPR: 6
; COMPUTE_PGM_RSRC2:TRAP_HANDLER: 0
; COMPUTE_PGM_RSRC2:TGID_X_EN: 1
; COMPUTE_PGM_RSRC2:TGID_Y_EN: 0
; COMPUTE_PGM_RSRC2:TGID_Z_EN: 0
; COMPUTE_PGM_RSRC2:TIDIG_COMP_CNT: 0
; COMPUTE_PGM_RSRC3_GFX90A:ACCUM_OFFSET: 4
; COMPUTE_PGM_RSRC3_GFX90A:TG_SPLIT: 0
	.section	.text._ZN2at6native32elementwise_kernel_manual_unrollILi128ELi4EZNS0_15gpu_kernel_implINS0_11FillFunctorIN3c1014Float8_e8m0fnuEEEEEvRNS_18TensorIteratorBaseERKT_EUlibE_EEviT1_,"axG",@progbits,_ZN2at6native32elementwise_kernel_manual_unrollILi128ELi4EZNS0_15gpu_kernel_implINS0_11FillFunctorIN3c1014Float8_e8m0fnuEEEEEvRNS_18TensorIteratorBaseERKT_EUlibE_EEviT1_,comdat
	.protected	_ZN2at6native32elementwise_kernel_manual_unrollILi128ELi4EZNS0_15gpu_kernel_implINS0_11FillFunctorIN3c1014Float8_e8m0fnuEEEEEvRNS_18TensorIteratorBaseERKT_EUlibE_EEviT1_ ; -- Begin function _ZN2at6native32elementwise_kernel_manual_unrollILi128ELi4EZNS0_15gpu_kernel_implINS0_11FillFunctorIN3c1014Float8_e8m0fnuEEEEEvRNS_18TensorIteratorBaseERKT_EUlibE_EEviT1_
	.globl	_ZN2at6native32elementwise_kernel_manual_unrollILi128ELi4EZNS0_15gpu_kernel_implINS0_11FillFunctorIN3c1014Float8_e8m0fnuEEEEEvRNS_18TensorIteratorBaseERKT_EUlibE_EEviT1_
	.p2align	8
	.type	_ZN2at6native32elementwise_kernel_manual_unrollILi128ELi4EZNS0_15gpu_kernel_implINS0_11FillFunctorIN3c1014Float8_e8m0fnuEEEEEvRNS_18TensorIteratorBaseERKT_EUlibE_EEviT1_,@function
_ZN2at6native32elementwise_kernel_manual_unrollILi128ELi4EZNS0_15gpu_kernel_implINS0_11FillFunctorIN3c1014Float8_e8m0fnuEEEEEvRNS_18TensorIteratorBaseERKT_EUlibE_EEviT1_: ; @_ZN2at6native32elementwise_kernel_manual_unrollILi128ELi4EZNS0_15gpu_kernel_implINS0_11FillFunctorIN3c1014Float8_e8m0fnuEEEEEvRNS_18TensorIteratorBaseERKT_EUlibE_EEviT1_
; %bb.0:
	s_load_dwordx4 s[20:23], s[4:5], 0x8
	s_load_dword s46, s[4:5], 0x0
	v_lshl_or_b32 v24, s6, 9, v0
	v_or_b32_e32 v0, 0x180, v24
	s_mov_b64 s[24:25], 0
	s_waitcnt lgkmcnt(0)
	v_lshrrev_b16_e64 v10, 8, s23
	v_cmp_le_i32_e32 vcc, s46, v0
	s_mov_b64 s[4:5], 0
	s_and_saveexec_b64 s[0:1], vcc
	s_xor_b64 s[26:27], exec, s[0:1]
	s_cbranch_execz .LBB150_404
; %bb.1:
	s_and_b32 s0, s23, 0xff
	s_lshl_b32 s34, s0, 23
	v_trunc_f32_e32 v2, s34
	v_mul_f32_e32 v1, 0x2f800000, v2
	v_floor_f32_e32 v1, v1
	v_mov_b32_e32 v3, v2
	v_fmac_f32_e32 v3, 0xcf800000, v1
	v_cvt_u32_f32_e32 v1, v1
	v_cvt_u32_f32_e32 v3, v3
	;; [unrolled: 1-line block ×3, first 2 shown]
	v_mov_b32_e32 v0, 0
	v_cmp_eq_u16_sdwa vcc, s23, v0 src0_sel:BYTE_0 src1_sel:DWORD
	v_cndmask_b32_e64 v7, v1, 0, vcc
	v_mov_b32_e32 v1, 0xff
	v_cndmask_b32_e64 v6, v3, 0, vcc
	v_cndmask_b32_e64 v23, v4, 0, vcc
	v_mov_b32_e32 v3, s34
	v_mov_b32_e32 v4, 0x7f800001
	v_cmp_eq_u16_sdwa s[16:17], s23, v1 src0_sel:BYTE_0 src1_sel:DWORD
	s_add_i32 s0, s34, 0x487ffff
	v_cndmask_b32_e64 v1, |v3|, v4, s[16:17]
	v_mov_b32_e32 v5, 0x400000
	s_lshr_b32 s2, s0, 20
	v_cndmask_b32_e32 v1, v1, v5, vcc
	s_mov_b32 s0, 0x43800000
	v_cmp_gt_u32_e64 s[14:15], s0, v1
	s_mov_b32 s0, 0x3bffffff
	v_cmp_lt_u32_e64 s[12:13], s0, v1
	s_and_b64 s[0:1], s[16:17], exec
	s_cselect_b32 s2, 64, s2
	s_and_b64 s[0:1], vcc, exec
	s_cselect_b32 s53, 0x4c, s2
	s_add_i32 s0, s34, 0x88fffff
	s_mov_b32 s2, 0x47800000
	s_lshr_b32 s4, s0, 21
	v_cmp_gt_u32_e64 s[10:11], s2, v1
	s_mov_b32 s2, 0x37ffffff
	v_cmp_lt_u32_e64 s[8:9], s2, v1
	s_and_b64 s[2:3], s[16:17], exec
	s_cselect_b32 s4, 64, s4
	s_and_b64 s[2:3], vcc, exec
	s_cselect_b32 s52, 0x46, s4
	s_add_i32 s2, s34, 0x407ffff
	s_lshr_b32 s18, s2, 20
	s_mov_b32 s2, 0x43efffff
	v_cmp_lt_u32_e64 s[4:5], s2, v1
	s_mov_b32 s2, 0x3c800000
	v_cmp_gt_u32_e64 s[6:7], s2, v1
	s_and_b64 s[2:3], s[16:17], exec
	s_cselect_b32 s18, 56, s18
	s_and_b64 s[2:3], vcc, exec
	s_cselect_b32 s51, 0x44, s18
	s_add_i32 s2, s34, 0x80fffff
	s_lshr_b32 s33, s2, 21
	s_and_b64 s[18:19], s[16:17], exec
	s_cselect_b32 s33, 60, s33
	s_and_b64 s[18:19], vcc, exec
	v_add_f32_e32 v22, 0x46000000, v1
	v_add_f32_e32 v20, 0x42800000, v1
	s_mov_b32 s18, 0x7f800000
	v_cmp_ne_u32_sdwa s[30:31], v22, v0 src0_sel:BYTE_0 src1_sel:DWORD
	v_cmp_ne_u32_sdwa s[28:29], v20, v0 src0_sel:BYTE_0 src1_sel:DWORD
	v_mov_b32_e32 v0, 0x7e
	v_mov_b32_e32 v8, 0x7f
	v_cmp_lt_u32_e64 s[18:19], s18, v1
	v_cndmask_b32_e64 v21, v0, v8, s[18:19]
	v_mov_b32_e32 v0, 0x7c
	v_cndmask_b32_e64 v18, v0, v8, s[18:19]
	v_cndmask_b32_e64 v0, v3, v4, s[16:17]
	v_cndmask_b32_e32 v14, v0, v5, vcc
	s_mov_b32 s0, 0x477fffff
	s_mov_b32 s2, 0x38800000
	v_add_u32_e32 v0, 0x7fff, v14
	v_cmp_lt_u32_e64 s[0:1], s0, v1
	v_add_f32_e32 v19, 0x46800000, v1
	v_cmp_gt_u32_e64 s[2:3], s2, v1
	v_add_f32_e32 v17, 0x43000000, v1
	v_lshrrev_b32_e32 v0, 16, v0
	v_mov_b32_e32 v1, 0x7fc0
	v_cmp_o_f32_e64 s[18:19], v14, v14
	v_cndmask_b32_e64 v16, v1, v0, s[18:19]
	v_cvt_f64_f32_e32 v[0:1], s34
	v_bfrev_b32_e32 v3, 4
	v_cndmask_b32_e64 v0, v0, v3, s[16:17]
	v_mov_b32_e32 v3, 0x7ff80000
	v_cndmask_b32_e64 v1, v1, v3, s[16:17]
	v_bfrev_b32_e32 v3, 28
	v_cndmask_b32_e32 v1, v1, v3, vcc
	v_cvt_f16_f32_e32 v3, s34
	s_mov_b32 s35, 0x2f800000
	v_mov_b32_e32 v4, 0x7e00
	s_mov_b32 s36, 0xcf800000
	v_cndmask_b32_e64 v3, v3, v4, s[16:17]
	v_mul_f32_e64 v4, |v2|, s35
	v_floor_f32_e32 v4, v4
	v_fma_f32 v5, v4, s36, |v2|
	v_cvt_u32_f32_e32 v5, v5
	v_cvt_u32_f32_e32 v4, v4
	v_ashrrev_i32_e32 v2, 31, v2
	v_cvt_i32_f32_e32 v8, s34
	v_cndmask_b32_e64 v15, v3, 0, vcc
	v_xor_b32_e32 v3, v5, v2
	s_cselect_b32 s50, 0x42, s33
	s_and_b64 s[18:19], s[16:17], exec
	v_xor_b32_e32 v4, v4, v2
	v_sub_co_u32_e64 v3, s[16:17], v3, v2
	v_subb_co_u32_e64 v2, s[16:17], v4, v2, s[16:17]
	v_cndmask_b32_e64 v5, v2, 0, vcc
	v_and_b32_e32 v2, 0xff, v8
	s_cselect_b32 s33, 0x7f800001, s34
	s_and_b64 s[18:19], vcc, exec
	v_cndmask_b32_e64 v12, v2, 0, vcc
	v_and_b32_e32 v2, 0xff, v3
	v_cndmask_b32_e64 v0, v0, 0, vcc
	s_cselect_b32 s33, 0x400000, s33
	v_cndmask_b32_e64 v4, v3, 0, vcc
	v_cndmask_b32_e64 v13, v8, 0, vcc
	;; [unrolled: 1-line block ×3, first 2 shown]
	v_cmp_gt_i32_e32 vcc, s46, v24
	s_mov_b64 s[34:35], -1
	s_mov_b64 s[36:37], 0
	s_mov_b64 s[16:17], 0
	s_and_saveexec_b64 s[18:19], vcc
	s_cbranch_execz .LBB150_100
; %bb.2:
	v_mul_lo_u32 v2, v24, s22
	v_ashrrev_i32_e32 v3, 31, v2
	v_mov_b32_e32 v9, s21
	v_add_co_u32_e32 v8, vcc, s20, v2
	v_addc_co_u32_e32 v9, vcc, v9, v3, vcc
	v_cmp_gt_i16_e32 vcc, 11, v10
	s_cbranch_vccnz .LBB150_9
; %bb.3:
	v_cmp_lt_i16_e32 vcc, 25, v10
	s_cbranch_vccz .LBB150_12
; %bb.4:
	v_cmp_lt_i16_e32 vcc, 28, v10
	s_cbranch_vccz .LBB150_13
	;; [unrolled: 3-line block ×4, first 2 shown]
; %bb.7:
	v_cmp_eq_u16_e32 vcc, 46, v10
	s_mov_b64 s[38:39], 0
	s_mov_b64 s[16:17], -1
	s_mov_b64 s[34:35], 0
	s_cbranch_vccz .LBB150_16
; %bb.8:
	global_store_dword v[8:9], v16, off
	s_mov_b64 s[34:35], -1
	s_mov_b64 s[16:17], 0
	s_branch .LBB150_16
.LBB150_9:
	s_mov_b64 s[34:35], 0
	s_cbranch_execnz .LBB150_60
.LBB150_10:
	s_andn2_b64 vcc, exec, s[34:35]
	s_cbranch_vccnz .LBB150_98
.LBB150_11:
	v_add_u32_e32 v24, 0x80, v24
	s_mov_b64 s[34:35], -1
	s_branch .LBB150_99
.LBB150_12:
	s_mov_b64 s[34:35], 0
	s_cbranch_execnz .LBB150_38
	s_branch .LBB150_59
.LBB150_13:
	s_mov_b64 s[38:39], -1
	s_mov_b64 s[34:35], 0
	s_branch .LBB150_24
.LBB150_14:
	s_mov_b64 s[38:39], -1
	s_mov_b64 s[34:35], 0
	s_branch .LBB150_20
.LBB150_15:
	s_mov_b64 s[38:39], -1
	s_mov_b64 s[34:35], 0
.LBB150_16:
	s_and_b64 vcc, exec, s[38:39]
	s_cbranch_vccz .LBB150_19
; %bb.17:
	v_cmp_eq_u16_e32 vcc, 44, v10
	s_mov_b64 s[16:17], -1
	s_cbranch_vccz .LBB150_19
; %bb.18:
	v_mov_b32_e32 v2, s23
	global_store_byte v[8:9], v2, off
	s_mov_b64 s[34:35], -1
	s_mov_b64 s[16:17], 0
.LBB150_19:
	s_mov_b64 s[38:39], 0
.LBB150_20:
	s_and_b64 vcc, exec, s[38:39]
	s_cbranch_vccz .LBB150_23
; %bb.21:
	v_cmp_eq_u16_e32 vcc, 29, v10
	s_mov_b64 s[16:17], -1
	s_cbranch_vccz .LBB150_23
; %bb.22:
	global_store_dwordx2 v[8:9], v[6:7], off
	s_mov_b64 s[34:35], -1
	s_mov_b64 s[16:17], 0
.LBB150_23:
	s_mov_b64 s[38:39], 0
.LBB150_24:
	s_and_b64 vcc, exec, s[38:39]
	s_cbranch_vccz .LBB150_37
; %bb.25:
	v_cmp_gt_i16_e32 vcc, 27, v10
	s_mov_b64 s[34:35], -1
	s_cbranch_vccnz .LBB150_31
; %bb.26:
	v_cmp_lt_i16_e32 vcc, 27, v10
	s_cbranch_vccz .LBB150_28
; %bb.27:
	s_mov_b64 s[34:35], 0
	global_store_dword v[8:9], v23, off
.LBB150_28:
	s_andn2_b64 vcc, exec, s[34:35]
	s_cbranch_vccnz .LBB150_30
; %bb.29:
	global_store_short v[8:9], v23, off
.LBB150_30:
	s_mov_b64 s[34:35], 0
.LBB150_31:
	s_andn2_b64 vcc, exec, s[34:35]
	s_cbranch_vccnz .LBB150_36
; %bb.32:
	s_andn2_b64 vcc, exec, s[14:15]
	v_mov_b32_e32 v2, 0x80
	s_cbranch_vccnz .LBB150_35
; %bb.33:
	s_or_b64 s[34:35], s[12:13], s[30:31]
	s_andn2_b64 vcc, exec, s[34:35]
	v_mov_b32_e32 v2, 0
	s_cbranch_vccnz .LBB150_35
; %bb.34:
	v_mov_b32_e32 v2, s53
	v_cndmask_b32_e64 v2, v22, v2, s[12:13]
.LBB150_35:
	global_store_byte v[8:9], v2, off
.LBB150_36:
	s_mov_b64 s[34:35], -1
.LBB150_37:
	s_branch .LBB150_59
.LBB150_38:
	v_cmp_lt_i16_e32 vcc, 22, v10
	s_mov_b64 s[38:39], -1
	s_cbranch_vccz .LBB150_51
; %bb.39:
	v_cmp_gt_i16_e32 vcc, 24, v10
	s_mov_b64 s[34:35], -1
	s_cbranch_vccnz .LBB150_48
; %bb.40:
	v_cmp_lt_i16_e32 vcc, 24, v10
	s_cbranch_vccz .LBB150_45
; %bb.41:
	s_andn2_b64 vcc, exec, s[10:11]
	v_mov_b32_e32 v2, 0x80
	s_cbranch_vccnz .LBB150_44
; %bb.42:
	s_or_b64 s[34:35], s[8:9], s[28:29]
	s_andn2_b64 vcc, exec, s[34:35]
	v_mov_b32_e32 v2, 0
	s_cbranch_vccnz .LBB150_44
; %bb.43:
	v_mov_b32_e32 v2, s52
	v_cndmask_b32_e64 v2, v20, v2, s[8:9]
.LBB150_44:
	s_mov_b64 s[34:35], 0
	global_store_byte v[8:9], v2, off
.LBB150_45:
	s_and_b64 vcc, exec, s[34:35]
	s_cbranch_vccz .LBB150_47
; %bb.46:
	v_mov_b32_e32 v2, s51
	v_cndmask_b32_e64 v2, v2, v19, s[6:7]
	v_cndmask_b32_e64 v2, v2, v21, s[4:5]
	global_store_byte v[8:9], v2, off
.LBB150_47:
	s_mov_b64 s[34:35], 0
.LBB150_48:
	s_andn2_b64 vcc, exec, s[34:35]
	s_cbranch_vccnz .LBB150_50
; %bb.49:
	v_mov_b32_e32 v2, s50
	v_cndmask_b32_e64 v2, v2, v17, s[2:3]
	v_cndmask_b32_e64 v2, v2, v18, s[0:1]
	global_store_byte v[8:9], v2, off
.LBB150_50:
	s_mov_b64 s[38:39], 0
	s_mov_b64 s[34:35], -1
.LBB150_51:
	s_andn2_b64 vcc, exec, s[38:39]
	s_cbranch_vccnz .LBB150_59
; %bb.52:
	v_cmp_lt_i16_e32 vcc, 14, v10
	s_mov_b64 s[38:39], -1
	s_cbranch_vccz .LBB150_56
; %bb.53:
	v_cmp_eq_u16_e32 vcc, 15, v10
	s_mov_b64 s[16:17], -1
	s_cbranch_vccz .LBB150_55
; %bb.54:
	global_store_short v[8:9], v16, off
	s_mov_b64 s[34:35], -1
	s_mov_b64 s[16:17], 0
.LBB150_55:
	s_mov_b64 s[38:39], 0
.LBB150_56:
	s_and_b64 vcc, exec, s[38:39]
	s_cbranch_vccz .LBB150_59
; %bb.57:
	v_cmp_eq_u16_e32 vcc, 11, v10
	s_mov_b64 s[16:17], -1
	s_cbranch_vccz .LBB150_59
; %bb.58:
	v_mov_b32_e32 v2, 1
	s_mov_b64 s[34:35], -1
	s_mov_b64 s[16:17], 0
	global_store_byte v[8:9], v2, off
.LBB150_59:
	s_branch .LBB150_10
.LBB150_60:
	v_cmp_gt_i16_e32 vcc, 5, v10
	s_mov_b64 s[34:35], -1
	s_cbranch_vccnz .LBB150_81
; %bb.61:
	v_cmp_gt_i16_e32 vcc, 8, v10
	s_cbranch_vccnz .LBB150_71
; %bb.62:
	v_cmp_gt_i16_e32 vcc, 9, v10
	s_cbranch_vccnz .LBB150_68
; %bb.63:
	v_cmp_lt_i16_e32 vcc, 9, v10
	s_cbranch_vccz .LBB150_65
; %bb.64:
	v_mov_b32_e32 v2, 0
	v_mov_b32_e32 v3, v2
	global_store_dwordx4 v[8:9], v[0:3], off
	s_mov_b64 s[34:35], 0
.LBB150_65:
	s_andn2_b64 vcc, exec, s[34:35]
	s_cbranch_vccnz .LBB150_67
; %bb.66:
	v_mov_b32_e32 v2, s33
	v_mov_b32_e32 v3, 0
	global_store_dwordx2 v[8:9], v[2:3], off
.LBB150_67:
	s_mov_b64 s[34:35], 0
.LBB150_68:
	s_andn2_b64 vcc, exec, s[34:35]
	s_cbranch_vccnz .LBB150_70
; %bb.69:
	global_store_dword v[8:9], v15, off
.LBB150_70:
	s_mov_b64 s[34:35], 0
.LBB150_71:
	s_andn2_b64 vcc, exec, s[34:35]
	s_cbranch_vccnz .LBB150_80
; %bb.72:
	v_cmp_gt_i16_e32 vcc, 6, v10
	s_mov_b64 s[34:35], -1
	s_cbranch_vccnz .LBB150_78
; %bb.73:
	v_cmp_lt_i16_e32 vcc, 6, v10
	s_cbranch_vccz .LBB150_75
; %bb.74:
	global_store_dwordx2 v[8:9], v[0:1], off
	s_mov_b64 s[34:35], 0
.LBB150_75:
	s_andn2_b64 vcc, exec, s[34:35]
	s_cbranch_vccnz .LBB150_77
; %bb.76:
	global_store_dword v[8:9], v14, off
.LBB150_77:
	s_mov_b64 s[34:35], 0
.LBB150_78:
	s_andn2_b64 vcc, exec, s[34:35]
	s_cbranch_vccnz .LBB150_80
; %bb.79:
	global_store_short v[8:9], v15, off
.LBB150_80:
	s_mov_b64 s[34:35], 0
.LBB150_81:
	s_andn2_b64 vcc, exec, s[34:35]
	s_cbranch_vccnz .LBB150_97
; %bb.82:
	v_cmp_gt_i16_e32 vcc, 2, v10
	s_mov_b64 s[34:35], -1
	s_cbranch_vccnz .LBB150_92
; %bb.83:
	v_cmp_gt_i16_e32 vcc, 3, v10
	s_cbranch_vccnz .LBB150_89
; %bb.84:
	v_cmp_lt_i16_e32 vcc, 3, v10
	s_cbranch_vccz .LBB150_86
; %bb.85:
	global_store_dwordx2 v[8:9], v[4:5], off
	s_mov_b64 s[34:35], 0
.LBB150_86:
	s_andn2_b64 vcc, exec, s[34:35]
	s_cbranch_vccnz .LBB150_88
; %bb.87:
	global_store_dword v[8:9], v13, off
.LBB150_88:
	s_mov_b64 s[34:35], 0
.LBB150_89:
	s_andn2_b64 vcc, exec, s[34:35]
	s_cbranch_vccnz .LBB150_91
; %bb.90:
	global_store_short v[8:9], v13, off
.LBB150_91:
	s_mov_b64 s[34:35], 0
.LBB150_92:
	s_andn2_b64 vcc, exec, s[34:35]
	s_cbranch_vccnz .LBB150_97
; %bb.93:
	v_cmp_lt_i16_e32 vcc, 0, v10
	s_mov_b64 s[34:35], -1
	s_cbranch_vccz .LBB150_95
; %bb.94:
	global_store_byte v[8:9], v12, off
	s_mov_b64 s[34:35], 0
.LBB150_95:
	s_andn2_b64 vcc, exec, s[34:35]
	s_cbranch_vccnz .LBB150_97
; %bb.96:
	global_store_byte v[8:9], v11, off
.LBB150_97:
	s_branch .LBB150_11
.LBB150_98:
	s_mov_b64 s[34:35], 0
                                        ; implicit-def: $vgpr24
.LBB150_99:
	s_and_b64 s[16:17], s[16:17], exec
	s_orn2_b64 s[34:35], s[34:35], exec
.LBB150_100:
	s_or_b64 exec, exec, s[18:19]
	s_mov_b64 s[38:39], 0
                                        ; implicit-def: $vgpr8_vgpr9
	s_and_saveexec_b64 s[18:19], s[34:35]
	s_cbranch_execz .LBB150_109
; %bb.101:
	v_cmp_gt_i32_e32 vcc, s46, v24
	s_mov_b64 s[40:41], -1
	s_mov_b64 s[34:35], s[16:17]
	s_and_saveexec_b64 s[36:37], vcc
	s_cbranch_execz .LBB150_204
; %bb.102:
	v_mul_lo_u32 v2, v24, s22
	v_ashrrev_i32_e32 v3, 31, v2
	v_mov_b32_e32 v9, s21
	v_add_co_u32_e32 v8, vcc, s20, v2
	v_addc_co_u32_e32 v9, vcc, v9, v3, vcc
	v_cmp_gt_i16_e32 vcc, 11, v10
	s_cbranch_vccnz .LBB150_112
; %bb.103:
	v_cmp_lt_i16_e32 vcc, 25, v10
	s_cbranch_vccz .LBB150_115
; %bb.104:
	v_cmp_lt_i16_e32 vcc, 28, v10
	s_cbranch_vccz .LBB150_116
; %bb.105:
	v_cmp_lt_i16_e32 vcc, 43, v10
	s_cbranch_vccz .LBB150_117
; %bb.106:
	v_cmp_lt_i16_e32 vcc, 45, v10
	s_cbranch_vccz .LBB150_118
; %bb.107:
	v_cmp_eq_u16_e32 vcc, 46, v10
	s_mov_b64 s[40:41], 0
	s_mov_b64 s[34:35], -1
	s_cbranch_vccz .LBB150_119
; %bb.108:
	global_store_dword v[8:9], v16, off
	s_mov_b64 s[38:39], -1
	s_mov_b64 s[34:35], 0
	s_branch .LBB150_119
.LBB150_109:
	s_or_b64 exec, exec, s[18:19]
	s_mov_b64 s[0:1], 0
	s_and_saveexec_b64 s[2:3], s[16:17]
	s_cbranch_execnz .LBB150_364
.LBB150_110:
	s_or_b64 exec, exec, s[2:3]
	s_and_saveexec_b64 s[2:3], s[36:37]
	s_xor_b64 s[2:3], exec, s[2:3]
	s_cbranch_execz .LBB150_365
.LBB150_111:
	v_mov_b32_e32 v2, 1
	global_store_byte v[8:9], v2, off
	s_or_b64 exec, exec, s[2:3]
	s_and_saveexec_b64 s[2:3], s[38:39]
	s_xor_b64 s[2:3], exec, s[2:3]
	s_cbranch_execz .LBB150_403
	s_branch .LBB150_366
.LBB150_112:
	s_mov_b64 s[34:35], s[16:17]
	s_and_b64 vcc, exec, s[40:41]
	s_cbranch_vccnz .LBB150_164
.LBB150_113:
	s_andn2_b64 vcc, exec, s[38:39]
	s_cbranch_vccnz .LBB150_202
.LBB150_114:
	v_add_u32_e32 v24, 0x80, v24
	s_mov_b64 s[38:39], -1
	s_branch .LBB150_203
.LBB150_115:
	s_mov_b64 s[34:35], s[16:17]
	s_branch .LBB150_141
.LBB150_116:
	s_mov_b64 s[34:35], s[16:17]
	s_branch .LBB150_127
.LBB150_117:
	s_mov_b64 s[34:35], s[16:17]
	s_branch .LBB150_123
.LBB150_118:
	s_mov_b64 s[34:35], s[16:17]
.LBB150_119:
	s_and_b64 vcc, exec, s[40:41]
	s_cbranch_vccz .LBB150_122
; %bb.120:
	v_cmp_eq_u16_e32 vcc, 44, v10
	s_mov_b64 s[34:35], -1
	s_cbranch_vccz .LBB150_122
; %bb.121:
	v_mov_b32_e32 v2, s23
	s_mov_b64 s[38:39], -1
	s_mov_b64 s[34:35], 0
	global_store_byte v[8:9], v2, off
.LBB150_122:
	s_mov_b64 s[40:41], 0
.LBB150_123:
	s_and_b64 vcc, exec, s[40:41]
	s_cbranch_vccz .LBB150_126
; %bb.124:
	v_cmp_eq_u16_e32 vcc, 29, v10
	s_mov_b64 s[34:35], -1
	s_cbranch_vccz .LBB150_126
; %bb.125:
	global_store_dwordx2 v[8:9], v[6:7], off
	s_mov_b64 s[38:39], -1
	s_mov_b64 s[34:35], 0
.LBB150_126:
	s_mov_b64 s[40:41], 0
.LBB150_127:
	s_and_b64 vcc, exec, s[40:41]
	s_cbranch_vccz .LBB150_140
; %bb.128:
	v_cmp_gt_i16_e32 vcc, 27, v10
	s_mov_b64 s[38:39], -1
	s_cbranch_vccnz .LBB150_134
; %bb.129:
	v_cmp_lt_i16_e32 vcc, 27, v10
	s_cbranch_vccz .LBB150_131
; %bb.130:
	s_mov_b64 s[38:39], 0
	global_store_dword v[8:9], v23, off
.LBB150_131:
	s_andn2_b64 vcc, exec, s[38:39]
	s_cbranch_vccnz .LBB150_133
; %bb.132:
	global_store_short v[8:9], v23, off
.LBB150_133:
	s_mov_b64 s[38:39], 0
.LBB150_134:
	s_andn2_b64 vcc, exec, s[38:39]
	s_cbranch_vccnz .LBB150_139
; %bb.135:
	s_andn2_b64 vcc, exec, s[14:15]
	v_mov_b32_e32 v2, 0x80
	s_cbranch_vccnz .LBB150_138
; %bb.136:
	s_or_b64 s[38:39], s[12:13], s[30:31]
	s_andn2_b64 vcc, exec, s[38:39]
	v_mov_b32_e32 v2, 0
	s_cbranch_vccnz .LBB150_138
; %bb.137:
	v_mov_b32_e32 v2, s53
	v_cndmask_b32_e64 v2, v22, v2, s[12:13]
.LBB150_138:
	global_store_byte v[8:9], v2, off
.LBB150_139:
	s_mov_b64 s[38:39], -1
.LBB150_140:
	s_mov_b64 s[40:41], 0
.LBB150_141:
	s_and_b64 vcc, exec, s[40:41]
	s_cbranch_vccz .LBB150_163
; %bb.142:
	v_cmp_lt_i16_e32 vcc, 22, v10
	s_mov_b64 s[40:41], -1
	s_cbranch_vccz .LBB150_155
; %bb.143:
	v_cmp_gt_i16_e32 vcc, 24, v10
	s_mov_b64 s[38:39], -1
	s_cbranch_vccnz .LBB150_152
; %bb.144:
	v_cmp_lt_i16_e32 vcc, 24, v10
	s_cbranch_vccz .LBB150_149
; %bb.145:
	s_andn2_b64 vcc, exec, s[10:11]
	v_mov_b32_e32 v2, 0x80
	s_cbranch_vccnz .LBB150_148
; %bb.146:
	s_or_b64 s[38:39], s[8:9], s[28:29]
	s_andn2_b64 vcc, exec, s[38:39]
	v_mov_b32_e32 v2, 0
	s_cbranch_vccnz .LBB150_148
; %bb.147:
	v_mov_b32_e32 v2, s52
	v_cndmask_b32_e64 v2, v20, v2, s[8:9]
.LBB150_148:
	s_mov_b64 s[38:39], 0
	global_store_byte v[8:9], v2, off
.LBB150_149:
	s_and_b64 vcc, exec, s[38:39]
	s_cbranch_vccz .LBB150_151
; %bb.150:
	v_mov_b32_e32 v2, s51
	v_cndmask_b32_e64 v2, v2, v19, s[6:7]
	v_cndmask_b32_e64 v2, v2, v21, s[4:5]
	global_store_byte v[8:9], v2, off
.LBB150_151:
	s_mov_b64 s[38:39], 0
.LBB150_152:
	s_andn2_b64 vcc, exec, s[38:39]
	s_cbranch_vccnz .LBB150_154
; %bb.153:
	v_mov_b32_e32 v2, s50
	v_cndmask_b32_e64 v2, v2, v17, s[2:3]
	v_cndmask_b32_e64 v2, v2, v18, s[0:1]
	global_store_byte v[8:9], v2, off
.LBB150_154:
	s_mov_b64 s[40:41], 0
	s_mov_b64 s[38:39], -1
.LBB150_155:
	s_andn2_b64 vcc, exec, s[40:41]
	s_cbranch_vccnz .LBB150_163
; %bb.156:
	v_cmp_lt_i16_e32 vcc, 14, v10
	s_mov_b64 s[40:41], -1
	s_cbranch_vccz .LBB150_160
; %bb.157:
	v_cmp_eq_u16_e32 vcc, 15, v10
	s_mov_b64 s[34:35], -1
	s_cbranch_vccz .LBB150_159
; %bb.158:
	global_store_short v[8:9], v16, off
	s_mov_b64 s[38:39], -1
	s_mov_b64 s[34:35], 0
.LBB150_159:
	s_mov_b64 s[40:41], 0
.LBB150_160:
	s_and_b64 vcc, exec, s[40:41]
	s_cbranch_vccz .LBB150_163
; %bb.161:
	v_cmp_eq_u16_e32 vcc, 11, v10
	s_mov_b64 s[34:35], -1
	s_cbranch_vccz .LBB150_163
; %bb.162:
	v_mov_b32_e32 v2, 1
	s_mov_b64 s[38:39], -1
	s_mov_b64 s[34:35], 0
	global_store_byte v[8:9], v2, off
.LBB150_163:
	s_branch .LBB150_113
.LBB150_164:
	v_cmp_gt_i16_e32 vcc, 5, v10
	s_mov_b64 s[38:39], -1
	s_cbranch_vccnz .LBB150_185
; %bb.165:
	v_cmp_gt_i16_e32 vcc, 8, v10
	s_cbranch_vccnz .LBB150_175
; %bb.166:
	v_cmp_gt_i16_e32 vcc, 9, v10
	s_cbranch_vccnz .LBB150_172
; %bb.167:
	v_cmp_lt_i16_e32 vcc, 9, v10
	s_cbranch_vccz .LBB150_169
; %bb.168:
	v_mov_b32_e32 v2, 0
	v_mov_b32_e32 v3, v2
	s_mov_b64 s[38:39], 0
	global_store_dwordx4 v[8:9], v[0:3], off
.LBB150_169:
	s_andn2_b64 vcc, exec, s[38:39]
	s_cbranch_vccnz .LBB150_171
; %bb.170:
	v_mov_b32_e32 v2, s33
	v_mov_b32_e32 v3, 0
	global_store_dwordx2 v[8:9], v[2:3], off
.LBB150_171:
	s_mov_b64 s[38:39], 0
.LBB150_172:
	s_andn2_b64 vcc, exec, s[38:39]
	s_cbranch_vccnz .LBB150_174
; %bb.173:
	global_store_dword v[8:9], v15, off
.LBB150_174:
	s_mov_b64 s[38:39], 0
.LBB150_175:
	s_andn2_b64 vcc, exec, s[38:39]
	s_cbranch_vccnz .LBB150_184
; %bb.176:
	v_cmp_gt_i16_e32 vcc, 6, v10
	s_mov_b64 s[38:39], -1
	s_cbranch_vccnz .LBB150_182
; %bb.177:
	v_cmp_lt_i16_e32 vcc, 6, v10
	s_cbranch_vccz .LBB150_179
; %bb.178:
	s_mov_b64 s[38:39], 0
	global_store_dwordx2 v[8:9], v[0:1], off
.LBB150_179:
	s_andn2_b64 vcc, exec, s[38:39]
	s_cbranch_vccnz .LBB150_181
; %bb.180:
	global_store_dword v[8:9], v14, off
.LBB150_181:
	s_mov_b64 s[38:39], 0
.LBB150_182:
	s_andn2_b64 vcc, exec, s[38:39]
	s_cbranch_vccnz .LBB150_184
; %bb.183:
	global_store_short v[8:9], v15, off
.LBB150_184:
	s_mov_b64 s[38:39], 0
.LBB150_185:
	s_andn2_b64 vcc, exec, s[38:39]
	s_cbranch_vccnz .LBB150_201
; %bb.186:
	v_cmp_gt_i16_e32 vcc, 2, v10
	s_mov_b64 s[38:39], -1
	s_cbranch_vccnz .LBB150_196
; %bb.187:
	v_cmp_gt_i16_e32 vcc, 3, v10
	s_cbranch_vccnz .LBB150_193
; %bb.188:
	v_cmp_lt_i16_e32 vcc, 3, v10
	s_cbranch_vccz .LBB150_190
; %bb.189:
	s_mov_b64 s[38:39], 0
	global_store_dwordx2 v[8:9], v[4:5], off
.LBB150_190:
	s_andn2_b64 vcc, exec, s[38:39]
	s_cbranch_vccnz .LBB150_192
; %bb.191:
	global_store_dword v[8:9], v13, off
.LBB150_192:
	s_mov_b64 s[38:39], 0
.LBB150_193:
	s_andn2_b64 vcc, exec, s[38:39]
	s_cbranch_vccnz .LBB150_195
; %bb.194:
	global_store_short v[8:9], v13, off
.LBB150_195:
	s_mov_b64 s[38:39], 0
.LBB150_196:
	s_andn2_b64 vcc, exec, s[38:39]
	s_cbranch_vccnz .LBB150_201
; %bb.197:
	v_cmp_lt_i16_e32 vcc, 0, v10
	s_mov_b64 s[38:39], -1
	s_cbranch_vccz .LBB150_199
; %bb.198:
	s_mov_b64 s[38:39], 0
	global_store_byte v[8:9], v12, off
.LBB150_199:
	s_andn2_b64 vcc, exec, s[38:39]
	s_cbranch_vccnz .LBB150_201
; %bb.200:
	global_store_byte v[8:9], v11, off
.LBB150_201:
	s_branch .LBB150_114
.LBB150_202:
	s_mov_b64 s[38:39], 0
                                        ; implicit-def: $vgpr24
.LBB150_203:
	s_andn2_b64 s[40:41], s[16:17], exec
	s_and_b64 s[34:35], s[34:35], exec
	s_or_b64 s[34:35], s[40:41], s[34:35]
	s_orn2_b64 s[40:41], s[38:39], exec
.LBB150_204:
	s_or_b64 exec, exec, s[36:37]
	s_mov_b64 s[42:43], 0
	s_mov_b64 s[38:39], 0
                                        ; implicit-def: $vgpr8_vgpr9
	s_and_saveexec_b64 s[36:37], s[40:41]
	s_cbranch_execz .LBB150_363
; %bb.205:
	v_cmp_gt_i32_e32 vcc, s46, v24
	s_mov_b64 s[44:45], -1
	s_mov_b64 s[40:41], s[34:35]
	s_and_saveexec_b64 s[38:39], vcc
	s_cbranch_execz .LBB150_306
; %bb.206:
	v_mul_lo_u32 v2, v24, s22
	v_ashrrev_i32_e32 v3, 31, v2
	v_mov_b32_e32 v9, s21
	v_add_co_u32_e32 v8, vcc, s20, v2
	v_addc_co_u32_e32 v9, vcc, v9, v3, vcc
	v_cmp_gt_i16_e32 vcc, 11, v10
	s_cbranch_vccnz .LBB150_213
; %bb.207:
	v_cmp_lt_i16_e32 vcc, 25, v10
	s_cbranch_vccz .LBB150_214
; %bb.208:
	v_cmp_lt_i16_e32 vcc, 28, v10
	s_cbranch_vccz .LBB150_215
; %bb.209:
	v_cmp_lt_i16_e32 vcc, 43, v10
	s_cbranch_vccz .LBB150_216
; %bb.210:
	v_cmp_lt_i16_e32 vcc, 45, v10
	s_cbranch_vccz .LBB150_217
; %bb.211:
	v_cmp_eq_u16_e32 vcc, 46, v10
	s_mov_b64 s[44:45], 0
	s_mov_b64 s[40:41], -1
	s_cbranch_vccz .LBB150_218
; %bb.212:
	global_store_dword v[8:9], v16, off
	s_mov_b64 s[42:43], -1
	s_mov_b64 s[40:41], 0
	s_branch .LBB150_218
.LBB150_213:
	s_mov_b64 s[40:41], s[34:35]
	s_branch .LBB150_263
.LBB150_214:
	s_mov_b64 s[40:41], s[34:35]
	s_branch .LBB150_240
.LBB150_215:
	s_mov_b64 s[40:41], s[34:35]
	s_branch .LBB150_226
.LBB150_216:
	s_mov_b64 s[40:41], s[34:35]
	s_branch .LBB150_222
.LBB150_217:
	s_mov_b64 s[40:41], s[34:35]
.LBB150_218:
	s_and_b64 vcc, exec, s[44:45]
	s_cbranch_vccz .LBB150_221
; %bb.219:
	v_cmp_eq_u16_e32 vcc, 44, v10
	s_mov_b64 s[40:41], -1
	s_cbranch_vccz .LBB150_221
; %bb.220:
	v_mov_b32_e32 v2, s23
	s_mov_b64 s[42:43], -1
	s_mov_b64 s[40:41], 0
	global_store_byte v[8:9], v2, off
.LBB150_221:
	s_mov_b64 s[44:45], 0
.LBB150_222:
	s_and_b64 vcc, exec, s[44:45]
	s_cbranch_vccz .LBB150_225
; %bb.223:
	v_cmp_eq_u16_e32 vcc, 29, v10
	s_mov_b64 s[40:41], -1
	s_cbranch_vccz .LBB150_225
; %bb.224:
	global_store_dwordx2 v[8:9], v[6:7], off
	s_mov_b64 s[42:43], -1
	s_mov_b64 s[40:41], 0
.LBB150_225:
	s_mov_b64 s[44:45], 0
.LBB150_226:
	s_and_b64 vcc, exec, s[44:45]
	s_cbranch_vccz .LBB150_239
; %bb.227:
	v_cmp_gt_i16_e32 vcc, 27, v10
	s_mov_b64 s[42:43], -1
	s_cbranch_vccnz .LBB150_233
; %bb.228:
	v_cmp_lt_i16_e32 vcc, 27, v10
	s_cbranch_vccz .LBB150_230
; %bb.229:
	s_mov_b64 s[42:43], 0
	global_store_dword v[8:9], v23, off
.LBB150_230:
	s_andn2_b64 vcc, exec, s[42:43]
	s_cbranch_vccnz .LBB150_232
; %bb.231:
	global_store_short v[8:9], v23, off
.LBB150_232:
	s_mov_b64 s[42:43], 0
.LBB150_233:
	s_andn2_b64 vcc, exec, s[42:43]
	s_cbranch_vccnz .LBB150_238
; %bb.234:
	s_andn2_b64 vcc, exec, s[14:15]
	v_mov_b32_e32 v2, 0x80
	s_cbranch_vccnz .LBB150_237
; %bb.235:
	s_or_b64 s[42:43], s[12:13], s[30:31]
	s_andn2_b64 vcc, exec, s[42:43]
	v_mov_b32_e32 v2, 0
	s_cbranch_vccnz .LBB150_237
; %bb.236:
	v_mov_b32_e32 v2, s53
	v_cndmask_b32_e64 v2, v22, v2, s[12:13]
.LBB150_237:
	global_store_byte v[8:9], v2, off
.LBB150_238:
	s_mov_b64 s[42:43], -1
.LBB150_239:
	s_mov_b64 s[44:45], 0
.LBB150_240:
	s_and_b64 vcc, exec, s[44:45]
	s_cbranch_vccz .LBB150_262
; %bb.241:
	v_cmp_lt_i16_e32 vcc, 22, v10
	s_mov_b64 s[44:45], -1
	s_cbranch_vccz .LBB150_254
; %bb.242:
	v_cmp_gt_i16_e32 vcc, 24, v10
	s_mov_b64 s[42:43], -1
	s_cbranch_vccnz .LBB150_251
; %bb.243:
	v_cmp_lt_i16_e32 vcc, 24, v10
	s_cbranch_vccz .LBB150_248
; %bb.244:
	s_andn2_b64 vcc, exec, s[10:11]
	v_mov_b32_e32 v2, 0x80
	s_cbranch_vccnz .LBB150_247
; %bb.245:
	s_or_b64 s[42:43], s[8:9], s[28:29]
	s_andn2_b64 vcc, exec, s[42:43]
	v_mov_b32_e32 v2, 0
	s_cbranch_vccnz .LBB150_247
; %bb.246:
	v_mov_b32_e32 v2, s52
	v_cndmask_b32_e64 v2, v20, v2, s[8:9]
.LBB150_247:
	s_mov_b64 s[42:43], 0
	global_store_byte v[8:9], v2, off
.LBB150_248:
	s_and_b64 vcc, exec, s[42:43]
	s_cbranch_vccz .LBB150_250
; %bb.249:
	v_mov_b32_e32 v2, s51
	v_cndmask_b32_e64 v2, v2, v19, s[6:7]
	v_cndmask_b32_e64 v2, v2, v21, s[4:5]
	global_store_byte v[8:9], v2, off
.LBB150_250:
	s_mov_b64 s[42:43], 0
.LBB150_251:
	s_andn2_b64 vcc, exec, s[42:43]
	s_cbranch_vccnz .LBB150_253
; %bb.252:
	v_mov_b32_e32 v2, s50
	v_cndmask_b32_e64 v2, v2, v17, s[2:3]
	v_cndmask_b32_e64 v2, v2, v18, s[0:1]
	global_store_byte v[8:9], v2, off
.LBB150_253:
	s_mov_b64 s[44:45], 0
	s_mov_b64 s[42:43], -1
.LBB150_254:
	s_andn2_b64 vcc, exec, s[44:45]
	s_cbranch_vccnz .LBB150_262
; %bb.255:
	v_cmp_lt_i16_e32 vcc, 14, v10
	s_mov_b64 s[44:45], -1
	s_cbranch_vccz .LBB150_259
; %bb.256:
	v_cmp_eq_u16_e32 vcc, 15, v10
	s_mov_b64 s[40:41], -1
	s_cbranch_vccz .LBB150_258
; %bb.257:
	global_store_short v[8:9], v16, off
	s_mov_b64 s[42:43], -1
	s_mov_b64 s[40:41], 0
.LBB150_258:
	s_mov_b64 s[44:45], 0
.LBB150_259:
	s_and_b64 vcc, exec, s[44:45]
	s_cbranch_vccz .LBB150_262
; %bb.260:
	v_cmp_eq_u16_e32 vcc, 11, v10
	s_mov_b64 s[40:41], -1
	s_cbranch_vccz .LBB150_262
; %bb.261:
	v_mov_b32_e32 v2, 1
	s_mov_b64 s[42:43], -1
	s_mov_b64 s[40:41], 0
	global_store_byte v[8:9], v2, off
.LBB150_262:
	s_mov_b64 s[44:45], 0
.LBB150_263:
	s_and_b64 vcc, exec, s[44:45]
	s_cbranch_vccz .LBB150_302
; %bb.264:
	v_cmp_gt_i16_e32 vcc, 5, v10
	s_mov_b64 s[42:43], -1
	s_cbranch_vccnz .LBB150_285
; %bb.265:
	v_cmp_gt_i16_e32 vcc, 8, v10
	s_cbranch_vccnz .LBB150_275
; %bb.266:
	v_cmp_gt_i16_e32 vcc, 9, v10
	s_cbranch_vccnz .LBB150_272
; %bb.267:
	v_cmp_lt_i16_e32 vcc, 9, v10
	s_cbranch_vccz .LBB150_269
; %bb.268:
	v_mov_b32_e32 v2, 0
	v_mov_b32_e32 v3, v2
	s_mov_b64 s[42:43], 0
	global_store_dwordx4 v[8:9], v[0:3], off
.LBB150_269:
	s_andn2_b64 vcc, exec, s[42:43]
	s_cbranch_vccnz .LBB150_271
; %bb.270:
	v_mov_b32_e32 v2, s33
	v_mov_b32_e32 v3, 0
	global_store_dwordx2 v[8:9], v[2:3], off
.LBB150_271:
	s_mov_b64 s[42:43], 0
.LBB150_272:
	s_andn2_b64 vcc, exec, s[42:43]
	s_cbranch_vccnz .LBB150_274
; %bb.273:
	global_store_dword v[8:9], v15, off
.LBB150_274:
	s_mov_b64 s[42:43], 0
.LBB150_275:
	s_andn2_b64 vcc, exec, s[42:43]
	s_cbranch_vccnz .LBB150_284
; %bb.276:
	v_cmp_gt_i16_e32 vcc, 6, v10
	s_mov_b64 s[42:43], -1
	s_cbranch_vccnz .LBB150_282
; %bb.277:
	v_cmp_lt_i16_e32 vcc, 6, v10
	s_cbranch_vccz .LBB150_279
; %bb.278:
	s_mov_b64 s[42:43], 0
	global_store_dwordx2 v[8:9], v[0:1], off
.LBB150_279:
	s_andn2_b64 vcc, exec, s[42:43]
	s_cbranch_vccnz .LBB150_281
; %bb.280:
	global_store_dword v[8:9], v14, off
.LBB150_281:
	s_mov_b64 s[42:43], 0
.LBB150_282:
	s_andn2_b64 vcc, exec, s[42:43]
	s_cbranch_vccnz .LBB150_284
; %bb.283:
	global_store_short v[8:9], v15, off
.LBB150_284:
	s_mov_b64 s[42:43], 0
.LBB150_285:
	s_andn2_b64 vcc, exec, s[42:43]
	s_cbranch_vccnz .LBB150_301
; %bb.286:
	v_cmp_gt_i16_e32 vcc, 2, v10
	s_mov_b64 s[42:43], -1
	s_cbranch_vccnz .LBB150_296
; %bb.287:
	v_cmp_gt_i16_e32 vcc, 3, v10
	s_cbranch_vccnz .LBB150_293
; %bb.288:
	v_cmp_lt_i16_e32 vcc, 3, v10
	s_cbranch_vccz .LBB150_290
; %bb.289:
	s_mov_b64 s[42:43], 0
	global_store_dwordx2 v[8:9], v[4:5], off
.LBB150_290:
	s_andn2_b64 vcc, exec, s[42:43]
	s_cbranch_vccnz .LBB150_292
; %bb.291:
	global_store_dword v[8:9], v13, off
.LBB150_292:
	s_mov_b64 s[42:43], 0
.LBB150_293:
	s_andn2_b64 vcc, exec, s[42:43]
	s_cbranch_vccnz .LBB150_295
; %bb.294:
	global_store_short v[8:9], v13, off
.LBB150_295:
	s_mov_b64 s[42:43], 0
.LBB150_296:
	s_andn2_b64 vcc, exec, s[42:43]
	s_cbranch_vccnz .LBB150_301
; %bb.297:
	v_cmp_lt_i16_e32 vcc, 0, v10
	s_mov_b64 s[42:43], -1
	s_cbranch_vccz .LBB150_299
; %bb.298:
	s_mov_b64 s[42:43], 0
	global_store_byte v[8:9], v12, off
.LBB150_299:
	s_andn2_b64 vcc, exec, s[42:43]
	s_cbranch_vccnz .LBB150_301
; %bb.300:
	global_store_byte v[8:9], v11, off
.LBB150_301:
	s_mov_b64 s[42:43], -1
.LBB150_302:
	s_andn2_b64 vcc, exec, s[42:43]
	s_cbranch_vccnz .LBB150_304
; %bb.303:
	v_add_u32_e32 v24, 0x80, v24
	s_mov_b64 s[42:43], -1
	s_branch .LBB150_305
.LBB150_304:
	s_mov_b64 s[42:43], 0
                                        ; implicit-def: $vgpr24
.LBB150_305:
	s_andn2_b64 s[44:45], s[34:35], exec
	s_and_b64 s[40:41], s[40:41], exec
	s_or_b64 s[40:41], s[44:45], s[40:41]
	s_orn2_b64 s[44:45], s[42:43], exec
.LBB150_306:
	s_or_b64 exec, exec, s[38:39]
	s_mov_b64 s[42:43], 0
	s_mov_b64 s[48:49], 0
                                        ; implicit-def: $vgpr8_vgpr9
	s_and_saveexec_b64 s[38:39], s[44:45]
	s_cbranch_execz .LBB150_362
; %bb.307:
	v_cmp_gt_i32_e32 vcc, s46, v24
	s_mov_b64 s[46:47], 0
	s_mov_b64 s[44:45], s[40:41]
                                        ; implicit-def: $vgpr8_vgpr9
	s_and_saveexec_b64 s[42:43], vcc
	s_cbranch_execz .LBB150_361
; %bb.308:
	v_mul_lo_u32 v2, v24, s22
	v_ashrrev_i32_e32 v3, 31, v2
	v_mov_b32_e32 v9, s21
	v_add_co_u32_e32 v8, vcc, s20, v2
	v_addc_co_u32_e32 v9, vcc, v9, v3, vcc
	v_cmp_gt_i16_e32 vcc, 11, v10
	s_cbranch_vccnz .LBB150_358
; %bb.309:
	v_cmp_lt_i16_e32 vcc, 25, v10
	s_mov_b64 s[46:47], -1
	s_mov_b64 s[44:45], s[40:41]
	s_cbranch_vccz .LBB150_337
; %bb.310:
	v_cmp_lt_i16_e32 vcc, 28, v10
	s_mov_b64 s[44:45], s[40:41]
	s_cbranch_vccz .LBB150_324
; %bb.311:
	v_cmp_lt_i16_e32 vcc, 43, v10
	;; [unrolled: 4-line block ×3, first 2 shown]
	s_mov_b64 s[44:45], s[40:41]
	s_cbranch_vccz .LBB150_316
; %bb.313:
	v_cmp_eq_u16_e32 vcc, 46, v10
	s_mov_b64 s[44:45], -1
	s_cbranch_vccz .LBB150_315
; %bb.314:
	global_store_dword v[8:9], v16, off
	s_mov_b64 s[44:45], 0
.LBB150_315:
	s_mov_b64 s[46:47], 0
.LBB150_316:
	s_and_b64 vcc, exec, s[46:47]
	s_cbranch_vccz .LBB150_319
; %bb.317:
	v_cmp_eq_u16_e32 vcc, 44, v10
	s_mov_b64 s[44:45], -1
	s_cbranch_vccz .LBB150_319
; %bb.318:
	v_mov_b32_e32 v2, s23
	global_store_byte v[8:9], v2, off
	s_mov_b64 s[44:45], 0
.LBB150_319:
	s_mov_b64 s[46:47], 0
.LBB150_320:
	s_and_b64 vcc, exec, s[46:47]
	s_cbranch_vccz .LBB150_323
; %bb.321:
	v_cmp_eq_u16_e32 vcc, 29, v10
	s_mov_b64 s[44:45], -1
	s_cbranch_vccz .LBB150_323
; %bb.322:
	global_store_dwordx2 v[8:9], v[6:7], off
	s_mov_b64 s[44:45], 0
.LBB150_323:
	s_mov_b64 s[46:47], 0
.LBB150_324:
	s_and_b64 vcc, exec, s[46:47]
	s_cbranch_vccz .LBB150_336
; %bb.325:
	v_cmp_gt_i16_e32 vcc, 27, v10
	s_mov_b64 s[46:47], -1
	s_cbranch_vccnz .LBB150_331
; %bb.326:
	v_cmp_lt_i16_e32 vcc, 27, v10
	s_cbranch_vccz .LBB150_328
; %bb.327:
	s_mov_b64 s[46:47], 0
	global_store_dword v[8:9], v23, off
.LBB150_328:
	s_andn2_b64 vcc, exec, s[46:47]
	s_cbranch_vccnz .LBB150_330
; %bb.329:
	global_store_short v[8:9], v23, off
.LBB150_330:
	s_mov_b64 s[46:47], 0
.LBB150_331:
	s_andn2_b64 vcc, exec, s[46:47]
	s_cbranch_vccnz .LBB150_336
; %bb.332:
	s_andn2_b64 vcc, exec, s[14:15]
	v_mov_b32_e32 v2, 0x80
	s_cbranch_vccnz .LBB150_335
; %bb.333:
	s_or_b64 s[14:15], s[12:13], s[30:31]
	s_andn2_b64 vcc, exec, s[14:15]
	v_mov_b32_e32 v2, 0
	s_cbranch_vccnz .LBB150_335
; %bb.334:
	v_mov_b32_e32 v2, s53
	v_cndmask_b32_e64 v2, v22, v2, s[12:13]
.LBB150_335:
	global_store_byte v[8:9], v2, off
.LBB150_336:
	s_mov_b64 s[46:47], 0
.LBB150_337:
	s_mov_b64 s[12:13], 0
	s_and_b64 vcc, exec, s[46:47]
	s_cbranch_vccz .LBB150_359
; %bb.338:
	v_cmp_lt_i16_e32 vcc, 22, v10
	s_mov_b64 s[14:15], -1
	s_cbranch_vccz .LBB150_351
; %bb.339:
	v_cmp_gt_i16_e32 vcc, 24, v10
	s_cbranch_vccnz .LBB150_348
; %bb.340:
	v_cmp_lt_i16_e32 vcc, 24, v10
	s_cbranch_vccz .LBB150_345
; %bb.341:
	s_andn2_b64 vcc, exec, s[10:11]
	v_mov_b32_e32 v2, 0x80
	s_cbranch_vccnz .LBB150_344
; %bb.342:
	s_or_b64 s[10:11], s[8:9], s[28:29]
	s_andn2_b64 vcc, exec, s[10:11]
	v_mov_b32_e32 v2, 0
	s_cbranch_vccnz .LBB150_344
; %bb.343:
	v_mov_b32_e32 v2, s52
	v_cndmask_b32_e64 v2, v20, v2, s[8:9]
.LBB150_344:
	s_mov_b64 s[14:15], 0
	global_store_byte v[8:9], v2, off
.LBB150_345:
	s_and_b64 vcc, exec, s[14:15]
	s_cbranch_vccz .LBB150_347
; %bb.346:
	v_mov_b32_e32 v2, s51
	v_cndmask_b32_e64 v2, v2, v19, s[6:7]
	v_cndmask_b32_e64 v2, v2, v21, s[4:5]
	global_store_byte v[8:9], v2, off
.LBB150_347:
	s_mov_b64 s[14:15], 0
.LBB150_348:
	s_andn2_b64 vcc, exec, s[14:15]
	s_cbranch_vccnz .LBB150_350
; %bb.349:
	v_mov_b32_e32 v2, s50
	v_cndmask_b32_e64 v2, v2, v17, s[2:3]
	v_cndmask_b32_e64 v2, v2, v18, s[0:1]
	global_store_byte v[8:9], v2, off
.LBB150_350:
	s_mov_b64 s[14:15], 0
.LBB150_351:
	s_andn2_b64 vcc, exec, s[14:15]
	s_mov_b64 s[0:1], 0
	s_cbranch_vccnz .LBB150_360
; %bb.352:
	v_cmp_lt_i16_e32 vcc, 14, v10
	s_mov_b64 s[2:3], -1
	s_cbranch_vccz .LBB150_356
; %bb.353:
	v_cmp_eq_u16_e32 vcc, 15, v10
	s_mov_b64 s[44:45], -1
	s_cbranch_vccz .LBB150_355
; %bb.354:
	global_store_short v[8:9], v16, off
	s_mov_b64 s[44:45], 0
.LBB150_355:
	s_mov_b64 s[2:3], 0
.LBB150_356:
	s_and_b64 vcc, exec, s[2:3]
	s_cbranch_vccz .LBB150_360
; %bb.357:
	v_cmp_ne_u16_e32 vcc, 11, v10
	s_andn2_b64 s[2:3], s[44:45], exec
	s_and_b64 s[4:5], vcc, exec
	s_mov_b64 s[0:1], -1
	s_or_b64 s[44:45], s[2:3], s[4:5]
	s_branch .LBB150_360
.LBB150_358:
	s_mov_b64 s[0:1], 0
	s_mov_b64 s[12:13], -1
	s_mov_b64 s[44:45], s[40:41]
	s_branch .LBB150_360
.LBB150_359:
	s_mov_b64 s[0:1], 0
.LBB150_360:
	s_and_b64 s[46:47], s[0:1], exec
	s_andn2_b64 s[0:1], s[40:41], exec
	s_and_b64 s[2:3], s[44:45], exec
	s_and_b64 s[48:49], s[12:13], exec
	s_or_b64 s[44:45], s[0:1], s[2:3]
.LBB150_361:
	s_or_b64 exec, exec, s[42:43]
	s_andn2_b64 s[0:1], s[40:41], exec
	s_and_b64 s[2:3], s[44:45], exec
	s_and_b64 s[48:49], s[48:49], exec
	;; [unrolled: 1-line block ×3, first 2 shown]
	s_or_b64 s[40:41], s[0:1], s[2:3]
.LBB150_362:
	s_or_b64 exec, exec, s[38:39]
	s_andn2_b64 s[0:1], s[34:35], exec
	s_and_b64 s[2:3], s[40:41], exec
	s_and_b64 s[38:39], s[48:49], exec
	;; [unrolled: 1-line block ×3, first 2 shown]
	s_or_b64 s[34:35], s[0:1], s[2:3]
.LBB150_363:
	s_or_b64 exec, exec, s[36:37]
	s_andn2_b64 s[0:1], s[16:17], exec
	s_and_b64 s[2:3], s[34:35], exec
	s_and_b64 s[38:39], s[38:39], exec
	;; [unrolled: 1-line block ×3, first 2 shown]
	s_or_b64 s[16:17], s[0:1], s[2:3]
	s_or_b64 exec, exec, s[18:19]
	s_mov_b64 s[0:1], 0
	s_and_saveexec_b64 s[2:3], s[16:17]
	s_cbranch_execz .LBB150_110
.LBB150_364:
	s_mov_b64 s[0:1], exec
	s_andn2_b64 s[36:37], s[36:37], exec
	s_trap 2
	s_or_b64 exec, exec, s[2:3]
	s_and_saveexec_b64 s[2:3], s[36:37]
	s_xor_b64 s[2:3], exec, s[2:3]
	s_cbranch_execnz .LBB150_111
.LBB150_365:
	s_or_b64 exec, exec, s[2:3]
	s_and_saveexec_b64 s[2:3], s[38:39]
	s_xor_b64 s[2:3], exec, s[2:3]
	s_cbranch_execz .LBB150_403
.LBB150_366:
	v_cmp_gt_i16_e32 vcc, 5, v10
	s_mov_b64 s[4:5], -1
	s_cbranch_vccnz .LBB150_387
; %bb.367:
	v_cmp_gt_i16_e32 vcc, 8, v10
	s_cbranch_vccnz .LBB150_377
; %bb.368:
	v_cmp_gt_i16_e32 vcc, 9, v10
	s_cbranch_vccnz .LBB150_374
; %bb.369:
	v_cmp_lt_i16_e32 vcc, 9, v10
	s_cbranch_vccz .LBB150_371
; %bb.370:
	v_mov_b32_e32 v2, 0
	v_mov_b32_e32 v3, v2
	s_mov_b64 s[4:5], 0
	global_store_dwordx4 v[8:9], v[0:3], off
.LBB150_371:
	s_andn2_b64 vcc, exec, s[4:5]
	s_cbranch_vccnz .LBB150_373
; %bb.372:
	v_mov_b32_e32 v2, s33
	v_mov_b32_e32 v3, 0
	global_store_dwordx2 v[8:9], v[2:3], off
.LBB150_373:
	s_mov_b64 s[4:5], 0
.LBB150_374:
	s_andn2_b64 vcc, exec, s[4:5]
	s_cbranch_vccnz .LBB150_376
; %bb.375:
	global_store_dword v[8:9], v15, off
.LBB150_376:
	s_mov_b64 s[4:5], 0
.LBB150_377:
	s_andn2_b64 vcc, exec, s[4:5]
	s_cbranch_vccnz .LBB150_386
; %bb.378:
	v_cmp_gt_i16_e32 vcc, 6, v10
	s_mov_b64 s[4:5], -1
	s_cbranch_vccnz .LBB150_384
; %bb.379:
	v_cmp_lt_i16_e32 vcc, 6, v10
	s_cbranch_vccz .LBB150_381
; %bb.380:
	s_mov_b64 s[4:5], 0
	global_store_dwordx2 v[8:9], v[0:1], off
.LBB150_381:
	s_andn2_b64 vcc, exec, s[4:5]
	s_cbranch_vccnz .LBB150_383
; %bb.382:
	global_store_dword v[8:9], v14, off
.LBB150_383:
	s_mov_b64 s[4:5], 0
.LBB150_384:
	s_andn2_b64 vcc, exec, s[4:5]
	s_cbranch_vccnz .LBB150_386
; %bb.385:
	global_store_short v[8:9], v15, off
.LBB150_386:
	s_mov_b64 s[4:5], 0
.LBB150_387:
	s_andn2_b64 vcc, exec, s[4:5]
	s_cbranch_vccnz .LBB150_403
; %bb.388:
	v_cmp_gt_i16_e32 vcc, 2, v10
	s_mov_b64 s[4:5], -1
	s_cbranch_vccnz .LBB150_398
; %bb.389:
	v_cmp_gt_i16_e32 vcc, 3, v10
	s_cbranch_vccnz .LBB150_395
; %bb.390:
	v_cmp_lt_i16_e32 vcc, 3, v10
	s_cbranch_vccz .LBB150_392
; %bb.391:
	s_mov_b64 s[4:5], 0
	global_store_dwordx2 v[8:9], v[4:5], off
.LBB150_392:
	s_andn2_b64 vcc, exec, s[4:5]
	s_cbranch_vccnz .LBB150_394
; %bb.393:
	global_store_dword v[8:9], v13, off
.LBB150_394:
	s_mov_b64 s[4:5], 0
.LBB150_395:
	s_andn2_b64 vcc, exec, s[4:5]
	s_cbranch_vccnz .LBB150_397
; %bb.396:
	global_store_short v[8:9], v13, off
.LBB150_397:
	s_mov_b64 s[4:5], 0
.LBB150_398:
	s_andn2_b64 vcc, exec, s[4:5]
	s_cbranch_vccnz .LBB150_403
; %bb.399:
	v_cmp_lt_i16_e32 vcc, 0, v10
	s_mov_b64 s[4:5], -1
	s_cbranch_vccz .LBB150_401
; %bb.400:
	s_mov_b64 s[4:5], 0
	global_store_byte v[8:9], v12, off
.LBB150_401:
	s_andn2_b64 vcc, exec, s[4:5]
	s_cbranch_vccnz .LBB150_403
; %bb.402:
	global_store_byte v[8:9], v11, off
.LBB150_403:
	s_or_b64 exec, exec, s[2:3]
	s_and_b64 s[4:5], s[0:1], exec
                                        ; implicit-def: $vgpr10
                                        ; implicit-def: $vgpr24
.LBB150_404:
	s_or_saveexec_b64 s[6:7], s[26:27]
	s_mov_b64 s[0:1], 0
                                        ; implicit-def: $vgpr0_vgpr1
	s_xor_b64 exec, exec, s[6:7]
	s_cbranch_execz .LBB150_431
; %bb.405:
	v_mul_lo_u32 v2, s22, v24
	v_ashrrev_i32_e32 v1, 31, v2
	v_mov_b32_e32 v3, s21
	v_add_co_u32_e32 v0, vcc, s20, v2
	v_addc_co_u32_e32 v1, vcc, v3, v1, vcc
	v_cmp_gt_i16_e64 s[0:1], 11, v10
	s_and_b64 vcc, exec, s[0:1]
	s_cbranch_vccnz .LBB150_434
; %bb.406:
	v_cmp_lt_i16_e32 vcc, 25, v10
	s_mov_b64 s[12:13], -1
	s_mov_b64 s[10:11], 0
	s_mov_b64 s[2:3], 0
	;; [unrolled: 1-line block ×3, first 2 shown]
	s_cbranch_vccz .LBB150_444
; %bb.407:
	v_cmp_lt_i16_e32 vcc, 28, v10
	s_cbranch_vccz .LBB150_420
; %bb.408:
	v_cmp_lt_i16_e32 vcc, 43, v10
	;; [unrolled: 3-line block ×3, first 2 shown]
	s_cbranch_vccz .LBB150_412
; %bb.410:
	v_cmp_eq_u16_e32 vcc, 46, v10
	s_mov_b64 s[8:9], -1
	s_mov_b64 s[12:13], 0
	s_cbranch_vccz .LBB150_412
; %bb.411:
	s_and_b32 s2, s23, 0xff
	s_lshl_b32 s2, s2, 23
	v_mov_b32_e32 v3, 0xff
	v_mov_b32_e32 v4, 0x7f800001
	;; [unrolled: 1-line block ×3, first 2 shown]
	v_cmp_ne_u16_sdwa vcc, s23, v3 src0_sel:BYTE_0 src1_sel:DWORD
	v_cndmask_b32_e32 v3, v4, v5, vcc
	v_mov_b32_e32 v4, 0
	v_mov_b32_e32 v5, 0x400000
	v_cmp_ne_u16_sdwa vcc, s23, v4 src0_sel:BYTE_0 src1_sel:DWORD
	v_cndmask_b32_e32 v3, v5, v3, vcc
	v_add_u32_e32 v4, 0x7fff, v3
	v_lshrrev_b32_e32 v4, 16, v4
	v_mov_b32_e32 v5, 0x7fc0
	v_cmp_o_f32_e32 vcc, v3, v3
	v_cndmask_b32_e32 v3, v5, v4, vcc
	global_store_dword v[0:1], v3, off
	s_mov_b64 s[8:9], 0
	s_mov_b64 s[2:3], -1
.LBB150_412:
	s_and_b64 vcc, exec, s[12:13]
	s_cbranch_vccz .LBB150_415
; %bb.413:
	v_cmp_eq_u16_e32 vcc, 44, v10
	s_mov_b64 s[8:9], -1
	s_cbranch_vccz .LBB150_415
; %bb.414:
	v_mov_b32_e32 v3, s23
	global_store_byte v[0:1], v3, off
	s_mov_b64 s[8:9], 0
	s_mov_b64 s[2:3], -1
.LBB150_415:
	s_mov_b64 s[12:13], 0
.LBB150_416:
	s_and_b64 vcc, exec, s[12:13]
	s_cbranch_vccz .LBB150_419
; %bb.417:
	v_cmp_eq_u16_e32 vcc, 29, v10
	s_mov_b64 s[8:9], -1
	s_cbranch_vccz .LBB150_419
; %bb.418:
	s_and_b32 s2, s23, 0xff
	s_lshl_b32 s2, s2, 23
	v_trunc_f32_e32 v3, s2
	v_mul_f32_e32 v4, 0x2f800000, v3
	v_floor_f32_e32 v4, v4
	v_fmac_f32_e32 v3, 0xcf800000, v4
	v_cvt_u32_f32_e32 v4, v4
	v_cvt_u32_f32_e32 v3, v3
	v_mov_b32_e32 v5, 0
	v_cmp_ne_u16_sdwa vcc, s23, v5 src0_sel:BYTE_0 src1_sel:DWORD
	v_cndmask_b32_e32 v5, 0, v4, vcc
	v_cndmask_b32_e32 v4, 0, v3, vcc
	global_store_dwordx2 v[0:1], v[4:5], off
	s_mov_b64 s[8:9], 0
	s_mov_b64 s[2:3], -1
.LBB150_419:
	s_mov_b64 s[12:13], 0
.LBB150_420:
	s_and_b64 vcc, exec, s[12:13]
	s_cbranch_vccz .LBB150_443
; %bb.421:
	v_cmp_gt_i16_e32 vcc, 27, v10
	s_mov_b64 s[2:3], -1
	s_cbranch_vccnz .LBB150_427
; %bb.422:
	v_cmp_lt_i16_e32 vcc, 27, v10
	s_cbranch_vccz .LBB150_424
; %bb.423:
	s_and_b32 s2, s23, 0xff
	s_lshl_b32 s2, s2, 23
	v_cvt_u32_f32_e32 v3, s2
	v_mov_b32_e32 v4, 0
	v_cmp_ne_u16_sdwa vcc, s23, v4 src0_sel:BYTE_0 src1_sel:DWORD
	s_mov_b64 s[2:3], 0
	v_cndmask_b32_e32 v3, 0, v3, vcc
	global_store_dword v[0:1], v3, off
.LBB150_424:
	s_andn2_b64 vcc, exec, s[2:3]
	s_cbranch_vccnz .LBB150_426
; %bb.425:
	s_and_b32 s2, s23, 0xff
	s_lshl_b32 s2, s2, 23
	v_cvt_u32_f32_e32 v3, s2
	v_mov_b32_e32 v4, 0
	v_cmp_ne_u16_sdwa vcc, s23, v4 src0_sel:BYTE_0 src1_sel:DWORD
	v_cndmask_b32_e32 v3, 0, v3, vcc
	global_store_short v[0:1], v3, off
.LBB150_426:
	s_mov_b64 s[2:3], 0
.LBB150_427:
	s_andn2_b64 vcc, exec, s[2:3]
	s_cbranch_vccnz .LBB150_442
; %bb.428:
	s_and_b32 s2, s23, 0xff
	v_mov_b32_e32 v4, 0xff
	s_lshl_b32 s14, s2, 23
	v_mov_b32_e32 v3, 0
	v_mov_b32_e32 v5, s14
	;; [unrolled: 1-line block ×3, first 2 shown]
	v_cmp_eq_u16_sdwa s[12:13], s23, v4 src0_sel:BYTE_0 src1_sel:DWORD
	v_cndmask_b32_e64 v4, |v5|, v6, s[12:13]
	v_mov_b32_e32 v5, 0x400000
	v_cmp_eq_u16_sdwa s[2:3], s23, v3 src0_sel:BYTE_0 src1_sel:DWORD
	v_cndmask_b32_e64 v3, v4, v5, s[2:3]
	s_mov_b32 s15, 0x437fffff
	v_cmp_lt_u32_e32 vcc, s15, v3
	v_mov_b32_e32 v5, 0x80
	s_cbranch_vccnz .LBB150_441
; %bb.429:
	s_mov_b32 s15, 0x3bffffff
	v_cmp_lt_u32_e32 vcc, s15, v3
	s_cbranch_vccz .LBB150_436
; %bb.430:
	s_add_i32 s14, s14, 0x487ffff
	s_lshr_b32 s14, s14, 20
	s_and_b64 s[12:13], s[12:13], exec
	s_cselect_b32 s12, 0x840, s14
	s_and_b64 s[2:3], s[2:3], exec
	s_cselect_b32 s14, 0x4c, s12
	s_mov_b64 s[12:13], 0
	s_mov_b64 s[2:3], -1
	s_branch .LBB150_437
.LBB150_431:
	s_or_b64 exec, exec, s[6:7]
	s_and_saveexec_b64 s[2:3], s[4:5]
	s_cbranch_execz .LBB150_826
.LBB150_432:
	; divergent unreachable
	s_or_b64 exec, exec, s[2:3]
	s_and_saveexec_b64 s[2:3], s[24:25]
	s_xor_b64 s[2:3], exec, s[2:3]
	s_cbranch_execnz .LBB150_827
.LBB150_433:
	s_or_b64 exec, exec, s[2:3]
	s_and_saveexec_b64 s[2:3], s[0:1]
	s_cbranch_execnz .LBB150_828
	s_branch .LBB150_865
.LBB150_434:
	s_mov_b64 s[2:3], 0
	s_mov_b64 s[8:9], s[4:5]
	s_cbranch_execnz .LBB150_494
.LBB150_435:
	s_andn2_b64 vcc, exec, s[2:3]
	s_cbranch_vccz .LBB150_532
	s_branch .LBB150_824
.LBB150_436:
	s_mov_b64 s[12:13], -1
	s_mov_b64 s[2:3], 0
                                        ; implicit-def: $sgpr14
.LBB150_437:
	s_andn2_b64 vcc, exec, s[12:13]
	v_mov_b32_e32 v4, s14
                                        ; implicit-def: $sgpr12
	s_cbranch_vccnz .LBB150_439
; %bb.438:
	v_add_f32_e32 v3, 0x46000000, v3
	v_and_b32_e32 v4, 0xff, v3
	s_mov_b32 s12, 0
	v_cmp_ne_u32_e64 s[2:3], 0, v4
.LBB150_439:
	s_andn2_b64 vcc, exec, s[2:3]
	v_mov_b32_e32 v5, s12
	s_cbranch_vccnz .LBB150_441
; %bb.440:
	v_mov_b32_e32 v5, v4
.LBB150_441:
	global_store_byte v[0:1], v5, off
.LBB150_442:
	s_mov_b64 s[2:3], -1
.LBB150_443:
	s_mov_b64 s[12:13], 0
.LBB150_444:
	s_and_b64 vcc, exec, s[12:13]
	s_cbranch_vccz .LBB150_490
; %bb.445:
	v_cmp_lt_i16_e32 vcc, 22, v10
	s_mov_b64 s[10:11], -1
	s_cbranch_vccz .LBB150_483
; %bb.446:
	v_cmp_gt_i16_e32 vcc, 24, v10
	s_mov_b64 s[2:3], -1
	s_cbranch_vccnz .LBB150_470
; %bb.447:
	v_cmp_lt_i16_e32 vcc, 24, v10
	s_cbranch_vccz .LBB150_457
; %bb.448:
	s_and_b32 s2, s23, 0xff
	v_mov_b32_e32 v4, 0xff
	s_lshl_b32 s12, s2, 23
	v_mov_b32_e32 v3, 0
	v_mov_b32_e32 v5, s12
	;; [unrolled: 1-line block ×3, first 2 shown]
	v_cmp_eq_u16_sdwa s[10:11], s23, v4 src0_sel:BYTE_0 src1_sel:DWORD
	v_cndmask_b32_e64 v4, |v5|, v6, s[10:11]
	v_mov_b32_e32 v5, 0x400000
	v_cmp_eq_u16_sdwa s[2:3], s23, v3 src0_sel:BYTE_0 src1_sel:DWORD
	v_cndmask_b32_e64 v3, v4, v5, s[2:3]
	s_mov_b32 s13, 0x477fffff
	v_cmp_lt_u32_e32 vcc, s13, v3
	v_mov_b32_e32 v5, 0x80
	s_cbranch_vccnz .LBB150_456
; %bb.449:
	s_mov_b32 s13, 0x37ffffff
	v_cmp_lt_u32_e32 vcc, s13, v3
	s_cbranch_vccz .LBB150_451
; %bb.450:
	s_add_i32 s12, s12, 0x88fffff
	s_lshr_b32 s12, s12, 21
	s_and_b64 s[10:11], s[10:11], exec
	s_cselect_b32 s10, 0x440, s12
	s_and_b64 s[2:3], s[2:3], exec
	s_cselect_b32 s12, 0x46, s10
	s_mov_b64 s[10:11], 0
	s_mov_b64 s[2:3], -1
	s_branch .LBB150_452
.LBB150_451:
	s_mov_b64 s[10:11], -1
	s_mov_b64 s[2:3], 0
                                        ; implicit-def: $sgpr12
.LBB150_452:
	s_andn2_b64 vcc, exec, s[10:11]
	v_mov_b32_e32 v4, s12
                                        ; implicit-def: $sgpr10
	s_cbranch_vccnz .LBB150_454
; %bb.453:
	v_add_f32_e32 v3, 0x42800000, v3
	v_and_b32_e32 v4, 0xff, v3
	s_mov_b32 s10, 0
	v_cmp_ne_u32_e64 s[2:3], 0, v4
.LBB150_454:
	s_andn2_b64 vcc, exec, s[2:3]
	v_mov_b32_e32 v5, s10
	s_cbranch_vccnz .LBB150_456
; %bb.455:
	v_mov_b32_e32 v5, v4
.LBB150_456:
	s_mov_b64 s[2:3], 0
	global_store_byte v[0:1], v5, off
.LBB150_457:
	s_and_b64 vcc, exec, s[2:3]
	s_cbranch_vccz .LBB150_469
; %bb.458:
	s_and_b32 s2, s23, 0xff
	v_mov_b32_e32 v4, 0xff
	s_lshl_b32 s12, s2, 23
	v_mov_b32_e32 v3, 0
	v_mov_b32_e32 v5, s12
	;; [unrolled: 1-line block ×3, first 2 shown]
	v_cmp_eq_u16_sdwa s[10:11], s23, v4 src0_sel:BYTE_0 src1_sel:DWORD
	v_cndmask_b32_e64 v4, |v5|, v6, s[10:11]
	v_mov_b32_e32 v5, 0x400000
	v_cmp_eq_u16_sdwa s[2:3], s23, v3 src0_sel:BYTE_0 src1_sel:DWORD
	v_cndmask_b32_e64 v3, v4, v5, s[2:3]
	s_mov_b32 s13, 0x43f00000
	v_cmp_gt_u32_e32 vcc, s13, v3
	s_cbranch_vccz .LBB150_461
; %bb.459:
	s_mov_b32 s13, 0x3c7fffff
	v_cmp_lt_u32_e32 vcc, s13, v3
	s_cbranch_vccz .LBB150_462
; %bb.460:
	s_add_i32 s12, s12, 0x407ffff
	s_lshr_b32 s12, s12, 20
	s_and_b64 s[10:11], s[10:11], exec
	s_cselect_b32 s10, 0x838, s12
	s_and_b64 s[2:3], s[2:3], exec
	s_cselect_b32 s10, 0x44, s10
	s_mov_b64 s[2:3], 0
	s_branch .LBB150_463
.LBB150_461:
	s_mov_b64 s[2:3], -1
                                        ; implicit-def: $vgpr4
	s_branch .LBB150_466
.LBB150_462:
	s_mov_b64 s[2:3], -1
                                        ; implicit-def: $sgpr10
.LBB150_463:
	s_andn2_b64 vcc, exec, s[2:3]
	v_mov_b32_e32 v4, s10
	s_cbranch_vccnz .LBB150_465
; %bb.464:
	v_add_f32_e32 v4, 0x46800000, v3
.LBB150_465:
	s_mov_b64 s[2:3], 0
.LBB150_466:
	s_andn2_b64 vcc, exec, s[2:3]
	s_cbranch_vccnz .LBB150_468
; %bb.467:
	s_mov_b32 s2, 0x7f800000
	v_mov_b32_e32 v4, 0x7e
	v_mov_b32_e32 v5, 0x7f
	v_cmp_lt_u32_e32 vcc, s2, v3
	v_cndmask_b32_e32 v4, v4, v5, vcc
.LBB150_468:
	global_store_byte v[0:1], v4, off
.LBB150_469:
	s_mov_b64 s[2:3], 0
.LBB150_470:
	s_andn2_b64 vcc, exec, s[2:3]
	s_cbranch_vccnz .LBB150_482
; %bb.471:
	s_and_b32 s2, s23, 0xff
	v_mov_b32_e32 v4, 0xff
	s_lshl_b32 s12, s2, 23
	v_mov_b32_e32 v3, 0
	v_mov_b32_e32 v5, s12
	;; [unrolled: 1-line block ×3, first 2 shown]
	v_cmp_eq_u16_sdwa s[10:11], s23, v4 src0_sel:BYTE_0 src1_sel:DWORD
	v_cndmask_b32_e64 v4, |v5|, v6, s[10:11]
	v_mov_b32_e32 v5, 0x400000
	v_cmp_eq_u16_sdwa s[2:3], s23, v3 src0_sel:BYTE_0 src1_sel:DWORD
	v_cndmask_b32_e64 v3, v4, v5, s[2:3]
	s_mov_b32 s13, 0x47800000
	v_cmp_gt_u32_e32 vcc, s13, v3
	s_cbranch_vccz .LBB150_474
; %bb.472:
	s_mov_b32 s13, 0x387fffff
	v_cmp_lt_u32_e32 vcc, s13, v3
	s_cbranch_vccz .LBB150_475
; %bb.473:
	s_add_i32 s12, s12, 0x80fffff
	s_lshr_b32 s12, s12, 21
	s_and_b64 s[10:11], s[10:11], exec
	s_cselect_b32 s10, 0x43c, s12
	s_and_b64 s[2:3], s[2:3], exec
	s_cselect_b32 s10, 0x42, s10
	s_mov_b64 s[2:3], 0
	s_branch .LBB150_476
.LBB150_474:
	s_mov_b64 s[2:3], -1
                                        ; implicit-def: $vgpr4
	s_branch .LBB150_479
.LBB150_475:
	s_mov_b64 s[2:3], -1
                                        ; implicit-def: $sgpr10
.LBB150_476:
	s_andn2_b64 vcc, exec, s[2:3]
	v_mov_b32_e32 v4, s10
	s_cbranch_vccnz .LBB150_478
; %bb.477:
	v_add_f32_e32 v4, 0x43000000, v3
.LBB150_478:
	s_mov_b64 s[2:3], 0
.LBB150_479:
	s_andn2_b64 vcc, exec, s[2:3]
	s_cbranch_vccnz .LBB150_481
; %bb.480:
	s_mov_b32 s2, 0x7f800000
	v_mov_b32_e32 v4, 0x7c
	v_mov_b32_e32 v5, 0x7f
	v_cmp_lt_u32_e32 vcc, s2, v3
	v_cndmask_b32_e32 v4, v4, v5, vcc
.LBB150_481:
	global_store_byte v[0:1], v4, off
.LBB150_482:
	s_mov_b64 s[10:11], 0
	s_mov_b64 s[2:3], -1
.LBB150_483:
	s_andn2_b64 vcc, exec, s[10:11]
	s_mov_b64 s[10:11], 0
	s_cbranch_vccnz .LBB150_490
; %bb.484:
	v_cmp_lt_i16_e32 vcc, 14, v10
	s_mov_b64 s[12:13], -1
	s_cbranch_vccz .LBB150_488
; %bb.485:
	v_cmp_eq_u16_e32 vcc, 15, v10
	s_mov_b64 s[8:9], -1
	s_cbranch_vccz .LBB150_487
; %bb.486:
	s_and_b32 s2, s23, 0xff
	s_lshl_b32 s2, s2, 23
	v_mov_b32_e32 v3, 0xff
	v_mov_b32_e32 v4, 0x7f800001
	;; [unrolled: 1-line block ×3, first 2 shown]
	v_cmp_ne_u16_sdwa vcc, s23, v3 src0_sel:BYTE_0 src1_sel:DWORD
	v_cndmask_b32_e32 v3, v4, v5, vcc
	v_mov_b32_e32 v4, 0
	v_mov_b32_e32 v5, 0x400000
	v_cmp_ne_u16_sdwa vcc, s23, v4 src0_sel:BYTE_0 src1_sel:DWORD
	v_cndmask_b32_e32 v3, v5, v3, vcc
	v_add_u32_e32 v4, 0x7fff, v3
	v_lshrrev_b32_e32 v4, 16, v4
	v_mov_b32_e32 v5, 0x7fc0
	v_cmp_o_f32_e32 vcc, v3, v3
	v_cndmask_b32_e32 v3, v5, v4, vcc
	global_store_short v[0:1], v3, off
	s_mov_b64 s[8:9], 0
	s_mov_b64 s[2:3], -1
.LBB150_487:
	s_mov_b64 s[12:13], 0
.LBB150_488:
	s_and_b64 vcc, exec, s[12:13]
	s_cbranch_vccz .LBB150_490
; %bb.489:
	v_cmp_ne_u16_e64 s[8:9], 11, v10
	s_mov_b64 s[10:11], -1
.LBB150_490:
	s_and_b64 vcc, exec, s[8:9]
	s_mov_b64 s[8:9], s[4:5]
	s_cbranch_vccnz .LBB150_560
; %bb.491:
	s_andn2_b64 vcc, exec, s[10:11]
	s_cbranch_vccnz .LBB150_493
.LBB150_492:
	v_mov_b32_e32 v3, 1
	s_mov_b64 s[2:3], -1
	global_store_byte v[0:1], v3, off
.LBB150_493:
	s_branch .LBB150_435
.LBB150_494:
	v_cmp_gt_i16_e32 vcc, 5, v10
	s_mov_b64 s[2:3], -1
	s_cbranch_vccnz .LBB150_515
; %bb.495:
	v_cmp_gt_i16_e32 vcc, 8, v10
	s_cbranch_vccnz .LBB150_505
; %bb.496:
	v_cmp_gt_i16_e32 vcc, 9, v10
	s_cbranch_vccnz .LBB150_502
; %bb.497:
	v_cmp_lt_i16_e32 vcc, 9, v10
	s_cbranch_vccz .LBB150_499
; %bb.498:
	s_and_b32 s2, s23, 0xff
	s_lshl_b32 s2, s2, 23
	v_mov_b32_e32 v3, 0xff
	v_cvt_f64_f32_e32 v[4:5], s2
	v_bfrev_b32_e32 v6, 4
	v_cmp_ne_u16_sdwa vcc, s23, v3 src0_sel:BYTE_0 src1_sel:DWORD
	v_cndmask_b32_e32 v3, v6, v4, vcc
	v_mov_b32_e32 v4, 0x7ff80000
	v_mov_b32_e32 v6, 0
	v_cndmask_b32_e32 v4, v4, v5, vcc
	v_bfrev_b32_e32 v5, 28
	v_cmp_ne_u16_sdwa vcc, s23, v6 src0_sel:BYTE_0 src1_sel:DWORD
	v_cndmask_b32_e32 v5, v5, v4, vcc
	v_cndmask_b32_e32 v4, 0, v3, vcc
	v_mov_b32_e32 v7, v6
	global_store_dwordx4 v[0:1], v[4:7], off
	s_mov_b64 s[2:3], 0
.LBB150_499:
	s_andn2_b64 vcc, exec, s[2:3]
	s_cbranch_vccnz .LBB150_501
; %bb.500:
	s_and_b32 s2, s23, 0xff
	v_mov_b32_e32 v3, 0xff
	s_lshl_b32 s10, s2, 23
	v_cmp_ne_u16_sdwa s[2:3], s23, v3 src0_sel:BYTE_0 src1_sel:DWORD
	s_and_b64 s[2:3], s[2:3], exec
	v_mov_b32_e32 v5, 0
	v_cmp_ne_u16_sdwa s[2:3], s23, v5 src0_sel:BYTE_0 src1_sel:DWORD
	s_cselect_b32 s10, s10, 0x7f800001
	s_and_b64 s[2:3], s[2:3], exec
	s_cselect_b32 s2, s10, 0x400000
	v_mov_b32_e32 v4, s2
	global_store_dwordx2 v[0:1], v[4:5], off
.LBB150_501:
	s_mov_b64 s[2:3], 0
.LBB150_502:
	s_andn2_b64 vcc, exec, s[2:3]
	s_cbranch_vccnz .LBB150_504
; %bb.503:
	s_and_b32 s2, s23, 0xff
	s_lshl_b32 s2, s2, 23
	v_cvt_f16_f32_e32 v3, s2
	v_mov_b32_e32 v4, 0xff
	v_mov_b32_e32 v5, 0x7e00
	v_cmp_ne_u16_sdwa vcc, s23, v4 src0_sel:BYTE_0 src1_sel:DWORD
	v_mov_b32_e32 v4, 0
	v_cndmask_b32_e32 v3, v5, v3, vcc
	v_cmp_ne_u16_sdwa vcc, s23, v4 src0_sel:BYTE_0 src1_sel:DWORD
	v_cndmask_b32_e32 v3, 0, v3, vcc
	global_store_dword v[0:1], v3, off
.LBB150_504:
	s_mov_b64 s[2:3], 0
.LBB150_505:
	s_andn2_b64 vcc, exec, s[2:3]
	s_cbranch_vccnz .LBB150_514
; %bb.506:
	v_cmp_gt_i16_e32 vcc, 6, v10
	s_mov_b64 s[2:3], -1
	s_cbranch_vccnz .LBB150_512
; %bb.507:
	v_cmp_lt_i16_e32 vcc, 6, v10
	s_cbranch_vccz .LBB150_509
; %bb.508:
	s_and_b32 s2, s23, 0xff
	s_lshl_b32 s2, s2, 23
	v_mov_b32_e32 v3, 0xff
	v_cvt_f64_f32_e32 v[4:5], s2
	v_bfrev_b32_e32 v6, 4
	v_cmp_ne_u16_sdwa vcc, s23, v3 src0_sel:BYTE_0 src1_sel:DWORD
	v_cndmask_b32_e32 v3, v6, v4, vcc
	v_mov_b32_e32 v4, 0x7ff80000
	v_cndmask_b32_e32 v4, v4, v5, vcc
	v_mov_b32_e32 v5, 0
	v_bfrev_b32_e32 v6, 28
	v_cmp_ne_u16_sdwa vcc, s23, v5 src0_sel:BYTE_0 src1_sel:DWORD
	v_cndmask_b32_e32 v5, v6, v4, vcc
	v_cndmask_b32_e32 v4, 0, v3, vcc
	global_store_dwordx2 v[0:1], v[4:5], off
	s_mov_b64 s[2:3], 0
.LBB150_509:
	s_andn2_b64 vcc, exec, s[2:3]
	s_cbranch_vccnz .LBB150_511
; %bb.510:
	s_and_b32 s2, s23, 0xff
	s_lshl_b32 s2, s2, 23
	v_mov_b32_e32 v3, 0xff
	v_mov_b32_e32 v4, 0x7f800001
	v_mov_b32_e32 v5, s2
	v_cmp_ne_u16_sdwa vcc, s23, v3 src0_sel:BYTE_0 src1_sel:DWORD
	v_cndmask_b32_e32 v3, v4, v5, vcc
	v_mov_b32_e32 v4, 0
	v_mov_b32_e32 v5, 0x400000
	v_cmp_ne_u16_sdwa vcc, s23, v4 src0_sel:BYTE_0 src1_sel:DWORD
	v_cndmask_b32_e32 v3, v5, v3, vcc
	global_store_dword v[0:1], v3, off
.LBB150_511:
	s_mov_b64 s[2:3], 0
.LBB150_512:
	s_andn2_b64 vcc, exec, s[2:3]
	s_cbranch_vccnz .LBB150_514
; %bb.513:
	s_and_b32 s2, s23, 0xff
	s_lshl_b32 s2, s2, 23
	v_cvt_f16_f32_e32 v3, s2
	v_mov_b32_e32 v4, 0xff
	v_mov_b32_e32 v5, 0x7e00
	v_cmp_ne_u16_sdwa vcc, s23, v4 src0_sel:BYTE_0 src1_sel:DWORD
	v_mov_b32_e32 v4, 0
	v_cndmask_b32_e32 v3, v5, v3, vcc
	v_cmp_ne_u16_sdwa vcc, s23, v4 src0_sel:BYTE_0 src1_sel:DWORD
	v_cndmask_b32_e32 v3, 0, v3, vcc
	global_store_short v[0:1], v3, off
.LBB150_514:
	s_mov_b64 s[2:3], 0
.LBB150_515:
	s_andn2_b64 vcc, exec, s[2:3]
	s_cbranch_vccnz .LBB150_531
; %bb.516:
	v_cmp_gt_i16_e32 vcc, 2, v10
	s_mov_b64 s[2:3], -1
	s_cbranch_vccnz .LBB150_526
; %bb.517:
	v_cmp_gt_i16_e32 vcc, 3, v10
	s_cbranch_vccnz .LBB150_523
; %bb.518:
	v_cmp_lt_i16_e32 vcc, 3, v10
	s_cbranch_vccz .LBB150_520
; %bb.519:
	s_and_b32 s2, s23, 0xff
	s_lshl_b32 s2, s2, 23
	v_trunc_f32_e32 v3, s2
	s_mov_b32 s2, 0x2f800000
	v_mul_f32_e64 v4, |v3|, s2
	v_floor_f32_e32 v4, v4
	s_mov_b32 s2, 0xcf800000
	v_fma_f32 v5, v4, s2, |v3|
	v_cvt_u32_f32_e32 v5, v5
	v_cvt_u32_f32_e32 v4, v4
	v_ashrrev_i32_e32 v3, 31, v3
	s_mov_b64 s[2:3], 0
	v_xor_b32_e32 v5, v5, v3
	v_xor_b32_e32 v4, v4, v3
	v_sub_co_u32_e32 v6, vcc, v5, v3
	v_subb_co_u32_e32 v3, vcc, v4, v3, vcc
	v_mov_b32_e32 v4, 0
	v_cmp_ne_u16_sdwa vcc, s23, v4 src0_sel:BYTE_0 src1_sel:DWORD
	v_cndmask_b32_e32 v5, 0, v3, vcc
	v_cndmask_b32_e32 v4, 0, v6, vcc
	global_store_dwordx2 v[0:1], v[4:5], off
.LBB150_520:
	s_andn2_b64 vcc, exec, s[2:3]
	s_cbranch_vccnz .LBB150_522
; %bb.521:
	s_and_b32 s2, s23, 0xff
	s_lshl_b32 s2, s2, 23
	v_cvt_i32_f32_e32 v3, s2
	v_mov_b32_e32 v4, 0
	v_cmp_ne_u16_sdwa vcc, s23, v4 src0_sel:BYTE_0 src1_sel:DWORD
	v_cndmask_b32_e32 v3, 0, v3, vcc
	global_store_dword v[0:1], v3, off
.LBB150_522:
	s_mov_b64 s[2:3], 0
.LBB150_523:
	s_andn2_b64 vcc, exec, s[2:3]
	s_cbranch_vccnz .LBB150_525
; %bb.524:
	s_and_b32 s2, s23, 0xff
	s_lshl_b32 s2, s2, 23
	v_cvt_i32_f32_e32 v3, s2
	v_mov_b32_e32 v4, 0
	v_cmp_ne_u16_sdwa vcc, s23, v4 src0_sel:BYTE_0 src1_sel:DWORD
	v_cndmask_b32_e32 v3, 0, v3, vcc
	global_store_short v[0:1], v3, off
.LBB150_525:
	s_mov_b64 s[2:3], 0
.LBB150_526:
	s_andn2_b64 vcc, exec, s[2:3]
	s_cbranch_vccnz .LBB150_531
; %bb.527:
	v_cmp_lt_i16_e32 vcc, 0, v10
	s_mov_b64 s[2:3], -1
	s_cbranch_vccz .LBB150_529
; %bb.528:
	s_and_b32 s2, s23, 0xff
	s_lshl_b32 s2, s2, 23
	v_cvt_i32_f32_e32 v3, s2
	v_mov_b32_e32 v4, 0
	v_cmp_ne_u16_sdwa vcc, s23, v4 src0_sel:BYTE_0 src1_sel:DWORD
	s_mov_b64 s[2:3], 0
	v_cndmask_b32_e32 v3, 0, v3, vcc
	global_store_byte v[0:1], v3, off
.LBB150_529:
	s_andn2_b64 vcc, exec, s[2:3]
	s_cbranch_vccnz .LBB150_531
; %bb.530:
	s_and_b32 s2, s23, 0xff
	s_lshl_b32 s2, s2, 23
	v_trunc_f32_e32 v3, s2
	s_mov_b32 s2, 0x2f800000
	v_mul_f32_e64 v4, |v3|, s2
	v_floor_f32_e32 v4, v4
	s_mov_b32 s2, 0xcf800000
	v_fma_f32 v4, v4, s2, |v3|
	v_cvt_u32_f32_e32 v4, v4
	v_ashrrev_i32_e32 v3, 31, v3
	v_xor_b32_e32 v4, v4, v3
	v_sub_u32_e32 v3, v4, v3
	v_mov_b32_e32 v4, 0
	v_cmp_ne_u16_sdwa vcc, s23, v4 src0_sel:BYTE_0 src1_sel:DWORD
	v_cndmask_b32_e32 v3, 0, v3, vcc
	global_store_byte v[0:1], v3, off
.LBB150_531:
.LBB150_532:
	s_lshl_b32 s16, s22, 7
	v_add_u32_e32 v2, s16, v2
	v_ashrrev_i32_e32 v1, 31, v2
	v_mov_b32_e32 v3, s21
	v_add_co_u32_e32 v0, vcc, s20, v2
	v_addc_co_u32_e32 v1, vcc, v3, v1, vcc
	s_and_b64 vcc, exec, s[0:1]
	s_cbranch_vccnz .LBB150_558
; %bb.533:
	v_cmp_lt_i16_e32 vcc, 25, v10
	s_mov_b64 s[14:15], -1
	s_mov_b64 s[12:13], 0
	s_mov_b64 s[2:3], 0
	;; [unrolled: 1-line block ×3, first 2 shown]
	s_cbranch_vccz .LBB150_569
; %bb.534:
	v_cmp_lt_i16_e32 vcc, 28, v10
	s_cbranch_vccz .LBB150_547
; %bb.535:
	v_cmp_lt_i16_e32 vcc, 43, v10
	;; [unrolled: 3-line block ×3, first 2 shown]
	s_cbranch_vccz .LBB150_539
; %bb.537:
	v_cmp_eq_u16_e32 vcc, 46, v10
	s_mov_b64 s[10:11], -1
	s_mov_b64 s[14:15], 0
	s_cbranch_vccz .LBB150_539
; %bb.538:
	s_and_b32 s2, s23, 0xff
	s_lshl_b32 s2, s2, 23
	v_mov_b32_e32 v3, 0xff
	v_mov_b32_e32 v4, 0x7f800001
	;; [unrolled: 1-line block ×3, first 2 shown]
	v_cmp_ne_u16_sdwa vcc, s23, v3 src0_sel:BYTE_0 src1_sel:DWORD
	v_cndmask_b32_e32 v3, v4, v5, vcc
	v_mov_b32_e32 v4, 0
	v_mov_b32_e32 v5, 0x400000
	v_cmp_ne_u16_sdwa vcc, s23, v4 src0_sel:BYTE_0 src1_sel:DWORD
	v_cndmask_b32_e32 v3, v5, v3, vcc
	v_add_u32_e32 v4, 0x7fff, v3
	v_lshrrev_b32_e32 v4, 16, v4
	v_mov_b32_e32 v5, 0x7fc0
	v_cmp_o_f32_e32 vcc, v3, v3
	v_cndmask_b32_e32 v3, v5, v4, vcc
	global_store_dword v[0:1], v3, off
	s_mov_b64 s[10:11], 0
	s_mov_b64 s[2:3], -1
.LBB150_539:
	s_and_b64 vcc, exec, s[14:15]
	s_cbranch_vccz .LBB150_542
; %bb.540:
	v_cmp_eq_u16_e32 vcc, 44, v10
	s_mov_b64 s[10:11], -1
	s_cbranch_vccz .LBB150_542
; %bb.541:
	v_mov_b32_e32 v3, s23
	global_store_byte v[0:1], v3, off
	s_mov_b64 s[10:11], 0
	s_mov_b64 s[2:3], -1
.LBB150_542:
	s_mov_b64 s[14:15], 0
.LBB150_543:
	s_and_b64 vcc, exec, s[14:15]
	s_cbranch_vccz .LBB150_546
; %bb.544:
	v_cmp_eq_u16_e32 vcc, 29, v10
	s_mov_b64 s[10:11], -1
	s_cbranch_vccz .LBB150_546
; %bb.545:
	s_and_b32 s2, s23, 0xff
	s_lshl_b32 s2, s2, 23
	v_trunc_f32_e32 v3, s2
	v_mul_f32_e32 v4, 0x2f800000, v3
	v_floor_f32_e32 v4, v4
	v_fmac_f32_e32 v3, 0xcf800000, v4
	v_cvt_u32_f32_e32 v4, v4
	v_cvt_u32_f32_e32 v3, v3
	v_mov_b32_e32 v5, 0
	v_cmp_ne_u16_sdwa vcc, s23, v5 src0_sel:BYTE_0 src1_sel:DWORD
	v_cndmask_b32_e32 v5, 0, v4, vcc
	v_cndmask_b32_e32 v4, 0, v3, vcc
	global_store_dwordx2 v[0:1], v[4:5], off
	s_mov_b64 s[10:11], 0
	s_mov_b64 s[2:3], -1
.LBB150_546:
	s_mov_b64 s[14:15], 0
.LBB150_547:
	s_and_b64 vcc, exec, s[14:15]
	s_cbranch_vccz .LBB150_568
; %bb.548:
	v_cmp_gt_i16_e32 vcc, 27, v10
	s_mov_b64 s[2:3], -1
	s_cbranch_vccnz .LBB150_554
; %bb.549:
	v_cmp_lt_i16_e32 vcc, 27, v10
	s_cbranch_vccz .LBB150_551
; %bb.550:
	s_and_b32 s2, s23, 0xff
	s_lshl_b32 s2, s2, 23
	v_cvt_u32_f32_e32 v3, s2
	v_mov_b32_e32 v4, 0
	v_cmp_ne_u16_sdwa vcc, s23, v4 src0_sel:BYTE_0 src1_sel:DWORD
	s_mov_b64 s[2:3], 0
	v_cndmask_b32_e32 v3, 0, v3, vcc
	global_store_dword v[0:1], v3, off
.LBB150_551:
	s_andn2_b64 vcc, exec, s[2:3]
	s_cbranch_vccnz .LBB150_553
; %bb.552:
	s_and_b32 s2, s23, 0xff
	s_lshl_b32 s2, s2, 23
	v_cvt_u32_f32_e32 v3, s2
	v_mov_b32_e32 v4, 0
	v_cmp_ne_u16_sdwa vcc, s23, v4 src0_sel:BYTE_0 src1_sel:DWORD
	v_cndmask_b32_e32 v3, 0, v3, vcc
	global_store_short v[0:1], v3, off
.LBB150_553:
	s_mov_b64 s[2:3], 0
.LBB150_554:
	s_andn2_b64 vcc, exec, s[2:3]
	s_cbranch_vccnz .LBB150_567
; %bb.555:
	s_and_b32 s2, s23, 0xff
	v_mov_b32_e32 v4, 0xff
	s_lshl_b32 s17, s2, 23
	v_mov_b32_e32 v3, 0
	v_mov_b32_e32 v5, s17
	;; [unrolled: 1-line block ×3, first 2 shown]
	v_cmp_eq_u16_sdwa s[14:15], s23, v4 src0_sel:BYTE_0 src1_sel:DWORD
	v_cndmask_b32_e64 v4, |v5|, v6, s[14:15]
	v_mov_b32_e32 v5, 0x400000
	v_cmp_eq_u16_sdwa s[2:3], s23, v3 src0_sel:BYTE_0 src1_sel:DWORD
	v_cndmask_b32_e64 v3, v4, v5, s[2:3]
	s_mov_b32 s18, 0x437fffff
	v_cmp_lt_u32_e32 vcc, s18, v3
	v_mov_b32_e32 v5, 0x80
	s_cbranch_vccnz .LBB150_566
; %bb.556:
	s_mov_b32 s18, 0x3bffffff
	v_cmp_lt_u32_e32 vcc, s18, v3
	s_cbranch_vccz .LBB150_561
; %bb.557:
	s_add_i32 s17, s17, 0x487ffff
	s_lshr_b32 s17, s17, 20
	s_and_b64 s[14:15], s[14:15], exec
	s_cselect_b32 s14, 0x840, s17
	s_and_b64 s[2:3], s[2:3], exec
	s_cselect_b32 s17, 0x4c, s14
	s_mov_b64 s[14:15], 0
	s_mov_b64 s[2:3], -1
	s_branch .LBB150_562
.LBB150_558:
	s_mov_b64 s[2:3], 0
	s_cbranch_execnz .LBB150_619
.LBB150_559:
	s_andn2_b64 vcc, exec, s[2:3]
	s_cbranch_vccz .LBB150_657
	s_branch .LBB150_824
.LBB150_560:
	s_or_b64 s[8:9], s[4:5], exec
	s_trap 2
	s_cbranch_execz .LBB150_492
	s_branch .LBB150_493
.LBB150_561:
	s_mov_b64 s[14:15], -1
	s_mov_b64 s[2:3], 0
                                        ; implicit-def: $sgpr17
.LBB150_562:
	s_andn2_b64 vcc, exec, s[14:15]
	v_mov_b32_e32 v4, s17
                                        ; implicit-def: $sgpr14
	s_cbranch_vccnz .LBB150_564
; %bb.563:
	v_add_f32_e32 v3, 0x46000000, v3
	v_and_b32_e32 v4, 0xff, v3
	s_mov_b32 s14, 0
	v_cmp_ne_u32_e64 s[2:3], 0, v4
.LBB150_564:
	s_andn2_b64 vcc, exec, s[2:3]
	v_mov_b32_e32 v5, s14
	s_cbranch_vccnz .LBB150_566
; %bb.565:
	v_mov_b32_e32 v5, v4
.LBB150_566:
	global_store_byte v[0:1], v5, off
.LBB150_567:
	s_mov_b64 s[2:3], -1
.LBB150_568:
	s_mov_b64 s[14:15], 0
.LBB150_569:
	s_and_b64 vcc, exec, s[14:15]
	s_cbranch_vccz .LBB150_615
; %bb.570:
	v_cmp_lt_i16_e32 vcc, 22, v10
	s_mov_b64 s[12:13], -1
	s_cbranch_vccz .LBB150_608
; %bb.571:
	v_cmp_gt_i16_e32 vcc, 24, v10
	s_mov_b64 s[2:3], -1
	s_cbranch_vccnz .LBB150_595
; %bb.572:
	v_cmp_lt_i16_e32 vcc, 24, v10
	s_cbranch_vccz .LBB150_582
; %bb.573:
	s_and_b32 s2, s23, 0xff
	v_mov_b32_e32 v4, 0xff
	s_lshl_b32 s14, s2, 23
	v_mov_b32_e32 v3, 0
	v_mov_b32_e32 v5, s14
	;; [unrolled: 1-line block ×3, first 2 shown]
	v_cmp_eq_u16_sdwa s[12:13], s23, v4 src0_sel:BYTE_0 src1_sel:DWORD
	v_cndmask_b32_e64 v4, |v5|, v6, s[12:13]
	v_mov_b32_e32 v5, 0x400000
	v_cmp_eq_u16_sdwa s[2:3], s23, v3 src0_sel:BYTE_0 src1_sel:DWORD
	v_cndmask_b32_e64 v3, v4, v5, s[2:3]
	s_mov_b32 s15, 0x477fffff
	v_cmp_lt_u32_e32 vcc, s15, v3
	v_mov_b32_e32 v5, 0x80
	s_cbranch_vccnz .LBB150_581
; %bb.574:
	s_mov_b32 s15, 0x37ffffff
	v_cmp_lt_u32_e32 vcc, s15, v3
	s_cbranch_vccz .LBB150_576
; %bb.575:
	s_add_i32 s14, s14, 0x88fffff
	s_lshr_b32 s14, s14, 21
	s_and_b64 s[12:13], s[12:13], exec
	s_cselect_b32 s12, 0x440, s14
	s_and_b64 s[2:3], s[2:3], exec
	s_cselect_b32 s14, 0x46, s12
	s_mov_b64 s[12:13], 0
	s_mov_b64 s[2:3], -1
	s_branch .LBB150_577
.LBB150_576:
	s_mov_b64 s[12:13], -1
	s_mov_b64 s[2:3], 0
                                        ; implicit-def: $sgpr14
.LBB150_577:
	s_andn2_b64 vcc, exec, s[12:13]
	v_mov_b32_e32 v4, s14
                                        ; implicit-def: $sgpr12
	s_cbranch_vccnz .LBB150_579
; %bb.578:
	v_add_f32_e32 v3, 0x42800000, v3
	v_and_b32_e32 v4, 0xff, v3
	s_mov_b32 s12, 0
	v_cmp_ne_u32_e64 s[2:3], 0, v4
.LBB150_579:
	s_andn2_b64 vcc, exec, s[2:3]
	v_mov_b32_e32 v5, s12
	s_cbranch_vccnz .LBB150_581
; %bb.580:
	v_mov_b32_e32 v5, v4
.LBB150_581:
	s_mov_b64 s[2:3], 0
	global_store_byte v[0:1], v5, off
.LBB150_582:
	s_and_b64 vcc, exec, s[2:3]
	s_cbranch_vccz .LBB150_594
; %bb.583:
	s_and_b32 s2, s23, 0xff
	v_mov_b32_e32 v4, 0xff
	s_lshl_b32 s14, s2, 23
	v_mov_b32_e32 v3, 0
	v_mov_b32_e32 v5, s14
	;; [unrolled: 1-line block ×3, first 2 shown]
	v_cmp_eq_u16_sdwa s[12:13], s23, v4 src0_sel:BYTE_0 src1_sel:DWORD
	v_cndmask_b32_e64 v4, |v5|, v6, s[12:13]
	v_mov_b32_e32 v5, 0x400000
	v_cmp_eq_u16_sdwa s[2:3], s23, v3 src0_sel:BYTE_0 src1_sel:DWORD
	v_cndmask_b32_e64 v3, v4, v5, s[2:3]
	s_mov_b32 s15, 0x43f00000
	v_cmp_gt_u32_e32 vcc, s15, v3
	s_cbranch_vccz .LBB150_586
; %bb.584:
	s_mov_b32 s15, 0x3c7fffff
	v_cmp_lt_u32_e32 vcc, s15, v3
	s_cbranch_vccz .LBB150_587
; %bb.585:
	s_add_i32 s14, s14, 0x407ffff
	s_lshr_b32 s14, s14, 20
	s_and_b64 s[12:13], s[12:13], exec
	s_cselect_b32 s12, 0x838, s14
	s_and_b64 s[2:3], s[2:3], exec
	s_cselect_b32 s12, 0x44, s12
	s_mov_b64 s[2:3], 0
	s_branch .LBB150_588
.LBB150_586:
	s_mov_b64 s[2:3], -1
                                        ; implicit-def: $vgpr4
	s_branch .LBB150_591
.LBB150_587:
	s_mov_b64 s[2:3], -1
                                        ; implicit-def: $sgpr12
.LBB150_588:
	s_andn2_b64 vcc, exec, s[2:3]
	v_mov_b32_e32 v4, s12
	s_cbranch_vccnz .LBB150_590
; %bb.589:
	v_add_f32_e32 v4, 0x46800000, v3
.LBB150_590:
	s_mov_b64 s[2:3], 0
.LBB150_591:
	s_andn2_b64 vcc, exec, s[2:3]
	s_cbranch_vccnz .LBB150_593
; %bb.592:
	s_mov_b32 s2, 0x7f800000
	v_mov_b32_e32 v4, 0x7e
	v_mov_b32_e32 v5, 0x7f
	v_cmp_lt_u32_e32 vcc, s2, v3
	v_cndmask_b32_e32 v4, v4, v5, vcc
.LBB150_593:
	global_store_byte v[0:1], v4, off
.LBB150_594:
	s_mov_b64 s[2:3], 0
.LBB150_595:
	s_andn2_b64 vcc, exec, s[2:3]
	s_cbranch_vccnz .LBB150_607
; %bb.596:
	s_and_b32 s2, s23, 0xff
	v_mov_b32_e32 v4, 0xff
	s_lshl_b32 s14, s2, 23
	v_mov_b32_e32 v3, 0
	v_mov_b32_e32 v5, s14
	v_mov_b32_e32 v6, 0x7f800001
	v_cmp_eq_u16_sdwa s[12:13], s23, v4 src0_sel:BYTE_0 src1_sel:DWORD
	v_cndmask_b32_e64 v4, |v5|, v6, s[12:13]
	v_mov_b32_e32 v5, 0x400000
	v_cmp_eq_u16_sdwa s[2:3], s23, v3 src0_sel:BYTE_0 src1_sel:DWORD
	v_cndmask_b32_e64 v3, v4, v5, s[2:3]
	s_mov_b32 s15, 0x47800000
	v_cmp_gt_u32_e32 vcc, s15, v3
	s_cbranch_vccz .LBB150_599
; %bb.597:
	s_mov_b32 s15, 0x387fffff
	v_cmp_lt_u32_e32 vcc, s15, v3
	s_cbranch_vccz .LBB150_600
; %bb.598:
	s_add_i32 s14, s14, 0x80fffff
	s_lshr_b32 s14, s14, 21
	s_and_b64 s[12:13], s[12:13], exec
	s_cselect_b32 s12, 0x43c, s14
	s_and_b64 s[2:3], s[2:3], exec
	s_cselect_b32 s12, 0x42, s12
	s_mov_b64 s[2:3], 0
	s_branch .LBB150_601
.LBB150_599:
	s_mov_b64 s[2:3], -1
                                        ; implicit-def: $vgpr4
	s_branch .LBB150_604
.LBB150_600:
	s_mov_b64 s[2:3], -1
                                        ; implicit-def: $sgpr12
.LBB150_601:
	s_andn2_b64 vcc, exec, s[2:3]
	v_mov_b32_e32 v4, s12
	s_cbranch_vccnz .LBB150_603
; %bb.602:
	v_add_f32_e32 v4, 0x43000000, v3
.LBB150_603:
	s_mov_b64 s[2:3], 0
.LBB150_604:
	s_andn2_b64 vcc, exec, s[2:3]
	s_cbranch_vccnz .LBB150_606
; %bb.605:
	s_mov_b32 s2, 0x7f800000
	v_mov_b32_e32 v4, 0x7c
	v_mov_b32_e32 v5, 0x7f
	v_cmp_lt_u32_e32 vcc, s2, v3
	v_cndmask_b32_e32 v4, v4, v5, vcc
.LBB150_606:
	global_store_byte v[0:1], v4, off
.LBB150_607:
	s_mov_b64 s[12:13], 0
	s_mov_b64 s[2:3], -1
.LBB150_608:
	s_andn2_b64 vcc, exec, s[12:13]
	s_mov_b64 s[12:13], 0
	s_cbranch_vccnz .LBB150_615
; %bb.609:
	v_cmp_lt_i16_e32 vcc, 14, v10
	s_mov_b64 s[14:15], -1
	s_cbranch_vccz .LBB150_613
; %bb.610:
	v_cmp_eq_u16_e32 vcc, 15, v10
	s_mov_b64 s[10:11], -1
	s_cbranch_vccz .LBB150_612
; %bb.611:
	s_and_b32 s2, s23, 0xff
	s_lshl_b32 s2, s2, 23
	v_mov_b32_e32 v3, 0xff
	v_mov_b32_e32 v4, 0x7f800001
	;; [unrolled: 1-line block ×3, first 2 shown]
	v_cmp_ne_u16_sdwa vcc, s23, v3 src0_sel:BYTE_0 src1_sel:DWORD
	v_cndmask_b32_e32 v3, v4, v5, vcc
	v_mov_b32_e32 v4, 0
	v_mov_b32_e32 v5, 0x400000
	v_cmp_ne_u16_sdwa vcc, s23, v4 src0_sel:BYTE_0 src1_sel:DWORD
	v_cndmask_b32_e32 v3, v5, v3, vcc
	v_add_u32_e32 v4, 0x7fff, v3
	v_lshrrev_b32_e32 v4, 16, v4
	v_mov_b32_e32 v5, 0x7fc0
	v_cmp_o_f32_e32 vcc, v3, v3
	v_cndmask_b32_e32 v3, v5, v4, vcc
	global_store_short v[0:1], v3, off
	s_mov_b64 s[10:11], 0
	s_mov_b64 s[2:3], -1
.LBB150_612:
	s_mov_b64 s[14:15], 0
.LBB150_613:
	s_and_b64 vcc, exec, s[14:15]
	s_cbranch_vccz .LBB150_615
; %bb.614:
	v_cmp_ne_u16_e64 s[10:11], 11, v10
	s_mov_b64 s[12:13], -1
.LBB150_615:
	s_and_b64 vcc, exec, s[10:11]
	s_cbranch_vccnz .LBB150_713
; %bb.616:
	s_andn2_b64 vcc, exec, s[12:13]
	s_cbranch_vccnz .LBB150_618
.LBB150_617:
	v_mov_b32_e32 v3, 1
	s_mov_b64 s[2:3], -1
	global_store_byte v[0:1], v3, off
.LBB150_618:
	s_branch .LBB150_559
.LBB150_619:
	v_cmp_gt_i16_e32 vcc, 5, v10
	s_mov_b64 s[2:3], -1
	s_cbranch_vccnz .LBB150_640
; %bb.620:
	v_cmp_gt_i16_e32 vcc, 8, v10
	s_cbranch_vccnz .LBB150_630
; %bb.621:
	v_cmp_gt_i16_e32 vcc, 9, v10
	s_cbranch_vccnz .LBB150_627
; %bb.622:
	v_cmp_lt_i16_e32 vcc, 9, v10
	s_cbranch_vccz .LBB150_624
; %bb.623:
	s_and_b32 s2, s23, 0xff
	s_lshl_b32 s2, s2, 23
	v_mov_b32_e32 v3, 0xff
	v_cvt_f64_f32_e32 v[4:5], s2
	v_bfrev_b32_e32 v6, 4
	v_cmp_ne_u16_sdwa vcc, s23, v3 src0_sel:BYTE_0 src1_sel:DWORD
	v_cndmask_b32_e32 v3, v6, v4, vcc
	v_mov_b32_e32 v4, 0x7ff80000
	v_mov_b32_e32 v6, 0
	v_cndmask_b32_e32 v4, v4, v5, vcc
	v_bfrev_b32_e32 v5, 28
	v_cmp_ne_u16_sdwa vcc, s23, v6 src0_sel:BYTE_0 src1_sel:DWORD
	v_cndmask_b32_e32 v5, v5, v4, vcc
	v_cndmask_b32_e32 v4, 0, v3, vcc
	v_mov_b32_e32 v7, v6
	global_store_dwordx4 v[0:1], v[4:7], off
	s_mov_b64 s[2:3], 0
.LBB150_624:
	s_andn2_b64 vcc, exec, s[2:3]
	s_cbranch_vccnz .LBB150_626
; %bb.625:
	s_and_b32 s2, s23, 0xff
	v_mov_b32_e32 v3, 0xff
	s_lshl_b32 s10, s2, 23
	v_cmp_ne_u16_sdwa s[2:3], s23, v3 src0_sel:BYTE_0 src1_sel:DWORD
	s_and_b64 s[2:3], s[2:3], exec
	v_mov_b32_e32 v5, 0
	v_cmp_ne_u16_sdwa s[2:3], s23, v5 src0_sel:BYTE_0 src1_sel:DWORD
	s_cselect_b32 s10, s10, 0x7f800001
	s_and_b64 s[2:3], s[2:3], exec
	s_cselect_b32 s2, s10, 0x400000
	v_mov_b32_e32 v4, s2
	global_store_dwordx2 v[0:1], v[4:5], off
.LBB150_626:
	s_mov_b64 s[2:3], 0
.LBB150_627:
	s_andn2_b64 vcc, exec, s[2:3]
	s_cbranch_vccnz .LBB150_629
; %bb.628:
	s_and_b32 s2, s23, 0xff
	s_lshl_b32 s2, s2, 23
	v_cvt_f16_f32_e32 v3, s2
	v_mov_b32_e32 v4, 0xff
	v_mov_b32_e32 v5, 0x7e00
	v_cmp_ne_u16_sdwa vcc, s23, v4 src0_sel:BYTE_0 src1_sel:DWORD
	v_mov_b32_e32 v4, 0
	v_cndmask_b32_e32 v3, v5, v3, vcc
	v_cmp_ne_u16_sdwa vcc, s23, v4 src0_sel:BYTE_0 src1_sel:DWORD
	v_cndmask_b32_e32 v3, 0, v3, vcc
	global_store_dword v[0:1], v3, off
.LBB150_629:
	s_mov_b64 s[2:3], 0
.LBB150_630:
	s_andn2_b64 vcc, exec, s[2:3]
	s_cbranch_vccnz .LBB150_639
; %bb.631:
	v_cmp_gt_i16_e32 vcc, 6, v10
	s_mov_b64 s[2:3], -1
	s_cbranch_vccnz .LBB150_637
; %bb.632:
	v_cmp_lt_i16_e32 vcc, 6, v10
	s_cbranch_vccz .LBB150_634
; %bb.633:
	s_and_b32 s2, s23, 0xff
	s_lshl_b32 s2, s2, 23
	v_mov_b32_e32 v3, 0xff
	v_cvt_f64_f32_e32 v[4:5], s2
	v_bfrev_b32_e32 v6, 4
	v_cmp_ne_u16_sdwa vcc, s23, v3 src0_sel:BYTE_0 src1_sel:DWORD
	v_cndmask_b32_e32 v3, v6, v4, vcc
	v_mov_b32_e32 v4, 0x7ff80000
	v_cndmask_b32_e32 v4, v4, v5, vcc
	v_mov_b32_e32 v5, 0
	v_bfrev_b32_e32 v6, 28
	v_cmp_ne_u16_sdwa vcc, s23, v5 src0_sel:BYTE_0 src1_sel:DWORD
	v_cndmask_b32_e32 v5, v6, v4, vcc
	v_cndmask_b32_e32 v4, 0, v3, vcc
	global_store_dwordx2 v[0:1], v[4:5], off
	s_mov_b64 s[2:3], 0
.LBB150_634:
	s_andn2_b64 vcc, exec, s[2:3]
	s_cbranch_vccnz .LBB150_636
; %bb.635:
	s_and_b32 s2, s23, 0xff
	s_lshl_b32 s2, s2, 23
	v_mov_b32_e32 v3, 0xff
	v_mov_b32_e32 v4, 0x7f800001
	;; [unrolled: 1-line block ×3, first 2 shown]
	v_cmp_ne_u16_sdwa vcc, s23, v3 src0_sel:BYTE_0 src1_sel:DWORD
	v_cndmask_b32_e32 v3, v4, v5, vcc
	v_mov_b32_e32 v4, 0
	v_mov_b32_e32 v5, 0x400000
	v_cmp_ne_u16_sdwa vcc, s23, v4 src0_sel:BYTE_0 src1_sel:DWORD
	v_cndmask_b32_e32 v3, v5, v3, vcc
	global_store_dword v[0:1], v3, off
.LBB150_636:
	s_mov_b64 s[2:3], 0
.LBB150_637:
	s_andn2_b64 vcc, exec, s[2:3]
	s_cbranch_vccnz .LBB150_639
; %bb.638:
	s_and_b32 s2, s23, 0xff
	s_lshl_b32 s2, s2, 23
	v_cvt_f16_f32_e32 v3, s2
	v_mov_b32_e32 v4, 0xff
	v_mov_b32_e32 v5, 0x7e00
	v_cmp_ne_u16_sdwa vcc, s23, v4 src0_sel:BYTE_0 src1_sel:DWORD
	v_mov_b32_e32 v4, 0
	v_cndmask_b32_e32 v3, v5, v3, vcc
	v_cmp_ne_u16_sdwa vcc, s23, v4 src0_sel:BYTE_0 src1_sel:DWORD
	v_cndmask_b32_e32 v3, 0, v3, vcc
	global_store_short v[0:1], v3, off
.LBB150_639:
	s_mov_b64 s[2:3], 0
.LBB150_640:
	s_andn2_b64 vcc, exec, s[2:3]
	s_cbranch_vccnz .LBB150_656
; %bb.641:
	v_cmp_gt_i16_e32 vcc, 2, v10
	s_mov_b64 s[2:3], -1
	s_cbranch_vccnz .LBB150_651
; %bb.642:
	v_cmp_gt_i16_e32 vcc, 3, v10
	s_cbranch_vccnz .LBB150_648
; %bb.643:
	v_cmp_lt_i16_e32 vcc, 3, v10
	s_cbranch_vccz .LBB150_645
; %bb.644:
	s_and_b32 s2, s23, 0xff
	s_lshl_b32 s2, s2, 23
	v_trunc_f32_e32 v3, s2
	s_mov_b32 s2, 0x2f800000
	v_mul_f32_e64 v4, |v3|, s2
	v_floor_f32_e32 v4, v4
	s_mov_b32 s2, 0xcf800000
	v_fma_f32 v5, v4, s2, |v3|
	v_cvt_u32_f32_e32 v5, v5
	v_cvt_u32_f32_e32 v4, v4
	v_ashrrev_i32_e32 v3, 31, v3
	s_mov_b64 s[2:3], 0
	v_xor_b32_e32 v5, v5, v3
	v_xor_b32_e32 v4, v4, v3
	v_sub_co_u32_e32 v6, vcc, v5, v3
	v_subb_co_u32_e32 v3, vcc, v4, v3, vcc
	v_mov_b32_e32 v4, 0
	v_cmp_ne_u16_sdwa vcc, s23, v4 src0_sel:BYTE_0 src1_sel:DWORD
	v_cndmask_b32_e32 v5, 0, v3, vcc
	v_cndmask_b32_e32 v4, 0, v6, vcc
	global_store_dwordx2 v[0:1], v[4:5], off
.LBB150_645:
	s_andn2_b64 vcc, exec, s[2:3]
	s_cbranch_vccnz .LBB150_647
; %bb.646:
	s_and_b32 s2, s23, 0xff
	s_lshl_b32 s2, s2, 23
	v_cvt_i32_f32_e32 v3, s2
	v_mov_b32_e32 v4, 0
	v_cmp_ne_u16_sdwa vcc, s23, v4 src0_sel:BYTE_0 src1_sel:DWORD
	v_cndmask_b32_e32 v3, 0, v3, vcc
	global_store_dword v[0:1], v3, off
.LBB150_647:
	s_mov_b64 s[2:3], 0
.LBB150_648:
	s_andn2_b64 vcc, exec, s[2:3]
	s_cbranch_vccnz .LBB150_650
; %bb.649:
	s_and_b32 s2, s23, 0xff
	s_lshl_b32 s2, s2, 23
	v_cvt_i32_f32_e32 v3, s2
	v_mov_b32_e32 v4, 0
	v_cmp_ne_u16_sdwa vcc, s23, v4 src0_sel:BYTE_0 src1_sel:DWORD
	v_cndmask_b32_e32 v3, 0, v3, vcc
	global_store_short v[0:1], v3, off
.LBB150_650:
	s_mov_b64 s[2:3], 0
.LBB150_651:
	s_andn2_b64 vcc, exec, s[2:3]
	s_cbranch_vccnz .LBB150_656
; %bb.652:
	v_cmp_lt_i16_e32 vcc, 0, v10
	s_mov_b64 s[2:3], -1
	s_cbranch_vccz .LBB150_654
; %bb.653:
	s_and_b32 s2, s23, 0xff
	s_lshl_b32 s2, s2, 23
	v_cvt_i32_f32_e32 v3, s2
	v_mov_b32_e32 v4, 0
	v_cmp_ne_u16_sdwa vcc, s23, v4 src0_sel:BYTE_0 src1_sel:DWORD
	s_mov_b64 s[2:3], 0
	v_cndmask_b32_e32 v3, 0, v3, vcc
	global_store_byte v[0:1], v3, off
.LBB150_654:
	s_andn2_b64 vcc, exec, s[2:3]
	s_cbranch_vccnz .LBB150_656
; %bb.655:
	s_and_b32 s2, s23, 0xff
	s_lshl_b32 s2, s2, 23
	v_trunc_f32_e32 v3, s2
	s_mov_b32 s2, 0x2f800000
	v_mul_f32_e64 v4, |v3|, s2
	v_floor_f32_e32 v4, v4
	s_mov_b32 s2, 0xcf800000
	v_fma_f32 v4, v4, s2, |v3|
	v_cvt_u32_f32_e32 v4, v4
	v_ashrrev_i32_e32 v3, 31, v3
	v_xor_b32_e32 v4, v4, v3
	v_sub_u32_e32 v3, v4, v3
	v_mov_b32_e32 v4, 0
	v_cmp_ne_u16_sdwa vcc, s23, v4 src0_sel:BYTE_0 src1_sel:DWORD
	v_cndmask_b32_e32 v3, 0, v3, vcc
	global_store_byte v[0:1], v3, off
.LBB150_656:
.LBB150_657:
	v_add_u32_e32 v2, s16, v2
	v_ashrrev_i32_e32 v1, 31, v2
	v_mov_b32_e32 v3, s21
	v_add_co_u32_e32 v0, vcc, s20, v2
	v_addc_co_u32_e32 v1, vcc, v3, v1, vcc
	s_and_b64 vcc, exec, s[0:1]
	s_cbranch_vccnz .LBB150_683
; %bb.658:
	v_cmp_lt_i16_e32 vcc, 25, v10
	s_mov_b64 s[14:15], -1
	s_mov_b64 s[12:13], 0
	s_mov_b64 s[2:3], 0
	;; [unrolled: 1-line block ×3, first 2 shown]
	s_cbranch_vccz .LBB150_722
; %bb.659:
	v_cmp_lt_i16_e32 vcc, 28, v10
	s_cbranch_vccz .LBB150_672
; %bb.660:
	v_cmp_lt_i16_e32 vcc, 43, v10
	;; [unrolled: 3-line block ×3, first 2 shown]
	s_cbranch_vccz .LBB150_664
; %bb.662:
	v_cmp_eq_u16_e32 vcc, 46, v10
	s_mov_b64 s[10:11], -1
	s_mov_b64 s[14:15], 0
	s_cbranch_vccz .LBB150_664
; %bb.663:
	s_and_b32 s2, s23, 0xff
	s_lshl_b32 s2, s2, 23
	v_mov_b32_e32 v3, 0xff
	v_mov_b32_e32 v4, 0x7f800001
	;; [unrolled: 1-line block ×3, first 2 shown]
	v_cmp_ne_u16_sdwa vcc, s23, v3 src0_sel:BYTE_0 src1_sel:DWORD
	v_cndmask_b32_e32 v3, v4, v5, vcc
	v_mov_b32_e32 v4, 0
	v_mov_b32_e32 v5, 0x400000
	v_cmp_ne_u16_sdwa vcc, s23, v4 src0_sel:BYTE_0 src1_sel:DWORD
	v_cndmask_b32_e32 v3, v5, v3, vcc
	v_add_u32_e32 v4, 0x7fff, v3
	v_lshrrev_b32_e32 v4, 16, v4
	v_mov_b32_e32 v5, 0x7fc0
	v_cmp_o_f32_e32 vcc, v3, v3
	v_cndmask_b32_e32 v3, v5, v4, vcc
	global_store_dword v[0:1], v3, off
	s_mov_b64 s[10:11], 0
	s_mov_b64 s[2:3], -1
.LBB150_664:
	s_and_b64 vcc, exec, s[14:15]
	s_cbranch_vccz .LBB150_667
; %bb.665:
	v_cmp_eq_u16_e32 vcc, 44, v10
	s_mov_b64 s[10:11], -1
	s_cbranch_vccz .LBB150_667
; %bb.666:
	v_mov_b32_e32 v3, s23
	global_store_byte v[0:1], v3, off
	s_mov_b64 s[10:11], 0
	s_mov_b64 s[2:3], -1
.LBB150_667:
	s_mov_b64 s[14:15], 0
.LBB150_668:
	s_and_b64 vcc, exec, s[14:15]
	s_cbranch_vccz .LBB150_671
; %bb.669:
	v_cmp_eq_u16_e32 vcc, 29, v10
	s_mov_b64 s[10:11], -1
	s_cbranch_vccz .LBB150_671
; %bb.670:
	s_and_b32 s2, s23, 0xff
	s_lshl_b32 s2, s2, 23
	v_trunc_f32_e32 v3, s2
	v_mul_f32_e32 v4, 0x2f800000, v3
	v_floor_f32_e32 v4, v4
	v_fmac_f32_e32 v3, 0xcf800000, v4
	v_cvt_u32_f32_e32 v4, v4
	v_cvt_u32_f32_e32 v3, v3
	v_mov_b32_e32 v5, 0
	v_cmp_ne_u16_sdwa vcc, s23, v5 src0_sel:BYTE_0 src1_sel:DWORD
	v_cndmask_b32_e32 v5, 0, v4, vcc
	v_cndmask_b32_e32 v4, 0, v3, vcc
	global_store_dwordx2 v[0:1], v[4:5], off
	s_mov_b64 s[10:11], 0
	s_mov_b64 s[2:3], -1
.LBB150_671:
	s_mov_b64 s[14:15], 0
.LBB150_672:
	s_and_b64 vcc, exec, s[14:15]
	s_cbranch_vccz .LBB150_721
; %bb.673:
	v_cmp_gt_i16_e32 vcc, 27, v10
	s_mov_b64 s[2:3], -1
	s_cbranch_vccnz .LBB150_679
; %bb.674:
	v_cmp_lt_i16_e32 vcc, 27, v10
	s_cbranch_vccz .LBB150_676
; %bb.675:
	s_and_b32 s2, s23, 0xff
	s_lshl_b32 s2, s2, 23
	v_cvt_u32_f32_e32 v3, s2
	v_mov_b32_e32 v4, 0
	v_cmp_ne_u16_sdwa vcc, s23, v4 src0_sel:BYTE_0 src1_sel:DWORD
	s_mov_b64 s[2:3], 0
	v_cndmask_b32_e32 v3, 0, v3, vcc
	global_store_dword v[0:1], v3, off
.LBB150_676:
	s_andn2_b64 vcc, exec, s[2:3]
	s_cbranch_vccnz .LBB150_678
; %bb.677:
	s_and_b32 s2, s23, 0xff
	s_lshl_b32 s2, s2, 23
	v_cvt_u32_f32_e32 v3, s2
	v_mov_b32_e32 v4, 0
	v_cmp_ne_u16_sdwa vcc, s23, v4 src0_sel:BYTE_0 src1_sel:DWORD
	v_cndmask_b32_e32 v3, 0, v3, vcc
	global_store_short v[0:1], v3, off
.LBB150_678:
	s_mov_b64 s[2:3], 0
.LBB150_679:
	s_andn2_b64 vcc, exec, s[2:3]
	s_cbranch_vccnz .LBB150_720
; %bb.680:
	s_and_b32 s2, s23, 0xff
	v_mov_b32_e32 v4, 0xff
	s_lshl_b32 s17, s2, 23
	v_mov_b32_e32 v3, 0
	v_mov_b32_e32 v5, s17
	;; [unrolled: 1-line block ×3, first 2 shown]
	v_cmp_eq_u16_sdwa s[14:15], s23, v4 src0_sel:BYTE_0 src1_sel:DWORD
	v_cndmask_b32_e64 v4, |v5|, v6, s[14:15]
	v_mov_b32_e32 v5, 0x400000
	v_cmp_eq_u16_sdwa s[2:3], s23, v3 src0_sel:BYTE_0 src1_sel:DWORD
	v_cndmask_b32_e64 v3, v4, v5, s[2:3]
	s_mov_b32 s18, 0x437fffff
	v_cmp_lt_u32_e32 vcc, s18, v3
	v_mov_b32_e32 v5, 0x80
	s_cbranch_vccnz .LBB150_719
; %bb.681:
	s_mov_b32 s18, 0x3bffffff
	v_cmp_lt_u32_e32 vcc, s18, v3
	s_cbranch_vccz .LBB150_714
; %bb.682:
	s_add_i32 s17, s17, 0x487ffff
	s_lshr_b32 s17, s17, 20
	s_and_b64 s[14:15], s[14:15], exec
	s_cselect_b32 s14, 0x840, s17
	s_and_b64 s[2:3], s[2:3], exec
	s_cselect_b32 s17, 0x4c, s14
	s_mov_b64 s[14:15], 0
	s_mov_b64 s[2:3], -1
	s_branch .LBB150_715
.LBB150_683:
	s_mov_b64 s[2:3], 0
	s_cbranch_execnz .LBB150_786
.LBB150_684:
	s_andn2_b64 vcc, exec, s[2:3]
	s_cbranch_vccnz .LBB150_824
.LBB150_685:
	v_add_u32_e32 v0, s16, v2
	v_ashrrev_i32_e32 v1, 31, v0
	v_mov_b32_e32 v2, s21
	v_add_co_u32_e32 v0, vcc, s20, v0
	v_addc_co_u32_e32 v1, vcc, v2, v1, vcc
	s_and_b64 vcc, exec, s[0:1]
	s_cbranch_vccnz .LBB150_712
; %bb.686:
	v_cmp_lt_i16_e32 vcc, 25, v10
	s_mov_b64 s[0:1], -1
	s_mov_b64 s[10:11], 0
	s_mov_b64 s[2:3], 0
	s_cbranch_vccz .LBB150_736
; %bb.687:
	v_cmp_lt_i16_e32 vcc, 28, v10
	s_cbranch_vccz .LBB150_701
; %bb.688:
	v_cmp_lt_i16_e32 vcc, 43, v10
	;; [unrolled: 3-line block ×3, first 2 shown]
	s_cbranch_vccz .LBB150_693
; %bb.690:
	v_cmp_eq_u16_e32 vcc, 46, v10
	s_mov_b64 s[2:3], -1
	s_cbranch_vccz .LBB150_692
; %bb.691:
	s_and_b32 s0, s23, 0xff
	s_lshl_b32 s0, s0, 23
	v_mov_b32_e32 v2, 0xff
	v_mov_b32_e32 v3, 0x7f800001
	;; [unrolled: 1-line block ×3, first 2 shown]
	v_cmp_ne_u16_sdwa vcc, s23, v2 src0_sel:BYTE_0 src1_sel:DWORD
	v_cndmask_b32_e32 v2, v3, v4, vcc
	v_mov_b32_e32 v3, 0
	v_mov_b32_e32 v4, 0x400000
	v_cmp_ne_u16_sdwa vcc, s23, v3 src0_sel:BYTE_0 src1_sel:DWORD
	v_cndmask_b32_e32 v2, v4, v2, vcc
	v_add_u32_e32 v3, 0x7fff, v2
	v_lshrrev_b32_e32 v3, 16, v3
	v_mov_b32_e32 v4, 0x7fc0
	v_cmp_o_f32_e32 vcc, v2, v2
	v_cndmask_b32_e32 v2, v4, v3, vcc
	global_store_dword v[0:1], v2, off
	s_mov_b64 s[2:3], 0
.LBB150_692:
	s_mov_b64 s[0:1], 0
.LBB150_693:
	s_and_b64 vcc, exec, s[0:1]
	s_cbranch_vccz .LBB150_696
; %bb.694:
	v_cmp_eq_u16_e32 vcc, 44, v10
	s_mov_b64 s[2:3], -1
	s_cbranch_vccz .LBB150_696
; %bb.695:
	v_mov_b32_e32 v2, s23
	global_store_byte v[0:1], v2, off
	s_mov_b64 s[2:3], 0
.LBB150_696:
	s_mov_b64 s[0:1], 0
.LBB150_697:
	s_and_b64 vcc, exec, s[0:1]
	s_cbranch_vccz .LBB150_700
; %bb.698:
	v_cmp_eq_u16_e32 vcc, 29, v10
	s_mov_b64 s[2:3], -1
	s_cbranch_vccz .LBB150_700
; %bb.699:
	s_and_b32 s0, s23, 0xff
	s_lshl_b32 s0, s0, 23
	v_trunc_f32_e32 v2, s0
	v_mul_f32_e32 v3, 0x2f800000, v2
	v_floor_f32_e32 v3, v3
	v_fmac_f32_e32 v2, 0xcf800000, v3
	v_cvt_u32_f32_e32 v3, v3
	v_cvt_u32_f32_e32 v2, v2
	v_mov_b32_e32 v4, 0
	v_cmp_ne_u16_sdwa vcc, s23, v4 src0_sel:BYTE_0 src1_sel:DWORD
	v_cndmask_b32_e32 v3, 0, v3, vcc
	v_cndmask_b32_e32 v2, 0, v2, vcc
	global_store_dwordx2 v[0:1], v[2:3], off
	s_mov_b64 s[2:3], 0
.LBB150_700:
	s_mov_b64 s[0:1], 0
.LBB150_701:
	s_and_b64 vcc, exec, s[0:1]
	s_cbranch_vccz .LBB150_735
; %bb.702:
	v_cmp_gt_i16_e32 vcc, 27, v10
	s_mov_b64 s[0:1], -1
	s_cbranch_vccnz .LBB150_708
; %bb.703:
	v_cmp_lt_i16_e32 vcc, 27, v10
	s_cbranch_vccz .LBB150_705
; %bb.704:
	s_and_b32 s0, s23, 0xff
	s_lshl_b32 s0, s0, 23
	v_cvt_u32_f32_e32 v2, s0
	v_mov_b32_e32 v3, 0
	v_cmp_ne_u16_sdwa vcc, s23, v3 src0_sel:BYTE_0 src1_sel:DWORD
	s_mov_b64 s[0:1], 0
	v_cndmask_b32_e32 v2, 0, v2, vcc
	global_store_dword v[0:1], v2, off
.LBB150_705:
	s_andn2_b64 vcc, exec, s[0:1]
	s_cbranch_vccnz .LBB150_707
; %bb.706:
	s_and_b32 s0, s23, 0xff
	s_lshl_b32 s0, s0, 23
	v_cvt_u32_f32_e32 v2, s0
	v_mov_b32_e32 v3, 0
	v_cmp_ne_u16_sdwa vcc, s23, v3 src0_sel:BYTE_0 src1_sel:DWORD
	v_cndmask_b32_e32 v2, 0, v2, vcc
	global_store_short v[0:1], v2, off
.LBB150_707:
	s_mov_b64 s[0:1], 0
.LBB150_708:
	s_andn2_b64 vcc, exec, s[0:1]
	s_cbranch_vccnz .LBB150_735
; %bb.709:
	s_and_b32 s0, s23, 0xff
	v_mov_b32_e32 v3, 0xff
	s_lshl_b32 s14, s0, 23
	v_mov_b32_e32 v2, 0
	v_mov_b32_e32 v4, s14
	;; [unrolled: 1-line block ×3, first 2 shown]
	v_cmp_eq_u16_sdwa s[12:13], s23, v3 src0_sel:BYTE_0 src1_sel:DWORD
	v_cndmask_b32_e64 v3, |v4|, v5, s[12:13]
	v_mov_b32_e32 v4, 0x400000
	v_cmp_eq_u16_sdwa s[0:1], s23, v2 src0_sel:BYTE_0 src1_sel:DWORD
	v_cndmask_b32_e64 v2, v3, v4, s[0:1]
	s_mov_b32 s15, 0x437fffff
	v_cmp_lt_u32_e32 vcc, s15, v2
	v_mov_b32_e32 v4, 0x80
	s_cbranch_vccnz .LBB150_734
; %bb.710:
	s_mov_b32 s15, 0x3bffffff
	v_cmp_lt_u32_e32 vcc, s15, v2
	s_cbranch_vccz .LBB150_729
; %bb.711:
	s_add_i32 s14, s14, 0x487ffff
	s_lshr_b32 s14, s14, 20
	s_and_b64 s[12:13], s[12:13], exec
	s_cselect_b32 s12, 0x840, s14
	s_and_b64 s[0:1], s[0:1], exec
	s_cselect_b32 s14, 0x4c, s12
	s_mov_b64 s[12:13], 0
	s_mov_b64 s[0:1], -1
	s_branch .LBB150_730
.LBB150_712:
	s_mov_b64 s[10:11], 0
	s_mov_b64 s[0:1], -1
	s_branch .LBB150_825
.LBB150_713:
	s_trap 2
	s_or_b64 s[8:9], s[8:9], exec
	s_cbranch_execz .LBB150_617
	s_branch .LBB150_618
.LBB150_714:
	s_mov_b64 s[14:15], -1
	s_mov_b64 s[2:3], 0
                                        ; implicit-def: $sgpr17
.LBB150_715:
	s_andn2_b64 vcc, exec, s[14:15]
	v_mov_b32_e32 v4, s17
                                        ; implicit-def: $sgpr14
	s_cbranch_vccnz .LBB150_717
; %bb.716:
	v_add_f32_e32 v3, 0x46000000, v3
	v_and_b32_e32 v4, 0xff, v3
	s_mov_b32 s14, 0
	v_cmp_ne_u32_e64 s[2:3], 0, v4
.LBB150_717:
	s_andn2_b64 vcc, exec, s[2:3]
	v_mov_b32_e32 v5, s14
	s_cbranch_vccnz .LBB150_719
; %bb.718:
	v_mov_b32_e32 v5, v4
.LBB150_719:
	global_store_byte v[0:1], v5, off
.LBB150_720:
	s_mov_b64 s[2:3], -1
.LBB150_721:
	s_mov_b64 s[14:15], 0
.LBB150_722:
	s_and_b64 vcc, exec, s[14:15]
	s_cbranch_vccz .LBB150_782
; %bb.723:
	v_cmp_lt_i16_e32 vcc, 22, v10
	s_mov_b64 s[12:13], -1
	s_cbranch_vccz .LBB150_775
; %bb.724:
	v_cmp_gt_i16_e32 vcc, 24, v10
	s_mov_b64 s[2:3], -1
	s_cbranch_vccnz .LBB150_762
; %bb.725:
	v_cmp_lt_i16_e32 vcc, 24, v10
	s_cbranch_vccz .LBB150_749
; %bb.726:
	s_and_b32 s2, s23, 0xff
	v_mov_b32_e32 v4, 0xff
	s_lshl_b32 s14, s2, 23
	v_mov_b32_e32 v3, 0
	v_mov_b32_e32 v5, s14
	;; [unrolled: 1-line block ×3, first 2 shown]
	v_cmp_eq_u16_sdwa s[12:13], s23, v4 src0_sel:BYTE_0 src1_sel:DWORD
	v_cndmask_b32_e64 v4, |v5|, v6, s[12:13]
	v_mov_b32_e32 v5, 0x400000
	v_cmp_eq_u16_sdwa s[2:3], s23, v3 src0_sel:BYTE_0 src1_sel:DWORD
	v_cndmask_b32_e64 v3, v4, v5, s[2:3]
	s_mov_b32 s15, 0x477fffff
	v_cmp_lt_u32_e32 vcc, s15, v3
	v_mov_b32_e32 v5, 0x80
	s_cbranch_vccnz .LBB150_748
; %bb.727:
	s_mov_b32 s15, 0x37ffffff
	v_cmp_lt_u32_e32 vcc, s15, v3
	s_cbranch_vccz .LBB150_743
; %bb.728:
	s_add_i32 s14, s14, 0x88fffff
	s_lshr_b32 s14, s14, 21
	s_and_b64 s[12:13], s[12:13], exec
	s_cselect_b32 s12, 0x440, s14
	s_and_b64 s[2:3], s[2:3], exec
	s_cselect_b32 s14, 0x46, s12
	s_mov_b64 s[12:13], 0
	s_mov_b64 s[2:3], -1
	s_branch .LBB150_744
.LBB150_729:
	s_mov_b64 s[12:13], -1
	s_mov_b64 s[0:1], 0
                                        ; implicit-def: $sgpr14
.LBB150_730:
	s_andn2_b64 vcc, exec, s[12:13]
	v_mov_b32_e32 v3, s14
                                        ; implicit-def: $sgpr12
	s_cbranch_vccnz .LBB150_732
; %bb.731:
	v_add_f32_e32 v2, 0x46000000, v2
	v_and_b32_e32 v3, 0xff, v2
	s_mov_b32 s12, 0
	v_cmp_ne_u32_e64 s[0:1], 0, v3
.LBB150_732:
	s_andn2_b64 vcc, exec, s[0:1]
	v_mov_b32_e32 v4, s12
	s_cbranch_vccnz .LBB150_734
; %bb.733:
	v_mov_b32_e32 v4, v3
.LBB150_734:
	global_store_byte v[0:1], v4, off
.LBB150_735:
	s_mov_b64 s[0:1], 0
.LBB150_736:
	s_and_b64 vcc, exec, s[0:1]
	s_cbranch_vccz .LBB150_906
; %bb.737:
	v_cmp_lt_i16_e32 vcc, 22, v10
	s_mov_b64 s[0:1], -1
	s_cbranch_vccz .LBB150_899
; %bb.738:
	v_cmp_gt_i16_e32 vcc, 24, v10
	s_cbranch_vccnz .LBB150_886
; %bb.739:
	v_cmp_lt_i16_e32 vcc, 24, v10
	s_cbranch_vccz .LBB150_873
; %bb.740:
	s_and_b32 s0, s23, 0xff
	v_mov_b32_e32 v3, 0xff
	s_lshl_b32 s12, s0, 23
	v_mov_b32_e32 v2, 0
	v_mov_b32_e32 v4, s12
	;; [unrolled: 1-line block ×3, first 2 shown]
	v_cmp_eq_u16_sdwa s[10:11], s23, v3 src0_sel:BYTE_0 src1_sel:DWORD
	v_cndmask_b32_e64 v3, |v4|, v5, s[10:11]
	v_mov_b32_e32 v4, 0x400000
	v_cmp_eq_u16_sdwa s[0:1], s23, v2 src0_sel:BYTE_0 src1_sel:DWORD
	v_cndmask_b32_e64 v2, v3, v4, s[0:1]
	s_mov_b32 s13, 0x477fffff
	v_cmp_lt_u32_e32 vcc, s13, v2
	v_mov_b32_e32 v4, 0x80
	s_cbranch_vccnz .LBB150_872
; %bb.741:
	s_mov_b32 s13, 0x37ffffff
	v_cmp_lt_u32_e32 vcc, s13, v2
	s_cbranch_vccz .LBB150_867
; %bb.742:
	s_add_i32 s12, s12, 0x88fffff
	s_lshr_b32 s12, s12, 21
	s_and_b64 s[10:11], s[10:11], exec
	s_cselect_b32 s10, 0x440, s12
	s_and_b64 s[0:1], s[0:1], exec
	s_cselect_b32 s12, 0x46, s10
	s_mov_b64 s[10:11], 0
	s_mov_b64 s[0:1], -1
	s_branch .LBB150_868
.LBB150_743:
	s_mov_b64 s[12:13], -1
	s_mov_b64 s[2:3], 0
                                        ; implicit-def: $sgpr14
.LBB150_744:
	s_andn2_b64 vcc, exec, s[12:13]
	v_mov_b32_e32 v4, s14
                                        ; implicit-def: $sgpr12
	s_cbranch_vccnz .LBB150_746
; %bb.745:
	v_add_f32_e32 v3, 0x42800000, v3
	v_and_b32_e32 v4, 0xff, v3
	s_mov_b32 s12, 0
	v_cmp_ne_u32_e64 s[2:3], 0, v4
.LBB150_746:
	s_andn2_b64 vcc, exec, s[2:3]
	v_mov_b32_e32 v5, s12
	s_cbranch_vccnz .LBB150_748
; %bb.747:
	v_mov_b32_e32 v5, v4
.LBB150_748:
	s_mov_b64 s[2:3], 0
	global_store_byte v[0:1], v5, off
.LBB150_749:
	s_and_b64 vcc, exec, s[2:3]
	s_cbranch_vccz .LBB150_761
; %bb.750:
	s_and_b32 s2, s23, 0xff
	v_mov_b32_e32 v4, 0xff
	s_lshl_b32 s14, s2, 23
	v_mov_b32_e32 v3, 0
	v_mov_b32_e32 v5, s14
	;; [unrolled: 1-line block ×3, first 2 shown]
	v_cmp_eq_u16_sdwa s[12:13], s23, v4 src0_sel:BYTE_0 src1_sel:DWORD
	v_cndmask_b32_e64 v4, |v5|, v6, s[12:13]
	v_mov_b32_e32 v5, 0x400000
	v_cmp_eq_u16_sdwa s[2:3], s23, v3 src0_sel:BYTE_0 src1_sel:DWORD
	v_cndmask_b32_e64 v3, v4, v5, s[2:3]
	s_mov_b32 s15, 0x43f00000
	v_cmp_gt_u32_e32 vcc, s15, v3
	s_cbranch_vccz .LBB150_753
; %bb.751:
	s_mov_b32 s15, 0x3c7fffff
	v_cmp_lt_u32_e32 vcc, s15, v3
	s_cbranch_vccz .LBB150_754
; %bb.752:
	s_add_i32 s14, s14, 0x407ffff
	s_lshr_b32 s14, s14, 20
	s_and_b64 s[12:13], s[12:13], exec
	s_cselect_b32 s12, 0x838, s14
	s_and_b64 s[2:3], s[2:3], exec
	s_cselect_b32 s12, 0x44, s12
	s_mov_b64 s[2:3], 0
	s_branch .LBB150_755
.LBB150_753:
	s_mov_b64 s[2:3], -1
                                        ; implicit-def: $vgpr4
	s_branch .LBB150_758
.LBB150_754:
	s_mov_b64 s[2:3], -1
                                        ; implicit-def: $sgpr12
.LBB150_755:
	s_andn2_b64 vcc, exec, s[2:3]
	v_mov_b32_e32 v4, s12
	s_cbranch_vccnz .LBB150_757
; %bb.756:
	v_add_f32_e32 v4, 0x46800000, v3
.LBB150_757:
	s_mov_b64 s[2:3], 0
.LBB150_758:
	s_andn2_b64 vcc, exec, s[2:3]
	s_cbranch_vccnz .LBB150_760
; %bb.759:
	s_mov_b32 s2, 0x7f800000
	v_mov_b32_e32 v4, 0x7e
	v_mov_b32_e32 v5, 0x7f
	v_cmp_lt_u32_e32 vcc, s2, v3
	v_cndmask_b32_e32 v4, v4, v5, vcc
.LBB150_760:
	global_store_byte v[0:1], v4, off
.LBB150_761:
	s_mov_b64 s[2:3], 0
.LBB150_762:
	s_andn2_b64 vcc, exec, s[2:3]
	s_cbranch_vccnz .LBB150_774
; %bb.763:
	s_and_b32 s2, s23, 0xff
	v_mov_b32_e32 v4, 0xff
	s_lshl_b32 s14, s2, 23
	v_mov_b32_e32 v3, 0
	v_mov_b32_e32 v5, s14
	;; [unrolled: 1-line block ×3, first 2 shown]
	v_cmp_eq_u16_sdwa s[12:13], s23, v4 src0_sel:BYTE_0 src1_sel:DWORD
	v_cndmask_b32_e64 v4, |v5|, v6, s[12:13]
	v_mov_b32_e32 v5, 0x400000
	v_cmp_eq_u16_sdwa s[2:3], s23, v3 src0_sel:BYTE_0 src1_sel:DWORD
	v_cndmask_b32_e64 v3, v4, v5, s[2:3]
	s_mov_b32 s15, 0x47800000
	v_cmp_gt_u32_e32 vcc, s15, v3
	s_cbranch_vccz .LBB150_766
; %bb.764:
	s_mov_b32 s15, 0x387fffff
	v_cmp_lt_u32_e32 vcc, s15, v3
	s_cbranch_vccz .LBB150_767
; %bb.765:
	s_add_i32 s14, s14, 0x80fffff
	s_lshr_b32 s14, s14, 21
	s_and_b64 s[12:13], s[12:13], exec
	s_cselect_b32 s12, 0x43c, s14
	s_and_b64 s[2:3], s[2:3], exec
	s_cselect_b32 s12, 0x42, s12
	s_mov_b64 s[2:3], 0
	s_branch .LBB150_768
.LBB150_766:
	s_mov_b64 s[2:3], -1
                                        ; implicit-def: $vgpr4
	s_branch .LBB150_771
.LBB150_767:
	s_mov_b64 s[2:3], -1
                                        ; implicit-def: $sgpr12
.LBB150_768:
	s_andn2_b64 vcc, exec, s[2:3]
	v_mov_b32_e32 v4, s12
	s_cbranch_vccnz .LBB150_770
; %bb.769:
	v_add_f32_e32 v4, 0x43000000, v3
.LBB150_770:
	s_mov_b64 s[2:3], 0
.LBB150_771:
	s_andn2_b64 vcc, exec, s[2:3]
	s_cbranch_vccnz .LBB150_773
; %bb.772:
	s_mov_b32 s2, 0x7f800000
	v_mov_b32_e32 v4, 0x7c
	v_mov_b32_e32 v5, 0x7f
	v_cmp_lt_u32_e32 vcc, s2, v3
	v_cndmask_b32_e32 v4, v4, v5, vcc
.LBB150_773:
	global_store_byte v[0:1], v4, off
.LBB150_774:
	s_mov_b64 s[12:13], 0
	s_mov_b64 s[2:3], -1
.LBB150_775:
	s_andn2_b64 vcc, exec, s[12:13]
	s_mov_b64 s[12:13], 0
	s_cbranch_vccnz .LBB150_782
; %bb.776:
	v_cmp_lt_i16_e32 vcc, 14, v10
	s_mov_b64 s[14:15], -1
	s_cbranch_vccz .LBB150_780
; %bb.777:
	v_cmp_eq_u16_e32 vcc, 15, v10
	s_mov_b64 s[10:11], -1
	s_cbranch_vccz .LBB150_779
; %bb.778:
	s_and_b32 s2, s23, 0xff
	s_lshl_b32 s2, s2, 23
	v_mov_b32_e32 v3, 0xff
	v_mov_b32_e32 v4, 0x7f800001
	;; [unrolled: 1-line block ×3, first 2 shown]
	v_cmp_ne_u16_sdwa vcc, s23, v3 src0_sel:BYTE_0 src1_sel:DWORD
	v_cndmask_b32_e32 v3, v4, v5, vcc
	v_mov_b32_e32 v4, 0
	v_mov_b32_e32 v5, 0x400000
	v_cmp_ne_u16_sdwa vcc, s23, v4 src0_sel:BYTE_0 src1_sel:DWORD
	v_cndmask_b32_e32 v3, v5, v3, vcc
	v_add_u32_e32 v4, 0x7fff, v3
	v_lshrrev_b32_e32 v4, 16, v4
	v_mov_b32_e32 v5, 0x7fc0
	v_cmp_o_f32_e32 vcc, v3, v3
	v_cndmask_b32_e32 v3, v5, v4, vcc
	global_store_short v[0:1], v3, off
	s_mov_b64 s[10:11], 0
	s_mov_b64 s[2:3], -1
.LBB150_779:
	s_mov_b64 s[14:15], 0
.LBB150_780:
	s_and_b64 vcc, exec, s[14:15]
	s_cbranch_vccz .LBB150_782
; %bb.781:
	v_cmp_ne_u16_e64 s[10:11], 11, v10
	s_mov_b64 s[12:13], -1
.LBB150_782:
	s_and_b64 vcc, exec, s[10:11]
	s_cbranch_vccnz .LBB150_866
; %bb.783:
	s_andn2_b64 vcc, exec, s[12:13]
	s_cbranch_vccnz .LBB150_785
.LBB150_784:
	v_mov_b32_e32 v3, 1
	s_mov_b64 s[2:3], -1
	global_store_byte v[0:1], v3, off
.LBB150_785:
	s_branch .LBB150_684
.LBB150_786:
	v_cmp_gt_i16_e32 vcc, 5, v10
	s_mov_b64 s[2:3], -1
	s_cbranch_vccnz .LBB150_807
; %bb.787:
	v_cmp_gt_i16_e32 vcc, 8, v10
	s_cbranch_vccnz .LBB150_797
; %bb.788:
	v_cmp_gt_i16_e32 vcc, 9, v10
	s_cbranch_vccnz .LBB150_794
; %bb.789:
	v_cmp_lt_i16_e32 vcc, 9, v10
	s_cbranch_vccz .LBB150_791
; %bb.790:
	s_and_b32 s2, s23, 0xff
	s_lshl_b32 s2, s2, 23
	v_mov_b32_e32 v3, 0xff
	v_cvt_f64_f32_e32 v[4:5], s2
	v_bfrev_b32_e32 v6, 4
	v_cmp_ne_u16_sdwa vcc, s23, v3 src0_sel:BYTE_0 src1_sel:DWORD
	v_cndmask_b32_e32 v3, v6, v4, vcc
	v_mov_b32_e32 v4, 0x7ff80000
	v_mov_b32_e32 v6, 0
	v_cndmask_b32_e32 v4, v4, v5, vcc
	v_bfrev_b32_e32 v5, 28
	v_cmp_ne_u16_sdwa vcc, s23, v6 src0_sel:BYTE_0 src1_sel:DWORD
	v_cndmask_b32_e32 v5, v5, v4, vcc
	v_cndmask_b32_e32 v4, 0, v3, vcc
	v_mov_b32_e32 v7, v6
	global_store_dwordx4 v[0:1], v[4:7], off
	s_mov_b64 s[2:3], 0
.LBB150_791:
	s_andn2_b64 vcc, exec, s[2:3]
	s_cbranch_vccnz .LBB150_793
; %bb.792:
	s_and_b32 s2, s23, 0xff
	v_mov_b32_e32 v3, 0xff
	s_lshl_b32 s10, s2, 23
	v_cmp_ne_u16_sdwa s[2:3], s23, v3 src0_sel:BYTE_0 src1_sel:DWORD
	s_and_b64 s[2:3], s[2:3], exec
	v_mov_b32_e32 v5, 0
	v_cmp_ne_u16_sdwa s[2:3], s23, v5 src0_sel:BYTE_0 src1_sel:DWORD
	s_cselect_b32 s10, s10, 0x7f800001
	s_and_b64 s[2:3], s[2:3], exec
	s_cselect_b32 s2, s10, 0x400000
	v_mov_b32_e32 v4, s2
	global_store_dwordx2 v[0:1], v[4:5], off
.LBB150_793:
	s_mov_b64 s[2:3], 0
.LBB150_794:
	s_andn2_b64 vcc, exec, s[2:3]
	s_cbranch_vccnz .LBB150_796
; %bb.795:
	s_and_b32 s2, s23, 0xff
	s_lshl_b32 s2, s2, 23
	v_cvt_f16_f32_e32 v3, s2
	v_mov_b32_e32 v4, 0xff
	v_mov_b32_e32 v5, 0x7e00
	v_cmp_ne_u16_sdwa vcc, s23, v4 src0_sel:BYTE_0 src1_sel:DWORD
	v_mov_b32_e32 v4, 0
	v_cndmask_b32_e32 v3, v5, v3, vcc
	v_cmp_ne_u16_sdwa vcc, s23, v4 src0_sel:BYTE_0 src1_sel:DWORD
	v_cndmask_b32_e32 v3, 0, v3, vcc
	global_store_dword v[0:1], v3, off
.LBB150_796:
	s_mov_b64 s[2:3], 0
.LBB150_797:
	s_andn2_b64 vcc, exec, s[2:3]
	s_cbranch_vccnz .LBB150_806
; %bb.798:
	v_cmp_gt_i16_e32 vcc, 6, v10
	s_mov_b64 s[2:3], -1
	s_cbranch_vccnz .LBB150_804
; %bb.799:
	v_cmp_lt_i16_e32 vcc, 6, v10
	s_cbranch_vccz .LBB150_801
; %bb.800:
	s_and_b32 s2, s23, 0xff
	s_lshl_b32 s2, s2, 23
	v_mov_b32_e32 v3, 0xff
	v_cvt_f64_f32_e32 v[4:5], s2
	v_bfrev_b32_e32 v6, 4
	v_cmp_ne_u16_sdwa vcc, s23, v3 src0_sel:BYTE_0 src1_sel:DWORD
	v_cndmask_b32_e32 v3, v6, v4, vcc
	v_mov_b32_e32 v4, 0x7ff80000
	v_cndmask_b32_e32 v4, v4, v5, vcc
	v_mov_b32_e32 v5, 0
	v_bfrev_b32_e32 v6, 28
	v_cmp_ne_u16_sdwa vcc, s23, v5 src0_sel:BYTE_0 src1_sel:DWORD
	v_cndmask_b32_e32 v5, v6, v4, vcc
	v_cndmask_b32_e32 v4, 0, v3, vcc
	global_store_dwordx2 v[0:1], v[4:5], off
	s_mov_b64 s[2:3], 0
.LBB150_801:
	s_andn2_b64 vcc, exec, s[2:3]
	s_cbranch_vccnz .LBB150_803
; %bb.802:
	s_and_b32 s2, s23, 0xff
	s_lshl_b32 s2, s2, 23
	v_mov_b32_e32 v3, 0xff
	v_mov_b32_e32 v4, 0x7f800001
	;; [unrolled: 1-line block ×3, first 2 shown]
	v_cmp_ne_u16_sdwa vcc, s23, v3 src0_sel:BYTE_0 src1_sel:DWORD
	v_cndmask_b32_e32 v3, v4, v5, vcc
	v_mov_b32_e32 v4, 0
	v_mov_b32_e32 v5, 0x400000
	v_cmp_ne_u16_sdwa vcc, s23, v4 src0_sel:BYTE_0 src1_sel:DWORD
	v_cndmask_b32_e32 v3, v5, v3, vcc
	global_store_dword v[0:1], v3, off
.LBB150_803:
	s_mov_b64 s[2:3], 0
.LBB150_804:
	s_andn2_b64 vcc, exec, s[2:3]
	s_cbranch_vccnz .LBB150_806
; %bb.805:
	s_and_b32 s2, s23, 0xff
	s_lshl_b32 s2, s2, 23
	v_cvt_f16_f32_e32 v3, s2
	v_mov_b32_e32 v4, 0xff
	v_mov_b32_e32 v5, 0x7e00
	v_cmp_ne_u16_sdwa vcc, s23, v4 src0_sel:BYTE_0 src1_sel:DWORD
	v_mov_b32_e32 v4, 0
	v_cndmask_b32_e32 v3, v5, v3, vcc
	v_cmp_ne_u16_sdwa vcc, s23, v4 src0_sel:BYTE_0 src1_sel:DWORD
	v_cndmask_b32_e32 v3, 0, v3, vcc
	global_store_short v[0:1], v3, off
.LBB150_806:
	s_mov_b64 s[2:3], 0
.LBB150_807:
	s_andn2_b64 vcc, exec, s[2:3]
	s_cbranch_vccnz .LBB150_823
; %bb.808:
	v_cmp_gt_i16_e32 vcc, 2, v10
	s_mov_b64 s[2:3], -1
	s_cbranch_vccnz .LBB150_818
; %bb.809:
	v_cmp_gt_i16_e32 vcc, 3, v10
	s_cbranch_vccnz .LBB150_815
; %bb.810:
	v_cmp_lt_i16_e32 vcc, 3, v10
	s_cbranch_vccz .LBB150_812
; %bb.811:
	s_and_b32 s2, s23, 0xff
	s_lshl_b32 s2, s2, 23
	v_trunc_f32_e32 v3, s2
	s_mov_b32 s2, 0x2f800000
	v_mul_f32_e64 v4, |v3|, s2
	v_floor_f32_e32 v4, v4
	s_mov_b32 s2, 0xcf800000
	v_fma_f32 v5, v4, s2, |v3|
	v_cvt_u32_f32_e32 v5, v5
	v_cvt_u32_f32_e32 v4, v4
	v_ashrrev_i32_e32 v3, 31, v3
	s_mov_b64 s[2:3], 0
	v_xor_b32_e32 v5, v5, v3
	v_xor_b32_e32 v4, v4, v3
	v_sub_co_u32_e32 v6, vcc, v5, v3
	v_subb_co_u32_e32 v3, vcc, v4, v3, vcc
	v_mov_b32_e32 v4, 0
	v_cmp_ne_u16_sdwa vcc, s23, v4 src0_sel:BYTE_0 src1_sel:DWORD
	v_cndmask_b32_e32 v5, 0, v3, vcc
	v_cndmask_b32_e32 v4, 0, v6, vcc
	global_store_dwordx2 v[0:1], v[4:5], off
.LBB150_812:
	s_andn2_b64 vcc, exec, s[2:3]
	s_cbranch_vccnz .LBB150_814
; %bb.813:
	s_and_b32 s2, s23, 0xff
	s_lshl_b32 s2, s2, 23
	v_cvt_i32_f32_e32 v3, s2
	v_mov_b32_e32 v4, 0
	v_cmp_ne_u16_sdwa vcc, s23, v4 src0_sel:BYTE_0 src1_sel:DWORD
	v_cndmask_b32_e32 v3, 0, v3, vcc
	global_store_dword v[0:1], v3, off
.LBB150_814:
	s_mov_b64 s[2:3], 0
.LBB150_815:
	s_andn2_b64 vcc, exec, s[2:3]
	s_cbranch_vccnz .LBB150_817
; %bb.816:
	s_and_b32 s2, s23, 0xff
	s_lshl_b32 s2, s2, 23
	v_cvt_i32_f32_e32 v3, s2
	v_mov_b32_e32 v4, 0
	v_cmp_ne_u16_sdwa vcc, s23, v4 src0_sel:BYTE_0 src1_sel:DWORD
	v_cndmask_b32_e32 v3, 0, v3, vcc
	global_store_short v[0:1], v3, off
.LBB150_817:
	s_mov_b64 s[2:3], 0
.LBB150_818:
	s_andn2_b64 vcc, exec, s[2:3]
	s_cbranch_vccnz .LBB150_823
; %bb.819:
	v_cmp_lt_i16_e32 vcc, 0, v10
	s_mov_b64 s[2:3], -1
	s_cbranch_vccz .LBB150_821
; %bb.820:
	s_and_b32 s2, s23, 0xff
	s_lshl_b32 s2, s2, 23
	v_cvt_i32_f32_e32 v3, s2
	v_mov_b32_e32 v4, 0
	v_cmp_ne_u16_sdwa vcc, s23, v4 src0_sel:BYTE_0 src1_sel:DWORD
	s_mov_b64 s[2:3], 0
	v_cndmask_b32_e32 v3, 0, v3, vcc
	global_store_byte v[0:1], v3, off
.LBB150_821:
	s_andn2_b64 vcc, exec, s[2:3]
	s_cbranch_vccnz .LBB150_823
; %bb.822:
	s_and_b32 s2, s23, 0xff
	s_lshl_b32 s2, s2, 23
	v_trunc_f32_e32 v3, s2
	s_mov_b32 s2, 0x2f800000
	v_mul_f32_e64 v4, |v3|, s2
	v_floor_f32_e32 v4, v4
	s_mov_b32 s2, 0xcf800000
	v_fma_f32 v4, v4, s2, |v3|
	v_cvt_u32_f32_e32 v4, v4
	v_ashrrev_i32_e32 v3, 31, v3
	v_xor_b32_e32 v4, v4, v3
	v_sub_u32_e32 v3, v4, v3
	v_mov_b32_e32 v4, 0
	v_cmp_ne_u16_sdwa vcc, s23, v4 src0_sel:BYTE_0 src1_sel:DWORD
	v_cndmask_b32_e32 v3, 0, v3, vcc
	global_store_byte v[0:1], v3, off
.LBB150_823:
	s_branch .LBB150_685
.LBB150_824:
	s_mov_b64 s[0:1], 0
	s_mov_b64 s[10:11], 0
                                        ; implicit-def: $vgpr10
                                        ; implicit-def: $vgpr0_vgpr1
.LBB150_825:
	s_andn2_b64 s[2:3], s[4:5], exec
	s_and_b64 s[4:5], s[8:9], exec
	s_and_b64 s[0:1], s[0:1], exec
	;; [unrolled: 1-line block ×3, first 2 shown]
	s_or_b64 s[4:5], s[2:3], s[4:5]
	s_or_b64 exec, exec, s[6:7]
	s_and_saveexec_b64 s[2:3], s[4:5]
	s_cbranch_execnz .LBB150_432
.LBB150_826:
	s_or_b64 exec, exec, s[2:3]
	s_and_saveexec_b64 s[2:3], s[24:25]
	s_xor_b64 s[2:3], exec, s[2:3]
	s_cbranch_execz .LBB150_433
.LBB150_827:
	v_mov_b32_e32 v2, 1
	global_store_byte v[0:1], v2, off
	s_or_b64 exec, exec, s[2:3]
	s_and_saveexec_b64 s[2:3], s[0:1]
	s_cbranch_execz .LBB150_865
.LBB150_828:
	v_cmp_gt_i16_e32 vcc, 5, v10
	s_mov_b64 s[0:1], -1
	s_cbranch_vccnz .LBB150_849
; %bb.829:
	v_cmp_gt_i16_e32 vcc, 8, v10
	s_cbranch_vccnz .LBB150_839
; %bb.830:
	v_cmp_gt_i16_e32 vcc, 9, v10
	s_cbranch_vccnz .LBB150_836
; %bb.831:
	v_cmp_lt_i16_e32 vcc, 9, v10
	s_cbranch_vccz .LBB150_833
; %bb.832:
	s_and_b32 s0, s23, 0xff
	s_lshl_b32 s0, s0, 23
	v_mov_b32_e32 v4, 0xff
	v_cvt_f64_f32_e32 v[2:3], s0
	v_cmp_ne_u16_sdwa vcc, s23, v4 src0_sel:BYTE_0 src1_sel:DWORD
	v_mov_b32_e32 v4, 0x7ff80000
	v_bfrev_b32_e32 v5, 4
	v_cndmask_b32_e32 v3, v4, v3, vcc
	v_mov_b32_e32 v4, 0
	v_cndmask_b32_e32 v2, v5, v2, vcc
	v_bfrev_b32_e32 v5, 28
	v_cmp_ne_u16_sdwa vcc, s23, v4 src0_sel:BYTE_0 src1_sel:DWORD
	v_cndmask_b32_e32 v3, v5, v3, vcc
	v_cndmask_b32_e32 v2, 0, v2, vcc
	v_mov_b32_e32 v5, v4
	global_store_dwordx4 v[0:1], v[2:5], off
	s_mov_b64 s[0:1], 0
.LBB150_833:
	s_andn2_b64 vcc, exec, s[0:1]
	s_cbranch_vccnz .LBB150_835
; %bb.834:
	s_and_b32 s0, s23, 0xff
	v_mov_b32_e32 v2, 0xff
	s_lshl_b32 s2, s0, 23
	v_cmp_ne_u16_sdwa s[0:1], s23, v2 src0_sel:BYTE_0 src1_sel:DWORD
	s_and_b64 s[0:1], s[0:1], exec
	v_mov_b32_e32 v3, 0
	v_cmp_ne_u16_sdwa s[0:1], s23, v3 src0_sel:BYTE_0 src1_sel:DWORD
	s_cselect_b32 s2, s2, 0x7f800001
	s_and_b64 s[0:1], s[0:1], exec
	s_cselect_b32 s0, s2, 0x400000
	v_mov_b32_e32 v2, s0
	global_store_dwordx2 v[0:1], v[2:3], off
.LBB150_835:
	s_mov_b64 s[0:1], 0
.LBB150_836:
	s_andn2_b64 vcc, exec, s[0:1]
	s_cbranch_vccnz .LBB150_838
; %bb.837:
	s_and_b32 s0, s23, 0xff
	s_lshl_b32 s0, s0, 23
	v_cvt_f16_f32_e32 v2, s0
	v_mov_b32_e32 v3, 0xff
	v_mov_b32_e32 v4, 0x7e00
	v_cmp_ne_u16_sdwa vcc, s23, v3 src0_sel:BYTE_0 src1_sel:DWORD
	v_mov_b32_e32 v3, 0
	v_cndmask_b32_e32 v2, v4, v2, vcc
	v_cmp_ne_u16_sdwa vcc, s23, v3 src0_sel:BYTE_0 src1_sel:DWORD
	v_cndmask_b32_e32 v2, 0, v2, vcc
	global_store_dword v[0:1], v2, off
.LBB150_838:
	s_mov_b64 s[0:1], 0
.LBB150_839:
	s_andn2_b64 vcc, exec, s[0:1]
	s_cbranch_vccnz .LBB150_848
; %bb.840:
	v_cmp_gt_i16_e32 vcc, 6, v10
	s_mov_b64 s[0:1], -1
	s_cbranch_vccnz .LBB150_846
; %bb.841:
	v_cmp_lt_i16_e32 vcc, 6, v10
	s_cbranch_vccz .LBB150_843
; %bb.842:
	s_and_b32 s0, s23, 0xff
	s_lshl_b32 s0, s0, 23
	v_mov_b32_e32 v4, 0xff
	v_cvt_f64_f32_e32 v[2:3], s0
	v_cmp_ne_u16_sdwa vcc, s23, v4 src0_sel:BYTE_0 src1_sel:DWORD
	v_mov_b32_e32 v4, 0x7ff80000
	v_bfrev_b32_e32 v5, 4
	v_cndmask_b32_e32 v3, v4, v3, vcc
	v_mov_b32_e32 v4, 0
	v_cndmask_b32_e32 v2, v5, v2, vcc
	v_bfrev_b32_e32 v5, 28
	v_cmp_ne_u16_sdwa vcc, s23, v4 src0_sel:BYTE_0 src1_sel:DWORD
	v_cndmask_b32_e32 v3, v5, v3, vcc
	v_cndmask_b32_e32 v2, 0, v2, vcc
	global_store_dwordx2 v[0:1], v[2:3], off
	s_mov_b64 s[0:1], 0
.LBB150_843:
	s_andn2_b64 vcc, exec, s[0:1]
	s_cbranch_vccnz .LBB150_845
; %bb.844:
	s_and_b32 s0, s23, 0xff
	s_lshl_b32 s0, s0, 23
	v_mov_b32_e32 v2, 0xff
	v_mov_b32_e32 v3, 0x7f800001
	;; [unrolled: 1-line block ×3, first 2 shown]
	v_cmp_ne_u16_sdwa vcc, s23, v2 src0_sel:BYTE_0 src1_sel:DWORD
	v_cndmask_b32_e32 v2, v3, v4, vcc
	v_mov_b32_e32 v3, 0
	v_mov_b32_e32 v4, 0x400000
	v_cmp_ne_u16_sdwa vcc, s23, v3 src0_sel:BYTE_0 src1_sel:DWORD
	v_cndmask_b32_e32 v2, v4, v2, vcc
	global_store_dword v[0:1], v2, off
.LBB150_845:
	s_mov_b64 s[0:1], 0
.LBB150_846:
	s_andn2_b64 vcc, exec, s[0:1]
	s_cbranch_vccnz .LBB150_848
; %bb.847:
	s_and_b32 s0, s23, 0xff
	s_lshl_b32 s0, s0, 23
	v_cvt_f16_f32_e32 v2, s0
	v_mov_b32_e32 v3, 0xff
	v_mov_b32_e32 v4, 0x7e00
	v_cmp_ne_u16_sdwa vcc, s23, v3 src0_sel:BYTE_0 src1_sel:DWORD
	v_mov_b32_e32 v3, 0
	v_cndmask_b32_e32 v2, v4, v2, vcc
	v_cmp_ne_u16_sdwa vcc, s23, v3 src0_sel:BYTE_0 src1_sel:DWORD
	v_cndmask_b32_e32 v2, 0, v2, vcc
	global_store_short v[0:1], v2, off
.LBB150_848:
	s_mov_b64 s[0:1], 0
.LBB150_849:
	s_andn2_b64 vcc, exec, s[0:1]
	s_cbranch_vccnz .LBB150_865
; %bb.850:
	v_cmp_gt_i16_e32 vcc, 2, v10
	s_mov_b64 s[0:1], -1
	s_cbranch_vccnz .LBB150_860
; %bb.851:
	v_cmp_gt_i16_e32 vcc, 3, v10
	s_cbranch_vccnz .LBB150_857
; %bb.852:
	v_cmp_lt_i16_e32 vcc, 3, v10
	s_cbranch_vccz .LBB150_854
; %bb.853:
	s_and_b32 s0, s23, 0xff
	s_lshl_b32 s0, s0, 23
	v_trunc_f32_e32 v2, s0
	s_mov_b32 s0, 0x2f800000
	v_mul_f32_e64 v3, |v2|, s0
	v_floor_f32_e32 v3, v3
	s_mov_b32 s0, 0xcf800000
	v_fma_f32 v4, v3, s0, |v2|
	v_cvt_u32_f32_e32 v4, v4
	v_cvt_u32_f32_e32 v3, v3
	v_ashrrev_i32_e32 v2, 31, v2
	s_mov_b64 s[0:1], 0
	v_xor_b32_e32 v4, v4, v2
	v_xor_b32_e32 v3, v3, v2
	v_sub_co_u32_e32 v4, vcc, v4, v2
	v_subb_co_u32_e32 v2, vcc, v3, v2, vcc
	v_mov_b32_e32 v3, 0
	v_cmp_ne_u16_sdwa vcc, s23, v3 src0_sel:BYTE_0 src1_sel:DWORD
	v_cndmask_b32_e32 v3, 0, v2, vcc
	v_cndmask_b32_e32 v2, 0, v4, vcc
	global_store_dwordx2 v[0:1], v[2:3], off
.LBB150_854:
	s_andn2_b64 vcc, exec, s[0:1]
	s_cbranch_vccnz .LBB150_856
; %bb.855:
	s_and_b32 s0, s23, 0xff
	s_lshl_b32 s0, s0, 23
	v_cvt_i32_f32_e32 v2, s0
	v_mov_b32_e32 v3, 0
	v_cmp_ne_u16_sdwa vcc, s23, v3 src0_sel:BYTE_0 src1_sel:DWORD
	v_cndmask_b32_e32 v2, 0, v2, vcc
	global_store_dword v[0:1], v2, off
.LBB150_856:
	s_mov_b64 s[0:1], 0
.LBB150_857:
	s_andn2_b64 vcc, exec, s[0:1]
	s_cbranch_vccnz .LBB150_859
; %bb.858:
	s_and_b32 s0, s23, 0xff
	s_lshl_b32 s0, s0, 23
	v_cvt_i32_f32_e32 v2, s0
	v_mov_b32_e32 v3, 0
	v_cmp_ne_u16_sdwa vcc, s23, v3 src0_sel:BYTE_0 src1_sel:DWORD
	v_cndmask_b32_e32 v2, 0, v2, vcc
	global_store_short v[0:1], v2, off
.LBB150_859:
	s_mov_b64 s[0:1], 0
.LBB150_860:
	s_andn2_b64 vcc, exec, s[0:1]
	s_cbranch_vccnz .LBB150_865
; %bb.861:
	v_cmp_lt_i16_e32 vcc, 0, v10
	s_mov_b64 s[0:1], -1
	s_cbranch_vccz .LBB150_863
; %bb.862:
	s_and_b32 s0, s23, 0xff
	s_lshl_b32 s0, s0, 23
	v_cvt_i32_f32_e32 v2, s0
	v_mov_b32_e32 v3, 0
	v_cmp_ne_u16_sdwa vcc, s23, v3 src0_sel:BYTE_0 src1_sel:DWORD
	s_mov_b64 s[0:1], 0
	v_cndmask_b32_e32 v2, 0, v2, vcc
	global_store_byte v[0:1], v2, off
.LBB150_863:
	s_andn2_b64 vcc, exec, s[0:1]
	s_cbranch_vccnz .LBB150_865
; %bb.864:
	s_and_b32 s0, s23, 0xff
	s_lshl_b32 s0, s0, 23
	v_trunc_f32_e32 v2, s0
	s_mov_b32 s0, 0x2f800000
	v_mul_f32_e64 v3, |v2|, s0
	v_floor_f32_e32 v3, v3
	s_mov_b32 s0, 0xcf800000
	v_fma_f32 v3, v3, s0, |v2|
	v_cvt_u32_f32_e32 v3, v3
	v_ashrrev_i32_e32 v2, 31, v2
	v_xor_b32_e32 v3, v3, v2
	v_sub_u32_e32 v2, v3, v2
	v_mov_b32_e32 v3, 0
	v_cmp_ne_u16_sdwa vcc, s23, v3 src0_sel:BYTE_0 src1_sel:DWORD
	v_cndmask_b32_e32 v2, 0, v2, vcc
	global_store_byte v[0:1], v2, off
	s_endpgm
.LBB150_865:
	s_endpgm
.LBB150_866:
	s_trap 2
	s_or_b64 s[8:9], s[8:9], exec
	s_cbranch_execz .LBB150_784
	s_branch .LBB150_785
.LBB150_867:
	s_mov_b64 s[10:11], -1
	s_mov_b64 s[0:1], 0
                                        ; implicit-def: $sgpr12
.LBB150_868:
	s_andn2_b64 vcc, exec, s[10:11]
	v_mov_b32_e32 v3, s12
                                        ; implicit-def: $sgpr10
	s_cbranch_vccnz .LBB150_870
; %bb.869:
	v_add_f32_e32 v2, 0x42800000, v2
	v_and_b32_e32 v3, 0xff, v2
	s_mov_b32 s10, 0
	v_cmp_ne_u32_e64 s[0:1], 0, v3
.LBB150_870:
	s_andn2_b64 vcc, exec, s[0:1]
	v_mov_b32_e32 v4, s10
	s_cbranch_vccnz .LBB150_872
; %bb.871:
	v_mov_b32_e32 v4, v3
.LBB150_872:
	s_mov_b64 s[0:1], 0
	global_store_byte v[0:1], v4, off
.LBB150_873:
	s_and_b64 vcc, exec, s[0:1]
	s_cbranch_vccz .LBB150_885
; %bb.874:
	s_and_b32 s0, s23, 0xff
	v_mov_b32_e32 v3, 0xff
	s_lshl_b32 s12, s0, 23
	v_mov_b32_e32 v2, 0
	v_mov_b32_e32 v4, s12
	;; [unrolled: 1-line block ×3, first 2 shown]
	v_cmp_eq_u16_sdwa s[10:11], s23, v3 src0_sel:BYTE_0 src1_sel:DWORD
	v_cndmask_b32_e64 v3, |v4|, v5, s[10:11]
	v_mov_b32_e32 v4, 0x400000
	v_cmp_eq_u16_sdwa s[0:1], s23, v2 src0_sel:BYTE_0 src1_sel:DWORD
	v_cndmask_b32_e64 v2, v3, v4, s[0:1]
	s_mov_b32 s13, 0x43f00000
	v_cmp_gt_u32_e32 vcc, s13, v2
	s_cbranch_vccz .LBB150_877
; %bb.875:
	s_mov_b32 s13, 0x3c7fffff
	v_cmp_lt_u32_e32 vcc, s13, v2
	s_cbranch_vccz .LBB150_878
; %bb.876:
	s_add_i32 s12, s12, 0x407ffff
	s_lshr_b32 s12, s12, 20
	s_and_b64 s[10:11], s[10:11], exec
	s_cselect_b32 s10, 0x838, s12
	s_and_b64 s[0:1], s[0:1], exec
	s_cselect_b32 s10, 0x44, s10
	s_mov_b64 s[0:1], 0
	s_branch .LBB150_879
.LBB150_877:
	s_mov_b64 s[0:1], -1
                                        ; implicit-def: $vgpr3
	s_branch .LBB150_882
.LBB150_878:
	s_mov_b64 s[0:1], -1
                                        ; implicit-def: $sgpr10
.LBB150_879:
	s_andn2_b64 vcc, exec, s[0:1]
	v_mov_b32_e32 v3, s10
	s_cbranch_vccnz .LBB150_881
; %bb.880:
	v_add_f32_e32 v3, 0x46800000, v2
.LBB150_881:
	s_mov_b64 s[0:1], 0
.LBB150_882:
	s_andn2_b64 vcc, exec, s[0:1]
	s_cbranch_vccnz .LBB150_884
; %bb.883:
	s_mov_b32 s0, 0x7f800000
	v_mov_b32_e32 v3, 0x7e
	v_mov_b32_e32 v4, 0x7f
	v_cmp_lt_u32_e32 vcc, s0, v2
	v_cndmask_b32_e32 v3, v3, v4, vcc
.LBB150_884:
	global_store_byte v[0:1], v3, off
.LBB150_885:
	s_mov_b64 s[0:1], 0
.LBB150_886:
	s_andn2_b64 vcc, exec, s[0:1]
	s_cbranch_vccnz .LBB150_898
; %bb.887:
	s_and_b32 s0, s23, 0xff
	v_mov_b32_e32 v3, 0xff
	s_lshl_b32 s12, s0, 23
	v_mov_b32_e32 v2, 0
	v_mov_b32_e32 v4, s12
	;; [unrolled: 1-line block ×3, first 2 shown]
	v_cmp_eq_u16_sdwa s[10:11], s23, v3 src0_sel:BYTE_0 src1_sel:DWORD
	v_cndmask_b32_e64 v3, |v4|, v5, s[10:11]
	v_mov_b32_e32 v4, 0x400000
	v_cmp_eq_u16_sdwa s[0:1], s23, v2 src0_sel:BYTE_0 src1_sel:DWORD
	v_cndmask_b32_e64 v2, v3, v4, s[0:1]
	s_mov_b32 s13, 0x47800000
	v_cmp_gt_u32_e32 vcc, s13, v2
	s_cbranch_vccz .LBB150_890
; %bb.888:
	s_mov_b32 s13, 0x387fffff
	v_cmp_lt_u32_e32 vcc, s13, v2
	s_cbranch_vccz .LBB150_891
; %bb.889:
	s_add_i32 s12, s12, 0x80fffff
	s_lshr_b32 s12, s12, 21
	s_and_b64 s[10:11], s[10:11], exec
	s_cselect_b32 s10, 0x43c, s12
	s_and_b64 s[0:1], s[0:1], exec
	s_cselect_b32 s10, 0x42, s10
	s_mov_b64 s[0:1], 0
	s_branch .LBB150_892
.LBB150_890:
	s_mov_b64 s[0:1], -1
                                        ; implicit-def: $vgpr3
	s_branch .LBB150_895
.LBB150_891:
	s_mov_b64 s[0:1], -1
                                        ; implicit-def: $sgpr10
.LBB150_892:
	s_andn2_b64 vcc, exec, s[0:1]
	v_mov_b32_e32 v3, s10
	s_cbranch_vccnz .LBB150_894
; %bb.893:
	v_add_f32_e32 v3, 0x43000000, v2
.LBB150_894:
	s_mov_b64 s[0:1], 0
.LBB150_895:
	s_andn2_b64 vcc, exec, s[0:1]
	s_cbranch_vccnz .LBB150_897
; %bb.896:
	s_mov_b32 s0, 0x7f800000
	v_mov_b32_e32 v3, 0x7c
	v_mov_b32_e32 v4, 0x7f
	v_cmp_lt_u32_e32 vcc, s0, v2
	v_cndmask_b32_e32 v3, v3, v4, vcc
.LBB150_897:
	global_store_byte v[0:1], v3, off
.LBB150_898:
	s_mov_b64 s[0:1], 0
.LBB150_899:
	s_andn2_b64 vcc, exec, s[0:1]
	s_mov_b64 s[10:11], 0
	s_cbranch_vccnz .LBB150_906
; %bb.900:
	v_cmp_lt_i16_e32 vcc, 14, v10
	s_mov_b64 s[0:1], -1
	s_cbranch_vccz .LBB150_904
; %bb.901:
	v_cmp_eq_u16_e32 vcc, 15, v10
	s_mov_b64 s[2:3], -1
	s_cbranch_vccz .LBB150_903
; %bb.902:
	s_and_b32 s0, s23, 0xff
	s_lshl_b32 s0, s0, 23
	v_mov_b32_e32 v2, 0xff
	v_mov_b32_e32 v3, 0x7f800001
	;; [unrolled: 1-line block ×3, first 2 shown]
	v_cmp_ne_u16_sdwa vcc, s23, v2 src0_sel:BYTE_0 src1_sel:DWORD
	v_cndmask_b32_e32 v2, v3, v4, vcc
	v_mov_b32_e32 v3, 0
	v_mov_b32_e32 v4, 0x400000
	v_cmp_ne_u16_sdwa vcc, s23, v3 src0_sel:BYTE_0 src1_sel:DWORD
	v_cndmask_b32_e32 v2, v4, v2, vcc
	v_add_u32_e32 v3, 0x7fff, v2
	v_lshrrev_b32_e32 v3, 16, v3
	v_mov_b32_e32 v4, 0x7fc0
	v_cmp_o_f32_e32 vcc, v2, v2
	v_cndmask_b32_e32 v2, v4, v3, vcc
	global_store_short v[0:1], v2, off
	s_mov_b64 s[2:3], 0
.LBB150_903:
	s_mov_b64 s[0:1], 0
.LBB150_904:
	s_and_b64 vcc, exec, s[0:1]
	s_cbranch_vccz .LBB150_906
; %bb.905:
	v_cmp_ne_u16_e64 s[2:3], 11, v10
	s_mov_b64 s[10:11], -1
.LBB150_906:
	s_and_b64 vcc, exec, s[2:3]
	s_cbranch_vccnz .LBB150_908
.LBB150_907:
	s_mov_b64 s[0:1], 0
	s_branch .LBB150_825
.LBB150_908:
	s_mov_b64 s[10:11], 0
	s_or_b64 s[8:9], s[8:9], exec
	s_trap 2
	s_branch .LBB150_907
	.section	.rodata,"a",@progbits
	.p2align	6, 0x0
	.amdhsa_kernel _ZN2at6native32elementwise_kernel_manual_unrollILi128ELi4EZNS0_15gpu_kernel_implINS0_11FillFunctorIN3c1014Float8_e8m0fnuEEEEEvRNS_18TensorIteratorBaseERKT_EUlibE_EEviT1_
		.amdhsa_group_segment_fixed_size 0
		.amdhsa_private_segment_fixed_size 0
		.amdhsa_kernarg_size 24
		.amdhsa_user_sgpr_count 6
		.amdhsa_user_sgpr_private_segment_buffer 1
		.amdhsa_user_sgpr_dispatch_ptr 0
		.amdhsa_user_sgpr_queue_ptr 0
		.amdhsa_user_sgpr_kernarg_segment_ptr 1
		.amdhsa_user_sgpr_dispatch_id 0
		.amdhsa_user_sgpr_flat_scratch_init 0
		.amdhsa_user_sgpr_kernarg_preload_length 0
		.amdhsa_user_sgpr_kernarg_preload_offset 0
		.amdhsa_user_sgpr_private_segment_size 0
		.amdhsa_uses_dynamic_stack 0
		.amdhsa_system_sgpr_private_segment_wavefront_offset 0
		.amdhsa_system_sgpr_workgroup_id_x 1
		.amdhsa_system_sgpr_workgroup_id_y 0
		.amdhsa_system_sgpr_workgroup_id_z 0
		.amdhsa_system_sgpr_workgroup_info 0
		.amdhsa_system_vgpr_workitem_id 0
		.amdhsa_next_free_vgpr 25
		.amdhsa_next_free_sgpr 54
		.amdhsa_accum_offset 28
		.amdhsa_reserve_vcc 1
		.amdhsa_reserve_flat_scratch 0
		.amdhsa_float_round_mode_32 0
		.amdhsa_float_round_mode_16_64 0
		.amdhsa_float_denorm_mode_32 3
		.amdhsa_float_denorm_mode_16_64 3
		.amdhsa_dx10_clamp 1
		.amdhsa_ieee_mode 1
		.amdhsa_fp16_overflow 0
		.amdhsa_tg_split 0
		.amdhsa_exception_fp_ieee_invalid_op 0
		.amdhsa_exception_fp_denorm_src 0
		.amdhsa_exception_fp_ieee_div_zero 0
		.amdhsa_exception_fp_ieee_overflow 0
		.amdhsa_exception_fp_ieee_underflow 0
		.amdhsa_exception_fp_ieee_inexact 0
		.amdhsa_exception_int_div_zero 0
	.end_amdhsa_kernel
	.section	.text._ZN2at6native32elementwise_kernel_manual_unrollILi128ELi4EZNS0_15gpu_kernel_implINS0_11FillFunctorIN3c1014Float8_e8m0fnuEEEEEvRNS_18TensorIteratorBaseERKT_EUlibE_EEviT1_,"axG",@progbits,_ZN2at6native32elementwise_kernel_manual_unrollILi128ELi4EZNS0_15gpu_kernel_implINS0_11FillFunctorIN3c1014Float8_e8m0fnuEEEEEvRNS_18TensorIteratorBaseERKT_EUlibE_EEviT1_,comdat
.Lfunc_end150:
	.size	_ZN2at6native32elementwise_kernel_manual_unrollILi128ELi4EZNS0_15gpu_kernel_implINS0_11FillFunctorIN3c1014Float8_e8m0fnuEEEEEvRNS_18TensorIteratorBaseERKT_EUlibE_EEviT1_, .Lfunc_end150-_ZN2at6native32elementwise_kernel_manual_unrollILi128ELi4EZNS0_15gpu_kernel_implINS0_11FillFunctorIN3c1014Float8_e8m0fnuEEEEEvRNS_18TensorIteratorBaseERKT_EUlibE_EEviT1_
                                        ; -- End function
	.section	.AMDGPU.csdata,"",@progbits
; Kernel info:
; codeLenInByte = 16216
; NumSgprs: 58
; NumVgprs: 25
; NumAgprs: 0
; TotalNumVgprs: 25
; ScratchSize: 0
; MemoryBound: 0
; FloatMode: 240
; IeeeMode: 1
; LDSByteSize: 0 bytes/workgroup (compile time only)
; SGPRBlocks: 7
; VGPRBlocks: 3
; NumSGPRsForWavesPerEU: 58
; NumVGPRsForWavesPerEU: 25
; AccumOffset: 28
; Occupancy: 8
; WaveLimiterHint : 0
; COMPUTE_PGM_RSRC2:SCRATCH_EN: 0
; COMPUTE_PGM_RSRC2:USER_SGPR: 6
; COMPUTE_PGM_RSRC2:TRAP_HANDLER: 0
; COMPUTE_PGM_RSRC2:TGID_X_EN: 1
; COMPUTE_PGM_RSRC2:TGID_Y_EN: 0
; COMPUTE_PGM_RSRC2:TGID_Z_EN: 0
; COMPUTE_PGM_RSRC2:TIDIG_COMP_CNT: 0
; COMPUTE_PGM_RSRC3_GFX90A:ACCUM_OFFSET: 6
; COMPUTE_PGM_RSRC3_GFX90A:TG_SPLIT: 0
	.section	.text._ZN2at6native32elementwise_kernel_manual_unrollILi128ELi4EZNS0_15gpu_kernel_implINS0_11FillFunctorIN3c1014Float8_e8m0fnuEEEEEvRNS_18TensorIteratorBaseERKT_EUlibE0_EEviT1_,"axG",@progbits,_ZN2at6native32elementwise_kernel_manual_unrollILi128ELi4EZNS0_15gpu_kernel_implINS0_11FillFunctorIN3c1014Float8_e8m0fnuEEEEEvRNS_18TensorIteratorBaseERKT_EUlibE0_EEviT1_,comdat
	.protected	_ZN2at6native32elementwise_kernel_manual_unrollILi128ELi4EZNS0_15gpu_kernel_implINS0_11FillFunctorIN3c1014Float8_e8m0fnuEEEEEvRNS_18TensorIteratorBaseERKT_EUlibE0_EEviT1_ ; -- Begin function _ZN2at6native32elementwise_kernel_manual_unrollILi128ELi4EZNS0_15gpu_kernel_implINS0_11FillFunctorIN3c1014Float8_e8m0fnuEEEEEvRNS_18TensorIteratorBaseERKT_EUlibE0_EEviT1_
	.globl	_ZN2at6native32elementwise_kernel_manual_unrollILi128ELi4EZNS0_15gpu_kernel_implINS0_11FillFunctorIN3c1014Float8_e8m0fnuEEEEEvRNS_18TensorIteratorBaseERKT_EUlibE0_EEviT1_
	.p2align	8
	.type	_ZN2at6native32elementwise_kernel_manual_unrollILi128ELi4EZNS0_15gpu_kernel_implINS0_11FillFunctorIN3c1014Float8_e8m0fnuEEEEEvRNS_18TensorIteratorBaseERKT_EUlibE0_EEviT1_,@function
_ZN2at6native32elementwise_kernel_manual_unrollILi128ELi4EZNS0_15gpu_kernel_implINS0_11FillFunctorIN3c1014Float8_e8m0fnuEEEEEvRNS_18TensorIteratorBaseERKT_EUlibE0_EEviT1_: ; @_ZN2at6native32elementwise_kernel_manual_unrollILi128ELi4EZNS0_15gpu_kernel_implINS0_11FillFunctorIN3c1014Float8_e8m0fnuEEEEEvRNS_18TensorIteratorBaseERKT_EUlibE0_EEviT1_
; %bb.0:
	s_load_dword s83, s[4:5], 0x0
	s_load_dword s33, s[4:5], 0x8
	s_or_b32 s4, s4, 8
	v_lshl_or_b32 v14, s6, 9, v0
	v_or_b32_e32 v9, 0x180, v14
	s_waitcnt lgkmcnt(0)
	v_cmp_le_i32_e32 vcc, s83, v9
	s_add_i32 s76, s33, -1
	s_cmp_gt_u32 s76, 1
	s_cselect_b64 s[44:45], -1, 0
	s_mov_b64 s[34:35], 0
	s_mov_b64 s[6:7], 0
	s_and_saveexec_b64 s[0:1], vcc
	s_xor_b64 s[46:47], exec, s[0:1]
	s_cbranch_execz .LBB151_462
; %bb.1:
	s_cmp_lg_u32 s33, 0
	s_cselect_b64 s[62:63], -1, 0
	s_add_u32 s60, s4, 0xc4
	s_load_dwordx2 s[54:55], s[4:5], 0xc4
	s_load_dwordx2 s[52:53], s[4:5], 0x108
	s_load_dword s82, s[4:5], 0x110
	s_load_dwordx4 s[28:31], s[4:5], 0x4
	s_load_dwordx2 s[56:57], s[4:5], 0x14
	s_addc_u32 s61, s5, 0
	s_min_u32 s84, s76, 15
	s_cmp_gt_u32 s33, 1
	s_cselect_b64 s[58:59], -1, 0
	s_waitcnt lgkmcnt(0)
	s_and_b32 s0, s82, 0xff
	s_lshl_b32 s22, s0, 23
	v_trunc_f32_e32 v2, s22
	v_mul_f32_e32 v1, 0x2f800000, v2
	v_floor_f32_e32 v1, v1
	v_mov_b32_e32 v3, v2
	v_fmac_f32_e32 v3, 0xcf800000, v1
	v_cvt_u32_f32_e32 v1, v1
	v_cvt_u32_f32_e32 v3, v3
	;; [unrolled: 1-line block ×3, first 2 shown]
	v_mov_b32_e32 v0, 0
	v_cmp_eq_u16_sdwa vcc, s82, v0 src0_sel:BYTE_0 src1_sel:DWORD
	v_cndmask_b32_e64 v7, v1, 0, vcc
	v_mov_b32_e32 v1, 0xff
	v_cndmask_b32_e64 v6, v3, 0, vcc
	v_cndmask_b32_e64 v24, v4, 0, vcc
	v_mov_b32_e32 v3, s22
	v_mov_b32_e32 v4, 0x7f800001
	v_cmp_eq_u16_sdwa s[18:19], s82, v1 src0_sel:BYTE_0 src1_sel:DWORD
	s_add_i32 s0, s22, 0x487ffff
	v_cndmask_b32_e64 v1, |v3|, v4, s[18:19]
	v_mov_b32_e32 v5, 0x400000
	s_lshr_b32 s2, s0, 20
	v_cndmask_b32_e32 v1, v1, v5, vcc
	s_mov_b32 s0, 0x43800000
	v_cmp_gt_u32_e64 s[16:17], s0, v1
	s_mov_b32 s0, 0x3bffffff
	v_cmp_lt_u32_e64 s[14:15], s0, v1
	s_and_b64 s[0:1], s[18:19], exec
	s_cselect_b32 s2, 64, s2
	s_and_b64 s[0:1], vcc, exec
	s_cselect_b32 s81, 0x4c, s2
	s_add_i32 s0, s22, 0x88fffff
	s_mov_b32 s2, 0x47800000
	s_lshr_b32 s6, s0, 21
	v_cmp_gt_u32_e64 s[12:13], s2, v1
	s_mov_b32 s2, 0x37ffffff
	v_cmp_lt_u32_e64 s[10:11], s2, v1
	s_and_b64 s[2:3], s[18:19], exec
	s_cselect_b32 s6, 64, s6
	s_and_b64 s[2:3], vcc, exec
	s_cselect_b32 s80, 0x46, s6
	s_add_i32 s2, s22, 0x407ffff
	s_lshr_b32 s20, s2, 20
	s_mov_b32 s2, 0x43efffff
	v_cmp_lt_u32_e64 s[6:7], s2, v1
	s_mov_b32 s2, 0x3c800000
	v_cmp_gt_u32_e64 s[8:9], s2, v1
	s_and_b64 s[2:3], s[18:19], exec
	s_cselect_b32 s20, 56, s20
	s_and_b64 s[2:3], vcc, exec
	s_cselect_b32 s79, 0x44, s20
	s_add_i32 s2, s22, 0x80fffff
	s_lshr_b32 s25, s2, 21
	s_and_b64 s[20:21], s[18:19], exec
	s_cselect_b32 s25, 60, s25
	s_and_b64 s[20:21], vcc, exec
	v_add_f32_e32 v23, 0x46000000, v1
	v_add_f32_e32 v21, 0x42800000, v1
	s_mov_b32 s20, 0x7f800000
	v_cmp_ne_u32_sdwa s[50:51], v23, v0 src0_sel:BYTE_0 src1_sel:DWORD
	v_cmp_ne_u32_sdwa s[48:49], v21, v0 src0_sel:BYTE_0 src1_sel:DWORD
	v_mov_b32_e32 v0, 0x7e
	v_mov_b32_e32 v8, 0x7f
	v_cmp_lt_u32_e64 s[20:21], s20, v1
	v_cndmask_b32_e64 v22, v0, v8, s[20:21]
	v_mov_b32_e32 v0, 0x7c
	v_cndmask_b32_e64 v19, v0, v8, s[20:21]
	v_cndmask_b32_e64 v0, v3, v4, s[18:19]
	v_cndmask_b32_e32 v15, v0, v5, vcc
	s_mov_b32 s0, 0x477fffff
	s_mov_b32 s2, 0x38800000
	v_add_u32_e32 v0, 0x7fff, v15
	v_cmp_lt_u32_e64 s[0:1], s0, v1
	v_add_f32_e32 v20, 0x46800000, v1
	v_cmp_gt_u32_e64 s[2:3], s2, v1
	v_add_f32_e32 v18, 0x43000000, v1
	v_lshrrev_b32_e32 v0, 16, v0
	v_mov_b32_e32 v1, 0x7fc0
	v_cmp_o_f32_e64 s[20:21], v15, v15
	v_cndmask_b32_e64 v17, v1, v0, s[20:21]
	v_cvt_f64_f32_e32 v[0:1], s22
	v_bfrev_b32_e32 v3, 4
	v_cndmask_b32_e64 v0, v0, v3, s[18:19]
	v_mov_b32_e32 v3, 0x7ff80000
	v_cndmask_b32_e64 v1, v1, v3, s[18:19]
	v_bfrev_b32_e32 v3, 28
	v_cndmask_b32_e32 v1, v1, v3, vcc
	v_cvt_f16_f32_e32 v3, s22
	s_mov_b32 s23, 0x2f800000
	v_mov_b32_e32 v4, 0x7e00
	s_mov_b32 s24, 0xcf800000
	v_cndmask_b32_e64 v3, v3, v4, s[18:19]
	v_mul_f32_e64 v4, |v2|, s23
	v_floor_f32_e32 v4, v4
	v_fma_f32 v5, v4, s24, |v2|
	v_cvt_u32_f32_e32 v5, v5
	v_cvt_u32_f32_e32 v4, v4
	v_ashrrev_i32_e32 v2, 31, v2
	v_cvt_i32_f32_e32 v8, s22
	v_cndmask_b32_e64 v16, v3, 0, vcc
	v_xor_b32_e32 v3, v5, v2
	s_cselect_b32 s78, 0x42, s25
	s_and_b64 s[20:21], s[18:19], exec
	v_xor_b32_e32 v4, v4, v2
	v_sub_co_u32_e64 v3, s[18:19], v3, v2
	v_subb_co_u32_e64 v2, s[18:19], v4, v2, s[18:19]
	v_cndmask_b32_e64 v5, v2, 0, vcc
	v_and_b32_e32 v2, 0xff, v8
	s_cselect_b32 s25, 0x7f800001, s22
	s_and_b64 s[20:21], vcc, exec
	v_cndmask_b32_e64 v12, v2, 0, vcc
	v_and_b32_e32 v2, 0xff, v3
	v_lshrrev_b16_e64 v10, 8, s82
	v_cndmask_b32_e64 v0, v0, 0, vcc
	s_cselect_b32 s77, 0x400000, s25
	v_cndmask_b32_e64 v4, v3, 0, vcc
	v_cndmask_b32_e64 v13, v8, 0, vcc
	;; [unrolled: 1-line block ×3, first 2 shown]
	v_cmp_gt_i32_e32 vcc, s83, v14
	s_mov_b64 s[22:23], -1
	s_mov_b64 s[68:69], 0
	s_mov_b64 s[18:19], 0
	s_and_saveexec_b64 s[64:65], vcc
	s_cbranch_execz .LBB151_114
; %bb.2:
	s_andn2_b64 vcc, exec, s[44:45]
	s_cbranch_vccnz .LBB151_7
; %bb.3:
	s_andn2_b64 vcc, exec, s[62:63]
	s_cbranch_vccnz .LBB151_8
; %bb.4:
	s_add_i32 s71, s84, 1
	s_mov_b32 s70, 0
	s_cmp_eq_u32 s76, 2
	v_mov_b32_e32 v2, 0
	s_cbranch_scc1 .LBB151_9
; %bb.5:
	s_and_b32 s70, s71, 28
	s_mov_b32 s72, 0
	v_mov_b32_e32 v2, 0
	s_mov_b64 s[18:19], s[4:5]
	s_mov_b64 s[66:67], s[60:61]
	v_mov_b32_e32 v8, v14
.LBB151_6:                              ; =>This Inner Loop Header: Depth=1
	s_load_dwordx8 s[20:27], s[18:19], 0x4
	s_load_dwordx4 s[36:39], s[18:19], 0x24
	s_load_dwordx4 s[40:43], s[66:67], 0x0
	s_add_u32 s18, s18, 48
	s_addc_u32 s19, s19, 0
	s_waitcnt lgkmcnt(0)
	v_mul_hi_u32 v3, s21, v8
	v_add_u32_e32 v3, v8, v3
	v_lshrrev_b32_e32 v3, s22, v3
	v_mul_lo_u32 v9, v3, s20
	v_mul_hi_u32 v25, s24, v3
	v_sub_u32_e32 v8, v8, v9
	v_add_u32_e32 v9, v3, v25
	v_lshrrev_b32_e32 v9, s25, v9
	v_mul_lo_u32 v25, v9, s23
	v_mul_hi_u32 v26, s27, v9
	v_sub_u32_e32 v3, v3, v25
	v_add_u32_e32 v25, v9, v26
	v_mul_lo_u32 v8, v8, s40
	v_mul_lo_u32 v3, v3, s41
	v_lshrrev_b32_e32 v25, s36, v25
	v_add3_u32 v2, v8, v2, v3
	v_mul_hi_u32 v8, s38, v25
	v_add_u32_e32 v8, v25, v8
	v_mul_lo_u32 v3, v25, s26
	v_lshrrev_b32_e32 v8, s39, v8
	s_add_i32 s72, s72, 4
	v_sub_u32_e32 v3, v9, v3
	v_mul_lo_u32 v9, v8, s37
	s_add_u32 s66, s66, 16
	v_sub_u32_e32 v9, v25, v9
	s_addc_u32 s67, s67, 0
	v_mul_lo_u32 v3, v3, s42
	v_mul_lo_u32 v9, v9, s43
	s_cmp_lg_u32 s70, s72
	v_add3_u32 v2, v3, v2, v9
	s_cbranch_scc1 .LBB151_6
	s_branch .LBB151_10
.LBB151_7:
                                        ; implicit-def: $vgpr2
	s_branch .LBB151_14
.LBB151_8:
	v_mov_b32_e32 v2, 0
	s_branch .LBB151_13
.LBB151_9:
	v_mov_b32_e32 v8, v14
.LBB151_10:
	s_and_b32 s22, s71, 3
	s_cmp_eq_u32 s22, 0
	s_cbranch_scc1 .LBB151_13
; %bb.11:
	s_lshl_b32 s18, s70, 2
	s_add_u32 s18, s18, s4
	s_addc_u32 s19, s5, 0
	s_add_u32 s18, s18, 0xc4
	s_addc_u32 s19, s19, 0
	s_mul_i32 s20, s70, 12
	s_add_u32 s20, s4, s20
	s_addc_u32 s21, s5, 0
.LBB151_12:                             ; =>This Inner Loop Header: Depth=1
	s_load_dwordx2 s[24:25], s[20:21], 0x4
	s_load_dword s23, s[20:21], 0xc
	s_load_dword s26, s[18:19], 0x0
	s_add_u32 s20, s20, 12
	s_addc_u32 s21, s21, 0
	s_waitcnt lgkmcnt(0)
	v_mul_hi_u32 v3, s25, v8
	v_add_u32_e32 v3, v8, v3
	v_lshrrev_b32_e32 v3, s23, v3
	s_add_u32 s18, s18, 4
	v_mul_lo_u32 v9, v3, s24
	s_addc_u32 s19, s19, 0
	s_add_i32 s22, s22, -1
	v_sub_u32_e32 v9, v8, v9
	s_cmp_lg_u32 s22, 0
	v_mov_b32_e32 v8, v3
	v_mad_u64_u32 v[2:3], s[24:25], v9, s26, v[2:3]
	s_cbranch_scc1 .LBB151_12
.LBB151_13:
	s_cbranch_execnz .LBB151_16
.LBB151_14:
	v_mul_hi_u32 v2, s29, v14
	v_add_u32_e32 v2, v14, v2
	v_lshrrev_b32_e32 v3, s30, v2
	v_mul_lo_u32 v2, v3, s28
	v_sub_u32_e32 v2, v14, v2
	s_andn2_b64 vcc, exec, s[58:59]
	v_mul_lo_u32 v2, v2, s54
	s_cbranch_vccnz .LBB151_16
; %bb.15:
	v_mul_hi_u32 v8, s56, v3
	v_add_u32_e32 v8, v3, v8
	v_lshrrev_b32_e32 v8, s57, v8
	v_mul_lo_u32 v8, v8, s31
	v_sub_u32_e32 v3, v3, v8
	v_mad_u64_u32 v[2:3], s[18:19], v3, s55, v[2:3]
.LBB151_16:
	v_mov_b32_e32 v3, s53
	v_add_co_u32_e32 v8, vcc, s52, v2
	v_addc_co_u32_e32 v9, vcc, 0, v3, vcc
	v_cmp_gt_i16_e32 vcc, 11, v10
	s_cbranch_vccnz .LBB151_23
; %bb.17:
	v_cmp_lt_i16_e32 vcc, 25, v10
	s_cbranch_vccz .LBB151_26
; %bb.18:
	v_cmp_lt_i16_e32 vcc, 28, v10
	s_cbranch_vccz .LBB151_27
	;; [unrolled: 3-line block ×4, first 2 shown]
; %bb.21:
	v_cmp_eq_u16_e32 vcc, 46, v10
	s_mov_b64 s[22:23], 0
	s_mov_b64 s[18:19], -1
	s_mov_b64 s[20:21], 0
	s_cbranch_vccz .LBB151_30
; %bb.22:
	global_store_dword v[8:9], v17, off
	s_mov_b64 s[20:21], -1
	s_mov_b64 s[18:19], 0
	s_branch .LBB151_30
.LBB151_23:
	s_mov_b64 s[18:19], 0
	s_mov_b64 s[20:21], 0
	s_cbranch_execnz .LBB151_74
.LBB151_24:
	s_andn2_b64 vcc, exec, s[20:21]
	s_cbranch_vccnz .LBB151_112
.LBB151_25:
	v_add_u32_e32 v14, 0x80, v14
	s_mov_b64 s[20:21], -1
	s_branch .LBB151_113
.LBB151_26:
	s_mov_b64 s[18:19], 0
	s_mov_b64 s[20:21], 0
	s_cbranch_execnz .LBB151_52
	s_branch .LBB151_73
.LBB151_27:
	s_mov_b64 s[22:23], -1
	s_mov_b64 s[18:19], 0
	s_mov_b64 s[20:21], 0
	s_branch .LBB151_38
.LBB151_28:
	s_mov_b64 s[22:23], -1
	s_mov_b64 s[18:19], 0
	s_mov_b64 s[20:21], 0
	s_branch .LBB151_34
.LBB151_29:
	s_mov_b64 s[22:23], -1
	s_mov_b64 s[18:19], 0
	s_mov_b64 s[20:21], 0
.LBB151_30:
	s_and_b64 vcc, exec, s[22:23]
	s_cbranch_vccz .LBB151_33
; %bb.31:
	v_cmp_eq_u16_e32 vcc, 44, v10
	s_mov_b64 s[18:19], -1
	s_cbranch_vccz .LBB151_33
; %bb.32:
	v_mov_b32_e32 v2, s82
	global_store_byte v[8:9], v2, off
	s_mov_b64 s[20:21], -1
	s_mov_b64 s[18:19], 0
.LBB151_33:
	s_mov_b64 s[22:23], 0
.LBB151_34:
	s_and_b64 vcc, exec, s[22:23]
	s_cbranch_vccz .LBB151_37
; %bb.35:
	v_cmp_eq_u16_e32 vcc, 29, v10
	s_mov_b64 s[18:19], -1
	s_cbranch_vccz .LBB151_37
; %bb.36:
	global_store_dwordx2 v[8:9], v[6:7], off
	s_mov_b64 s[20:21], -1
	s_mov_b64 s[18:19], 0
.LBB151_37:
	s_mov_b64 s[22:23], 0
.LBB151_38:
	s_and_b64 vcc, exec, s[22:23]
	s_cbranch_vccz .LBB151_51
; %bb.39:
	v_cmp_gt_i16_e32 vcc, 27, v10
	s_mov_b64 s[20:21], -1
	s_cbranch_vccnz .LBB151_45
; %bb.40:
	v_cmp_lt_i16_e32 vcc, 27, v10
	s_cbranch_vccz .LBB151_42
; %bb.41:
	s_mov_b64 s[20:21], 0
	global_store_dword v[8:9], v24, off
.LBB151_42:
	s_andn2_b64 vcc, exec, s[20:21]
	s_cbranch_vccnz .LBB151_44
; %bb.43:
	global_store_short v[8:9], v24, off
.LBB151_44:
	s_mov_b64 s[20:21], 0
.LBB151_45:
	s_andn2_b64 vcc, exec, s[20:21]
	s_cbranch_vccnz .LBB151_50
; %bb.46:
	s_andn2_b64 vcc, exec, s[16:17]
	v_mov_b32_e32 v2, 0x80
	s_cbranch_vccnz .LBB151_49
; %bb.47:
	s_or_b64 s[20:21], s[14:15], s[50:51]
	s_andn2_b64 vcc, exec, s[20:21]
	v_mov_b32_e32 v2, 0
	s_cbranch_vccnz .LBB151_49
; %bb.48:
	v_mov_b32_e32 v2, s81
	v_cndmask_b32_e64 v2, v23, v2, s[14:15]
.LBB151_49:
	global_store_byte v[8:9], v2, off
.LBB151_50:
	s_mov_b64 s[20:21], -1
.LBB151_51:
	s_branch .LBB151_73
.LBB151_52:
	v_cmp_lt_i16_e32 vcc, 22, v10
	s_mov_b64 s[22:23], -1
	s_cbranch_vccz .LBB151_65
; %bb.53:
	v_cmp_gt_i16_e32 vcc, 24, v10
	s_mov_b64 s[20:21], -1
	s_cbranch_vccnz .LBB151_62
; %bb.54:
	v_cmp_lt_i16_e32 vcc, 24, v10
	s_cbranch_vccz .LBB151_59
; %bb.55:
	s_andn2_b64 vcc, exec, s[12:13]
	v_mov_b32_e32 v2, 0x80
	s_cbranch_vccnz .LBB151_58
; %bb.56:
	s_or_b64 s[20:21], s[10:11], s[48:49]
	s_andn2_b64 vcc, exec, s[20:21]
	v_mov_b32_e32 v2, 0
	s_cbranch_vccnz .LBB151_58
; %bb.57:
	v_mov_b32_e32 v2, s80
	v_cndmask_b32_e64 v2, v21, v2, s[10:11]
.LBB151_58:
	s_mov_b64 s[20:21], 0
	global_store_byte v[8:9], v2, off
.LBB151_59:
	s_and_b64 vcc, exec, s[20:21]
	s_cbranch_vccz .LBB151_61
; %bb.60:
	v_mov_b32_e32 v2, s79
	v_cndmask_b32_e64 v2, v2, v20, s[8:9]
	v_cndmask_b32_e64 v2, v2, v22, s[6:7]
	global_store_byte v[8:9], v2, off
.LBB151_61:
	s_mov_b64 s[20:21], 0
.LBB151_62:
	s_andn2_b64 vcc, exec, s[20:21]
	s_cbranch_vccnz .LBB151_64
; %bb.63:
	v_mov_b32_e32 v2, s78
	v_cndmask_b32_e64 v2, v2, v18, s[2:3]
	v_cndmask_b32_e64 v2, v2, v19, s[0:1]
	global_store_byte v[8:9], v2, off
.LBB151_64:
	s_mov_b64 s[22:23], 0
	s_mov_b64 s[20:21], -1
.LBB151_65:
	s_andn2_b64 vcc, exec, s[22:23]
	s_cbranch_vccnz .LBB151_73
; %bb.66:
	v_cmp_lt_i16_e32 vcc, 14, v10
	s_mov_b64 s[22:23], -1
	s_cbranch_vccz .LBB151_70
; %bb.67:
	v_cmp_eq_u16_e32 vcc, 15, v10
	s_mov_b64 s[18:19], -1
	s_cbranch_vccz .LBB151_69
; %bb.68:
	global_store_short v[8:9], v17, off
	s_mov_b64 s[20:21], -1
	s_mov_b64 s[18:19], 0
.LBB151_69:
	s_mov_b64 s[22:23], 0
.LBB151_70:
	s_and_b64 vcc, exec, s[22:23]
	s_cbranch_vccz .LBB151_73
; %bb.71:
	v_cmp_eq_u16_e32 vcc, 11, v10
	s_mov_b64 s[18:19], -1
	s_cbranch_vccz .LBB151_73
; %bb.72:
	v_mov_b32_e32 v2, 1
	s_mov_b64 s[20:21], -1
	s_mov_b64 s[18:19], 0
	global_store_byte v[8:9], v2, off
.LBB151_73:
	s_branch .LBB151_24
.LBB151_74:
	v_cmp_gt_i16_e32 vcc, 5, v10
	s_mov_b64 s[20:21], -1
	s_cbranch_vccnz .LBB151_95
; %bb.75:
	v_cmp_gt_i16_e32 vcc, 8, v10
	s_cbranch_vccnz .LBB151_85
; %bb.76:
	v_cmp_gt_i16_e32 vcc, 9, v10
	s_cbranch_vccnz .LBB151_82
; %bb.77:
	v_cmp_lt_i16_e32 vcc, 9, v10
	s_cbranch_vccz .LBB151_79
; %bb.78:
	v_mov_b32_e32 v2, 0
	v_mov_b32_e32 v3, v2
	global_store_dwordx4 v[8:9], v[0:3], off
	s_mov_b64 s[20:21], 0
.LBB151_79:
	s_andn2_b64 vcc, exec, s[20:21]
	s_cbranch_vccnz .LBB151_81
; %bb.80:
	v_mov_b32_e32 v2, s77
	v_mov_b32_e32 v3, 0
	global_store_dwordx2 v[8:9], v[2:3], off
.LBB151_81:
	s_mov_b64 s[20:21], 0
.LBB151_82:
	s_andn2_b64 vcc, exec, s[20:21]
	s_cbranch_vccnz .LBB151_84
; %bb.83:
	global_store_dword v[8:9], v16, off
.LBB151_84:
	s_mov_b64 s[20:21], 0
.LBB151_85:
	s_andn2_b64 vcc, exec, s[20:21]
	s_cbranch_vccnz .LBB151_94
; %bb.86:
	v_cmp_gt_i16_e32 vcc, 6, v10
	s_mov_b64 s[20:21], -1
	s_cbranch_vccnz .LBB151_92
; %bb.87:
	v_cmp_lt_i16_e32 vcc, 6, v10
	s_cbranch_vccz .LBB151_89
; %bb.88:
	global_store_dwordx2 v[8:9], v[0:1], off
	s_mov_b64 s[20:21], 0
.LBB151_89:
	s_andn2_b64 vcc, exec, s[20:21]
	s_cbranch_vccnz .LBB151_91
; %bb.90:
	global_store_dword v[8:9], v15, off
.LBB151_91:
	s_mov_b64 s[20:21], 0
.LBB151_92:
	s_andn2_b64 vcc, exec, s[20:21]
	s_cbranch_vccnz .LBB151_94
; %bb.93:
	global_store_short v[8:9], v16, off
.LBB151_94:
	s_mov_b64 s[20:21], 0
.LBB151_95:
	s_andn2_b64 vcc, exec, s[20:21]
	s_cbranch_vccnz .LBB151_111
; %bb.96:
	v_cmp_gt_i16_e32 vcc, 2, v10
	s_mov_b64 s[20:21], -1
	s_cbranch_vccnz .LBB151_106
; %bb.97:
	v_cmp_gt_i16_e32 vcc, 3, v10
	s_cbranch_vccnz .LBB151_103
; %bb.98:
	v_cmp_lt_i16_e32 vcc, 3, v10
	s_cbranch_vccz .LBB151_100
; %bb.99:
	global_store_dwordx2 v[8:9], v[4:5], off
	s_mov_b64 s[20:21], 0
.LBB151_100:
	s_andn2_b64 vcc, exec, s[20:21]
	s_cbranch_vccnz .LBB151_102
; %bb.101:
	global_store_dword v[8:9], v13, off
.LBB151_102:
	s_mov_b64 s[20:21], 0
.LBB151_103:
	s_andn2_b64 vcc, exec, s[20:21]
	s_cbranch_vccnz .LBB151_105
; %bb.104:
	global_store_short v[8:9], v13, off
.LBB151_105:
	s_mov_b64 s[20:21], 0
.LBB151_106:
	s_andn2_b64 vcc, exec, s[20:21]
	s_cbranch_vccnz .LBB151_111
; %bb.107:
	v_cmp_lt_i16_e32 vcc, 0, v10
	s_mov_b64 s[20:21], -1
	s_cbranch_vccz .LBB151_109
; %bb.108:
	global_store_byte v[8:9], v12, off
	s_mov_b64 s[20:21], 0
.LBB151_109:
	s_andn2_b64 vcc, exec, s[20:21]
	s_cbranch_vccnz .LBB151_111
; %bb.110:
	global_store_byte v[8:9], v11, off
.LBB151_111:
	s_branch .LBB151_25
.LBB151_112:
	s_mov_b64 s[20:21], 0
                                        ; implicit-def: $vgpr14
.LBB151_113:
	s_and_b64 s[18:19], s[18:19], exec
	s_orn2_b64 s[22:23], s[20:21], exec
.LBB151_114:
	s_or_b64 exec, exec, s[64:65]
	s_mov_b64 s[20:21], 0
                                        ; implicit-def: $vgpr8_vgpr9
	s_and_saveexec_b64 s[64:65], s[22:23]
	s_cbranch_execz .LBB151_121
; %bb.115:
	v_cmp_gt_i32_e32 vcc, s83, v14
	s_mov_b64 s[20:21], -1
	s_mov_b64 s[66:67], s[18:19]
	s_and_saveexec_b64 s[68:69], vcc
	s_cbranch_execz .LBB151_232
; %bb.116:
	s_andn2_b64 vcc, exec, s[44:45]
	s_cbranch_vccnz .LBB151_124
; %bb.117:
	s_andn2_b64 vcc, exec, s[62:63]
	s_cbranch_vccnz .LBB151_125
; %bb.118:
	s_add_i32 s73, s84, 1
	s_mov_b32 s72, 0
	s_cmp_eq_u32 s76, 2
	v_mov_b32_e32 v2, 0
	s_cbranch_scc1 .LBB151_126
; %bb.119:
	s_and_b32 s72, s73, 28
	s_mov_b32 s74, 0
	v_mov_b32_e32 v2, 0
	s_mov_b64 s[66:67], s[4:5]
	s_mov_b64 s[70:71], s[60:61]
	v_mov_b32_e32 v8, v14
.LBB151_120:                            ; =>This Inner Loop Header: Depth=1
	s_load_dwordx8 s[20:27], s[66:67], 0x4
	s_load_dwordx4 s[36:39], s[66:67], 0x24
	s_load_dwordx4 s[40:43], s[70:71], 0x0
	s_add_u32 s66, s66, 48
	s_addc_u32 s67, s67, 0
	s_waitcnt lgkmcnt(0)
	v_mul_hi_u32 v3, s21, v8
	v_add_u32_e32 v3, v8, v3
	v_lshrrev_b32_e32 v3, s22, v3
	v_mul_lo_u32 v9, v3, s20
	v_mul_hi_u32 v25, s24, v3
	v_sub_u32_e32 v8, v8, v9
	v_add_u32_e32 v9, v3, v25
	v_lshrrev_b32_e32 v9, s25, v9
	v_mul_lo_u32 v25, v9, s23
	v_mul_hi_u32 v26, s27, v9
	v_sub_u32_e32 v3, v3, v25
	v_add_u32_e32 v25, v9, v26
	v_mul_lo_u32 v8, v8, s40
	v_mul_lo_u32 v3, v3, s41
	v_lshrrev_b32_e32 v25, s36, v25
	v_add3_u32 v2, v8, v2, v3
	v_mul_hi_u32 v8, s38, v25
	v_add_u32_e32 v8, v25, v8
	v_mul_lo_u32 v3, v25, s26
	v_lshrrev_b32_e32 v8, s39, v8
	s_add_i32 s74, s74, 4
	v_sub_u32_e32 v3, v9, v3
	v_mul_lo_u32 v9, v8, s37
	s_add_u32 s70, s70, 16
	v_sub_u32_e32 v9, v25, v9
	s_addc_u32 s71, s71, 0
	v_mul_lo_u32 v3, v3, s42
	v_mul_lo_u32 v9, v9, s43
	s_cmp_eq_u32 s72, s74
	v_add3_u32 v2, v3, v2, v9
	s_cbranch_scc0 .LBB151_120
	s_branch .LBB151_127
.LBB151_121:
	s_or_b64 exec, exec, s[64:65]
	s_mov_b64 s[0:1], 0
	s_and_saveexec_b64 s[2:3], s[18:19]
	s_cbranch_execnz .LBB151_422
.LBB151_122:
	s_or_b64 exec, exec, s[2:3]
	s_and_saveexec_b64 s[2:3], s[68:69]
	s_xor_b64 s[2:3], exec, s[2:3]
	s_cbranch_execz .LBB151_423
.LBB151_123:
	v_mov_b32_e32 v2, 1
	global_store_byte v[8:9], v2, off
	s_or_b64 exec, exec, s[2:3]
	s_and_saveexec_b64 s[2:3], s[20:21]
	s_xor_b64 s[2:3], exec, s[2:3]
	s_cbranch_execz .LBB151_461
	s_branch .LBB151_424
.LBB151_124:
                                        ; implicit-def: $vgpr2
	s_andn2_b64 vcc, exec, s[20:21]
	s_cbranch_vccz .LBB151_131
	s_branch .LBB151_133
.LBB151_125:
	v_mov_b32_e32 v2, 0
	s_branch .LBB151_130
.LBB151_126:
	v_mov_b32_e32 v8, v14
.LBB151_127:
	s_and_b32 s24, s73, 3
	s_cmp_eq_u32 s24, 0
	s_cbranch_scc1 .LBB151_130
; %bb.128:
	s_lshl_b32 s20, s72, 2
	s_add_u32 s20, s20, s4
	s_addc_u32 s21, s5, 0
	s_add_u32 s20, s20, 0xc4
	s_addc_u32 s21, s21, 0
	s_mul_i32 s22, s72, 12
	s_add_u32 s22, s4, s22
	s_addc_u32 s23, s5, 0
.LBB151_129:                            ; =>This Inner Loop Header: Depth=1
	s_load_dwordx2 s[26:27], s[22:23], 0x4
	s_load_dword s25, s[22:23], 0xc
	s_load_dword s36, s[20:21], 0x0
	s_add_u32 s22, s22, 12
	s_addc_u32 s23, s23, 0
	s_waitcnt lgkmcnt(0)
	v_mul_hi_u32 v3, s27, v8
	v_add_u32_e32 v3, v8, v3
	v_lshrrev_b32_e32 v3, s25, v3
	s_add_u32 s20, s20, 4
	v_mul_lo_u32 v9, v3, s26
	s_addc_u32 s21, s21, 0
	s_add_i32 s24, s24, -1
	v_sub_u32_e32 v9, v8, v9
	s_cmp_lg_u32 s24, 0
	v_mov_b32_e32 v8, v3
	v_mad_u64_u32 v[2:3], s[26:27], v9, s36, v[2:3]
	s_cbranch_scc1 .LBB151_129
.LBB151_130:
	s_cbranch_execnz .LBB151_133
.LBB151_131:
	v_mul_hi_u32 v2, s29, v14
	v_add_u32_e32 v2, v14, v2
	v_lshrrev_b32_e32 v3, s30, v2
	v_mul_lo_u32 v2, v3, s28
	v_sub_u32_e32 v2, v14, v2
	s_andn2_b64 vcc, exec, s[58:59]
	v_mul_lo_u32 v2, v2, s54
	s_cbranch_vccnz .LBB151_133
; %bb.132:
	v_mul_hi_u32 v8, s56, v3
	v_add_u32_e32 v8, v3, v8
	v_lshrrev_b32_e32 v8, s57, v8
	v_mul_lo_u32 v8, v8, s31
	v_sub_u32_e32 v3, v3, v8
	v_mad_u64_u32 v[2:3], s[20:21], v3, s55, v[2:3]
.LBB151_133:
	v_mov_b32_e32 v3, s53
	v_add_co_u32_e32 v8, vcc, s52, v2
	v_addc_co_u32_e32 v9, vcc, 0, v3, vcc
	v_cmp_gt_i16_e32 vcc, 11, v10
	s_cbranch_vccnz .LBB151_140
; %bb.134:
	v_cmp_lt_i16_e32 vcc, 25, v10
	s_cbranch_vccz .LBB151_143
; %bb.135:
	v_cmp_lt_i16_e32 vcc, 28, v10
	s_cbranch_vccz .LBB151_144
	;; [unrolled: 3-line block ×4, first 2 shown]
; %bb.138:
	v_cmp_eq_u16_e32 vcc, 46, v10
	s_mov_b64 s[24:25], 0
	s_mov_b64 s[20:21], -1
	s_mov_b64 s[22:23], 0
	s_cbranch_vccz .LBB151_147
; %bb.139:
	global_store_dword v[8:9], v17, off
	s_mov_b64 s[22:23], -1
	s_mov_b64 s[20:21], 0
	s_branch .LBB151_147
.LBB151_140:
	s_mov_b64 s[22:23], 0
	s_mov_b64 s[20:21], s[18:19]
	s_cbranch_execnz .LBB151_192
.LBB151_141:
	s_andn2_b64 vcc, exec, s[22:23]
	s_cbranch_vccnz .LBB151_230
.LBB151_142:
	v_add_u32_e32 v14, 0x80, v14
	s_mov_b64 s[22:23], -1
	s_branch .LBB151_231
.LBB151_143:
	s_mov_b64 s[24:25], -1
	s_mov_b64 s[22:23], 0
	s_mov_b64 s[20:21], s[18:19]
	s_branch .LBB151_169
.LBB151_144:
	s_mov_b64 s[24:25], -1
	s_mov_b64 s[22:23], 0
	s_mov_b64 s[20:21], s[18:19]
	s_branch .LBB151_155
.LBB151_145:
	s_mov_b64 s[24:25], -1
	s_mov_b64 s[22:23], 0
	s_mov_b64 s[20:21], s[18:19]
	s_branch .LBB151_151
.LBB151_146:
	s_mov_b64 s[24:25], -1
	s_mov_b64 s[22:23], 0
	s_mov_b64 s[20:21], s[18:19]
.LBB151_147:
	s_and_b64 vcc, exec, s[24:25]
	s_cbranch_vccz .LBB151_150
; %bb.148:
	v_cmp_eq_u16_e32 vcc, 44, v10
	s_mov_b64 s[20:21], -1
	s_cbranch_vccz .LBB151_150
; %bb.149:
	v_mov_b32_e32 v2, s82
	s_mov_b64 s[22:23], -1
	s_mov_b64 s[20:21], 0
	global_store_byte v[8:9], v2, off
.LBB151_150:
	s_mov_b64 s[24:25], 0
.LBB151_151:
	s_and_b64 vcc, exec, s[24:25]
	s_cbranch_vccz .LBB151_154
; %bb.152:
	v_cmp_eq_u16_e32 vcc, 29, v10
	s_mov_b64 s[20:21], -1
	s_cbranch_vccz .LBB151_154
; %bb.153:
	global_store_dwordx2 v[8:9], v[6:7], off
	s_mov_b64 s[22:23], -1
	s_mov_b64 s[20:21], 0
.LBB151_154:
	s_mov_b64 s[24:25], 0
.LBB151_155:
	s_and_b64 vcc, exec, s[24:25]
	s_cbranch_vccz .LBB151_168
; %bb.156:
	v_cmp_gt_i16_e32 vcc, 27, v10
	s_mov_b64 s[22:23], -1
	s_cbranch_vccnz .LBB151_162
; %bb.157:
	v_cmp_lt_i16_e32 vcc, 27, v10
	s_cbranch_vccz .LBB151_159
; %bb.158:
	s_mov_b64 s[22:23], 0
	global_store_dword v[8:9], v24, off
.LBB151_159:
	s_andn2_b64 vcc, exec, s[22:23]
	s_cbranch_vccnz .LBB151_161
; %bb.160:
	global_store_short v[8:9], v24, off
.LBB151_161:
	s_mov_b64 s[22:23], 0
.LBB151_162:
	s_andn2_b64 vcc, exec, s[22:23]
	s_cbranch_vccnz .LBB151_167
; %bb.163:
	s_andn2_b64 vcc, exec, s[16:17]
	v_mov_b32_e32 v2, 0x80
	s_cbranch_vccnz .LBB151_166
; %bb.164:
	s_or_b64 s[22:23], s[14:15], s[50:51]
	s_andn2_b64 vcc, exec, s[22:23]
	v_mov_b32_e32 v2, 0
	s_cbranch_vccnz .LBB151_166
; %bb.165:
	v_mov_b32_e32 v2, s81
	v_cndmask_b32_e64 v2, v23, v2, s[14:15]
.LBB151_166:
	global_store_byte v[8:9], v2, off
.LBB151_167:
	s_mov_b64 s[22:23], -1
.LBB151_168:
	s_mov_b64 s[24:25], 0
.LBB151_169:
	s_and_b64 vcc, exec, s[24:25]
	s_cbranch_vccz .LBB151_191
; %bb.170:
	v_cmp_lt_i16_e32 vcc, 22, v10
	s_mov_b64 s[24:25], -1
	s_cbranch_vccz .LBB151_183
; %bb.171:
	v_cmp_gt_i16_e32 vcc, 24, v10
	s_mov_b64 s[22:23], -1
	s_cbranch_vccnz .LBB151_180
; %bb.172:
	v_cmp_lt_i16_e32 vcc, 24, v10
	s_cbranch_vccz .LBB151_177
; %bb.173:
	s_andn2_b64 vcc, exec, s[12:13]
	v_mov_b32_e32 v2, 0x80
	s_cbranch_vccnz .LBB151_176
; %bb.174:
	s_or_b64 s[22:23], s[10:11], s[48:49]
	s_andn2_b64 vcc, exec, s[22:23]
	v_mov_b32_e32 v2, 0
	s_cbranch_vccnz .LBB151_176
; %bb.175:
	v_mov_b32_e32 v2, s80
	v_cndmask_b32_e64 v2, v21, v2, s[10:11]
.LBB151_176:
	s_mov_b64 s[22:23], 0
	global_store_byte v[8:9], v2, off
.LBB151_177:
	s_and_b64 vcc, exec, s[22:23]
	s_cbranch_vccz .LBB151_179
; %bb.178:
	v_mov_b32_e32 v2, s79
	v_cndmask_b32_e64 v2, v2, v20, s[8:9]
	v_cndmask_b32_e64 v2, v2, v22, s[6:7]
	global_store_byte v[8:9], v2, off
.LBB151_179:
	s_mov_b64 s[22:23], 0
.LBB151_180:
	s_andn2_b64 vcc, exec, s[22:23]
	s_cbranch_vccnz .LBB151_182
; %bb.181:
	v_mov_b32_e32 v2, s78
	v_cndmask_b32_e64 v2, v2, v18, s[2:3]
	v_cndmask_b32_e64 v2, v2, v19, s[0:1]
	global_store_byte v[8:9], v2, off
.LBB151_182:
	s_mov_b64 s[24:25], 0
	s_mov_b64 s[22:23], -1
.LBB151_183:
	s_andn2_b64 vcc, exec, s[24:25]
	s_cbranch_vccnz .LBB151_191
; %bb.184:
	v_cmp_lt_i16_e32 vcc, 14, v10
	s_mov_b64 s[24:25], -1
	s_cbranch_vccz .LBB151_188
; %bb.185:
	v_cmp_eq_u16_e32 vcc, 15, v10
	s_mov_b64 s[20:21], -1
	s_cbranch_vccz .LBB151_187
; %bb.186:
	global_store_short v[8:9], v17, off
	s_mov_b64 s[22:23], -1
	s_mov_b64 s[20:21], 0
.LBB151_187:
	s_mov_b64 s[24:25], 0
.LBB151_188:
	s_and_b64 vcc, exec, s[24:25]
	s_cbranch_vccz .LBB151_191
; %bb.189:
	v_cmp_eq_u16_e32 vcc, 11, v10
	s_mov_b64 s[20:21], -1
	s_cbranch_vccz .LBB151_191
; %bb.190:
	v_mov_b32_e32 v2, 1
	s_mov_b64 s[22:23], -1
	s_mov_b64 s[20:21], 0
	global_store_byte v[8:9], v2, off
.LBB151_191:
	s_branch .LBB151_141
.LBB151_192:
	v_cmp_gt_i16_e32 vcc, 5, v10
	s_mov_b64 s[22:23], -1
	s_cbranch_vccnz .LBB151_213
; %bb.193:
	v_cmp_gt_i16_e32 vcc, 8, v10
	s_cbranch_vccnz .LBB151_203
; %bb.194:
	v_cmp_gt_i16_e32 vcc, 9, v10
	s_cbranch_vccnz .LBB151_200
; %bb.195:
	v_cmp_lt_i16_e32 vcc, 9, v10
	s_cbranch_vccz .LBB151_197
; %bb.196:
	v_mov_b32_e32 v2, 0
	v_mov_b32_e32 v3, v2
	s_mov_b64 s[22:23], 0
	global_store_dwordx4 v[8:9], v[0:3], off
.LBB151_197:
	s_andn2_b64 vcc, exec, s[22:23]
	s_cbranch_vccnz .LBB151_199
; %bb.198:
	v_mov_b32_e32 v2, s77
	v_mov_b32_e32 v3, 0
	global_store_dwordx2 v[8:9], v[2:3], off
.LBB151_199:
	s_mov_b64 s[22:23], 0
.LBB151_200:
	s_andn2_b64 vcc, exec, s[22:23]
	s_cbranch_vccnz .LBB151_202
; %bb.201:
	global_store_dword v[8:9], v16, off
.LBB151_202:
	s_mov_b64 s[22:23], 0
.LBB151_203:
	s_andn2_b64 vcc, exec, s[22:23]
	s_cbranch_vccnz .LBB151_212
; %bb.204:
	v_cmp_gt_i16_e32 vcc, 6, v10
	s_mov_b64 s[22:23], -1
	s_cbranch_vccnz .LBB151_210
; %bb.205:
	v_cmp_lt_i16_e32 vcc, 6, v10
	s_cbranch_vccz .LBB151_207
; %bb.206:
	s_mov_b64 s[22:23], 0
	global_store_dwordx2 v[8:9], v[0:1], off
.LBB151_207:
	s_andn2_b64 vcc, exec, s[22:23]
	s_cbranch_vccnz .LBB151_209
; %bb.208:
	global_store_dword v[8:9], v15, off
.LBB151_209:
	s_mov_b64 s[22:23], 0
.LBB151_210:
	s_andn2_b64 vcc, exec, s[22:23]
	s_cbranch_vccnz .LBB151_212
; %bb.211:
	global_store_short v[8:9], v16, off
.LBB151_212:
	s_mov_b64 s[22:23], 0
.LBB151_213:
	s_andn2_b64 vcc, exec, s[22:23]
	s_cbranch_vccnz .LBB151_229
; %bb.214:
	v_cmp_gt_i16_e32 vcc, 2, v10
	s_mov_b64 s[22:23], -1
	s_cbranch_vccnz .LBB151_224
; %bb.215:
	v_cmp_gt_i16_e32 vcc, 3, v10
	s_cbranch_vccnz .LBB151_221
; %bb.216:
	v_cmp_lt_i16_e32 vcc, 3, v10
	s_cbranch_vccz .LBB151_218
; %bb.217:
	s_mov_b64 s[22:23], 0
	global_store_dwordx2 v[8:9], v[4:5], off
.LBB151_218:
	s_andn2_b64 vcc, exec, s[22:23]
	s_cbranch_vccnz .LBB151_220
; %bb.219:
	global_store_dword v[8:9], v13, off
.LBB151_220:
	s_mov_b64 s[22:23], 0
.LBB151_221:
	s_andn2_b64 vcc, exec, s[22:23]
	s_cbranch_vccnz .LBB151_223
; %bb.222:
	global_store_short v[8:9], v13, off
.LBB151_223:
	s_mov_b64 s[22:23], 0
.LBB151_224:
	s_andn2_b64 vcc, exec, s[22:23]
	s_cbranch_vccnz .LBB151_229
; %bb.225:
	v_cmp_lt_i16_e32 vcc, 0, v10
	s_mov_b64 s[22:23], -1
	s_cbranch_vccz .LBB151_227
; %bb.226:
	s_mov_b64 s[22:23], 0
	global_store_byte v[8:9], v12, off
.LBB151_227:
	s_andn2_b64 vcc, exec, s[22:23]
	s_cbranch_vccnz .LBB151_229
; %bb.228:
	global_store_byte v[8:9], v11, off
.LBB151_229:
	s_branch .LBB151_142
.LBB151_230:
	s_mov_b64 s[22:23], 0
                                        ; implicit-def: $vgpr14
.LBB151_231:
	s_andn2_b64 s[24:25], s[18:19], exec
	s_and_b64 s[20:21], s[20:21], exec
	s_or_b64 s[66:67], s[24:25], s[20:21]
	s_orn2_b64 s[20:21], s[22:23], exec
.LBB151_232:
	s_or_b64 exec, exec, s[68:69]
	s_mov_b64 s[22:23], 0
	s_mov_b64 s[24:25], 0
                                        ; implicit-def: $vgpr8_vgpr9
	s_and_saveexec_b64 s[68:69], s[20:21]
	s_cbranch_execz .LBB151_421
; %bb.233:
	v_cmp_gt_i32_e32 vcc, s83, v14
	s_mov_b64 s[22:23], -1
	s_mov_b64 s[72:73], s[66:67]
	s_and_saveexec_b64 s[70:71], vcc
	s_cbranch_execz .LBB151_349
; %bb.234:
	s_andn2_b64 vcc, exec, s[44:45]
	s_cbranch_vccnz .LBB151_239
; %bb.235:
	s_andn2_b64 vcc, exec, s[62:63]
	s_cbranch_vccnz .LBB151_240
; %bb.236:
	s_add_i32 s86, s84, 1
	s_mov_b32 s85, 0
	s_cmp_eq_u32 s76, 2
	v_mov_b32_e32 v2, 0
	s_cbranch_scc1 .LBB151_241
; %bb.237:
	s_and_b32 s85, s86, 28
	s_mov_b32 s87, 0
	v_mov_b32_e32 v2, 0
	s_mov_b64 s[72:73], s[4:5]
	s_mov_b64 s[74:75], s[60:61]
	v_mov_b32_e32 v8, v14
.LBB151_238:                            ; =>This Inner Loop Header: Depth=1
	s_load_dwordx8 s[20:27], s[72:73], 0x4
	s_load_dwordx4 s[36:39], s[72:73], 0x24
	s_load_dwordx4 s[40:43], s[74:75], 0x0
	s_add_u32 s72, s72, 48
	s_addc_u32 s73, s73, 0
	s_waitcnt lgkmcnt(0)
	v_mul_hi_u32 v3, s21, v8
	v_add_u32_e32 v3, v8, v3
	v_lshrrev_b32_e32 v3, s22, v3
	v_mul_lo_u32 v9, v3, s20
	v_mul_hi_u32 v25, s24, v3
	v_sub_u32_e32 v8, v8, v9
	v_add_u32_e32 v9, v3, v25
	v_lshrrev_b32_e32 v9, s25, v9
	v_mul_lo_u32 v25, v9, s23
	v_mul_hi_u32 v26, s27, v9
	v_sub_u32_e32 v3, v3, v25
	v_add_u32_e32 v25, v9, v26
	v_mul_lo_u32 v8, v8, s40
	v_mul_lo_u32 v3, v3, s41
	v_lshrrev_b32_e32 v25, s36, v25
	v_add3_u32 v2, v8, v2, v3
	v_mul_hi_u32 v8, s38, v25
	v_add_u32_e32 v8, v25, v8
	v_mul_lo_u32 v3, v25, s26
	v_lshrrev_b32_e32 v8, s39, v8
	s_add_i32 s87, s87, 4
	v_sub_u32_e32 v3, v9, v3
	v_mul_lo_u32 v9, v8, s37
	s_add_u32 s74, s74, 16
	v_sub_u32_e32 v9, v25, v9
	s_addc_u32 s75, s75, 0
	v_mul_lo_u32 v3, v3, s42
	v_mul_lo_u32 v9, v9, s43
	s_cmp_eq_u32 s85, s87
	v_add3_u32 v2, v3, v2, v9
	s_cbranch_scc0 .LBB151_238
	s_branch .LBB151_242
.LBB151_239:
	s_mov_b64 s[20:21], -1
                                        ; implicit-def: $vgpr2
	s_branch .LBB151_246
.LBB151_240:
	v_mov_b32_e32 v2, 0
	s_branch .LBB151_245
.LBB151_241:
	v_mov_b32_e32 v8, v14
.LBB151_242:
	s_and_b32 s24, s86, 3
	s_cmp_eq_u32 s24, 0
	s_cbranch_scc1 .LBB151_245
; %bb.243:
	s_lshl_b32 s20, s85, 2
	s_add_u32 s20, s20, s4
	s_addc_u32 s21, s5, 0
	s_add_u32 s20, s20, 0xc4
	s_addc_u32 s21, s21, 0
	s_mul_i32 s22, s85, 12
	s_add_u32 s22, s4, s22
	s_addc_u32 s23, s5, 0
.LBB151_244:                            ; =>This Inner Loop Header: Depth=1
	s_load_dwordx2 s[26:27], s[22:23], 0x4
	s_load_dword s25, s[22:23], 0xc
	s_load_dword s36, s[20:21], 0x0
	s_add_u32 s22, s22, 12
	s_addc_u32 s23, s23, 0
	s_waitcnt lgkmcnt(0)
	v_mul_hi_u32 v3, s27, v8
	v_add_u32_e32 v3, v8, v3
	v_lshrrev_b32_e32 v3, s25, v3
	s_add_u32 s20, s20, 4
	v_mul_lo_u32 v9, v3, s26
	s_addc_u32 s21, s21, 0
	s_add_i32 s24, s24, -1
	v_sub_u32_e32 v9, v8, v9
	s_cmp_lg_u32 s24, 0
	v_mov_b32_e32 v8, v3
	v_mad_u64_u32 v[2:3], s[26:27], v9, s36, v[2:3]
	s_cbranch_scc1 .LBB151_244
.LBB151_245:
	s_mov_b64 s[20:21], 0
.LBB151_246:
	s_andn2_b64 vcc, exec, s[20:21]
	s_cbranch_vccnz .LBB151_249
; %bb.247:
	v_mul_hi_u32 v2, s29, v14
	v_add_u32_e32 v2, v14, v2
	v_lshrrev_b32_e32 v3, s30, v2
	v_mul_lo_u32 v2, v3, s28
	v_sub_u32_e32 v2, v14, v2
	s_andn2_b64 vcc, exec, s[58:59]
	v_mul_lo_u32 v2, v2, s54
	s_cbranch_vccnz .LBB151_249
; %bb.248:
	v_mul_hi_u32 v8, s56, v3
	v_add_u32_e32 v8, v3, v8
	v_lshrrev_b32_e32 v8, s57, v8
	v_mul_lo_u32 v8, v8, s31
	v_sub_u32_e32 v3, v3, v8
	v_mad_u64_u32 v[2:3], s[20:21], v3, s55, v[2:3]
.LBB151_249:
	v_mov_b32_e32 v3, s53
	v_add_co_u32_e32 v8, vcc, s52, v2
	v_addc_co_u32_e32 v9, vcc, 0, v3, vcc
	v_cmp_gt_i16_e32 vcc, 11, v10
	s_cbranch_vccnz .LBB151_256
; %bb.250:
	v_cmp_lt_i16_e32 vcc, 25, v10
	s_cbranch_vccz .LBB151_257
; %bb.251:
	v_cmp_lt_i16_e32 vcc, 28, v10
	s_cbranch_vccz .LBB151_258
	;; [unrolled: 3-line block ×4, first 2 shown]
; %bb.254:
	v_cmp_eq_u16_e32 vcc, 46, v10
	s_mov_b64 s[24:25], 0
	s_mov_b64 s[20:21], -1
	s_mov_b64 s[22:23], 0
	s_cbranch_vccz .LBB151_261
; %bb.255:
	global_store_dword v[8:9], v17, off
	s_mov_b64 s[22:23], -1
	s_mov_b64 s[20:21], 0
	s_branch .LBB151_261
.LBB151_256:
	s_mov_b64 s[24:25], -1
	s_mov_b64 s[22:23], 0
	s_mov_b64 s[20:21], s[66:67]
	s_branch .LBB151_306
.LBB151_257:
	s_mov_b64 s[24:25], -1
	s_mov_b64 s[22:23], 0
	s_mov_b64 s[20:21], s[66:67]
	s_branch .LBB151_283
.LBB151_258:
	s_mov_b64 s[24:25], -1
	s_mov_b64 s[22:23], 0
	s_mov_b64 s[20:21], s[66:67]
	s_branch .LBB151_269
.LBB151_259:
	s_mov_b64 s[24:25], -1
	s_mov_b64 s[22:23], 0
	s_mov_b64 s[20:21], s[66:67]
	s_branch .LBB151_265
.LBB151_260:
	s_mov_b64 s[24:25], -1
	s_mov_b64 s[22:23], 0
	s_mov_b64 s[20:21], s[66:67]
.LBB151_261:
	s_and_b64 vcc, exec, s[24:25]
	s_cbranch_vccz .LBB151_264
; %bb.262:
	v_cmp_eq_u16_e32 vcc, 44, v10
	s_mov_b64 s[20:21], -1
	s_cbranch_vccz .LBB151_264
; %bb.263:
	v_mov_b32_e32 v2, s82
	s_mov_b64 s[22:23], -1
	s_mov_b64 s[20:21], 0
	global_store_byte v[8:9], v2, off
.LBB151_264:
	s_mov_b64 s[24:25], 0
.LBB151_265:
	s_and_b64 vcc, exec, s[24:25]
	s_cbranch_vccz .LBB151_268
; %bb.266:
	v_cmp_eq_u16_e32 vcc, 29, v10
	s_mov_b64 s[20:21], -1
	s_cbranch_vccz .LBB151_268
; %bb.267:
	global_store_dwordx2 v[8:9], v[6:7], off
	s_mov_b64 s[22:23], -1
	s_mov_b64 s[20:21], 0
.LBB151_268:
	s_mov_b64 s[24:25], 0
.LBB151_269:
	s_and_b64 vcc, exec, s[24:25]
	s_cbranch_vccz .LBB151_282
; %bb.270:
	v_cmp_gt_i16_e32 vcc, 27, v10
	s_mov_b64 s[22:23], -1
	s_cbranch_vccnz .LBB151_276
; %bb.271:
	v_cmp_lt_i16_e32 vcc, 27, v10
	s_cbranch_vccz .LBB151_273
; %bb.272:
	s_mov_b64 s[22:23], 0
	global_store_dword v[8:9], v24, off
.LBB151_273:
	s_andn2_b64 vcc, exec, s[22:23]
	s_cbranch_vccnz .LBB151_275
; %bb.274:
	global_store_short v[8:9], v24, off
.LBB151_275:
	s_mov_b64 s[22:23], 0
.LBB151_276:
	s_andn2_b64 vcc, exec, s[22:23]
	s_cbranch_vccnz .LBB151_281
; %bb.277:
	s_andn2_b64 vcc, exec, s[16:17]
	v_mov_b32_e32 v2, 0x80
	s_cbranch_vccnz .LBB151_280
; %bb.278:
	s_or_b64 s[22:23], s[14:15], s[50:51]
	s_andn2_b64 vcc, exec, s[22:23]
	v_mov_b32_e32 v2, 0
	s_cbranch_vccnz .LBB151_280
; %bb.279:
	v_mov_b32_e32 v2, s81
	v_cndmask_b32_e64 v2, v23, v2, s[14:15]
.LBB151_280:
	global_store_byte v[8:9], v2, off
.LBB151_281:
	s_mov_b64 s[22:23], -1
.LBB151_282:
	s_mov_b64 s[24:25], 0
.LBB151_283:
	s_and_b64 vcc, exec, s[24:25]
	s_cbranch_vccz .LBB151_305
; %bb.284:
	v_cmp_lt_i16_e32 vcc, 22, v10
	s_mov_b64 s[24:25], -1
	s_cbranch_vccz .LBB151_297
; %bb.285:
	v_cmp_gt_i16_e32 vcc, 24, v10
	s_mov_b64 s[22:23], -1
	s_cbranch_vccnz .LBB151_294
; %bb.286:
	v_cmp_lt_i16_e32 vcc, 24, v10
	s_cbranch_vccz .LBB151_291
; %bb.287:
	s_andn2_b64 vcc, exec, s[12:13]
	v_mov_b32_e32 v2, 0x80
	s_cbranch_vccnz .LBB151_290
; %bb.288:
	s_or_b64 s[22:23], s[10:11], s[48:49]
	s_andn2_b64 vcc, exec, s[22:23]
	v_mov_b32_e32 v2, 0
	s_cbranch_vccnz .LBB151_290
; %bb.289:
	v_mov_b32_e32 v2, s80
	v_cndmask_b32_e64 v2, v21, v2, s[10:11]
.LBB151_290:
	s_mov_b64 s[22:23], 0
	global_store_byte v[8:9], v2, off
.LBB151_291:
	s_and_b64 vcc, exec, s[22:23]
	s_cbranch_vccz .LBB151_293
; %bb.292:
	v_mov_b32_e32 v2, s79
	v_cndmask_b32_e64 v2, v2, v20, s[8:9]
	v_cndmask_b32_e64 v2, v2, v22, s[6:7]
	global_store_byte v[8:9], v2, off
.LBB151_293:
	s_mov_b64 s[22:23], 0
.LBB151_294:
	s_andn2_b64 vcc, exec, s[22:23]
	s_cbranch_vccnz .LBB151_296
; %bb.295:
	v_mov_b32_e32 v2, s78
	v_cndmask_b32_e64 v2, v2, v18, s[2:3]
	v_cndmask_b32_e64 v2, v2, v19, s[0:1]
	global_store_byte v[8:9], v2, off
.LBB151_296:
	s_mov_b64 s[24:25], 0
	s_mov_b64 s[22:23], -1
.LBB151_297:
	s_andn2_b64 vcc, exec, s[24:25]
	s_cbranch_vccnz .LBB151_305
; %bb.298:
	v_cmp_lt_i16_e32 vcc, 14, v10
	s_mov_b64 s[24:25], -1
	s_cbranch_vccz .LBB151_302
; %bb.299:
	v_cmp_eq_u16_e32 vcc, 15, v10
	s_mov_b64 s[20:21], -1
	s_cbranch_vccz .LBB151_301
; %bb.300:
	global_store_short v[8:9], v17, off
	s_mov_b64 s[22:23], -1
	s_mov_b64 s[20:21], 0
.LBB151_301:
	s_mov_b64 s[24:25], 0
.LBB151_302:
	s_and_b64 vcc, exec, s[24:25]
	s_cbranch_vccz .LBB151_305
; %bb.303:
	v_cmp_eq_u16_e32 vcc, 11, v10
	s_mov_b64 s[20:21], -1
	s_cbranch_vccz .LBB151_305
; %bb.304:
	v_mov_b32_e32 v2, 1
	s_mov_b64 s[22:23], -1
	s_mov_b64 s[20:21], 0
	global_store_byte v[8:9], v2, off
.LBB151_305:
	s_mov_b64 s[24:25], 0
.LBB151_306:
	s_and_b64 vcc, exec, s[24:25]
	s_cbranch_vccz .LBB151_345
; %bb.307:
	v_cmp_gt_i16_e32 vcc, 5, v10
	s_mov_b64 s[22:23], -1
	s_cbranch_vccnz .LBB151_328
; %bb.308:
	v_cmp_gt_i16_e32 vcc, 8, v10
	s_cbranch_vccnz .LBB151_318
; %bb.309:
	v_cmp_gt_i16_e32 vcc, 9, v10
	s_cbranch_vccnz .LBB151_315
; %bb.310:
	v_cmp_lt_i16_e32 vcc, 9, v10
	s_cbranch_vccz .LBB151_312
; %bb.311:
	v_mov_b32_e32 v2, 0
	v_mov_b32_e32 v3, v2
	s_mov_b64 s[22:23], 0
	global_store_dwordx4 v[8:9], v[0:3], off
.LBB151_312:
	s_andn2_b64 vcc, exec, s[22:23]
	s_cbranch_vccnz .LBB151_314
; %bb.313:
	v_mov_b32_e32 v2, s77
	v_mov_b32_e32 v3, 0
	global_store_dwordx2 v[8:9], v[2:3], off
.LBB151_314:
	s_mov_b64 s[22:23], 0
.LBB151_315:
	s_andn2_b64 vcc, exec, s[22:23]
	s_cbranch_vccnz .LBB151_317
; %bb.316:
	global_store_dword v[8:9], v16, off
.LBB151_317:
	s_mov_b64 s[22:23], 0
.LBB151_318:
	s_andn2_b64 vcc, exec, s[22:23]
	s_cbranch_vccnz .LBB151_327
; %bb.319:
	v_cmp_gt_i16_e32 vcc, 6, v10
	s_mov_b64 s[22:23], -1
	s_cbranch_vccnz .LBB151_325
; %bb.320:
	v_cmp_lt_i16_e32 vcc, 6, v10
	s_cbranch_vccz .LBB151_322
; %bb.321:
	s_mov_b64 s[22:23], 0
	global_store_dwordx2 v[8:9], v[0:1], off
.LBB151_322:
	s_andn2_b64 vcc, exec, s[22:23]
	s_cbranch_vccnz .LBB151_324
; %bb.323:
	global_store_dword v[8:9], v15, off
.LBB151_324:
	s_mov_b64 s[22:23], 0
.LBB151_325:
	s_andn2_b64 vcc, exec, s[22:23]
	s_cbranch_vccnz .LBB151_327
; %bb.326:
	global_store_short v[8:9], v16, off
.LBB151_327:
	s_mov_b64 s[22:23], 0
.LBB151_328:
	s_andn2_b64 vcc, exec, s[22:23]
	s_cbranch_vccnz .LBB151_344
; %bb.329:
	v_cmp_gt_i16_e32 vcc, 2, v10
	s_mov_b64 s[22:23], -1
	s_cbranch_vccnz .LBB151_339
; %bb.330:
	v_cmp_gt_i16_e32 vcc, 3, v10
	s_cbranch_vccnz .LBB151_336
; %bb.331:
	v_cmp_lt_i16_e32 vcc, 3, v10
	s_cbranch_vccz .LBB151_333
; %bb.332:
	s_mov_b64 s[22:23], 0
	global_store_dwordx2 v[8:9], v[4:5], off
.LBB151_333:
	s_andn2_b64 vcc, exec, s[22:23]
	s_cbranch_vccnz .LBB151_335
; %bb.334:
	global_store_dword v[8:9], v13, off
.LBB151_335:
	s_mov_b64 s[22:23], 0
.LBB151_336:
	s_andn2_b64 vcc, exec, s[22:23]
	s_cbranch_vccnz .LBB151_338
; %bb.337:
	global_store_short v[8:9], v13, off
.LBB151_338:
	s_mov_b64 s[22:23], 0
.LBB151_339:
	s_andn2_b64 vcc, exec, s[22:23]
	s_cbranch_vccnz .LBB151_344
; %bb.340:
	v_cmp_lt_i16_e32 vcc, 0, v10
	s_mov_b64 s[22:23], -1
	s_cbranch_vccz .LBB151_342
; %bb.341:
	s_mov_b64 s[22:23], 0
	global_store_byte v[8:9], v12, off
.LBB151_342:
	s_andn2_b64 vcc, exec, s[22:23]
	s_cbranch_vccnz .LBB151_344
; %bb.343:
	global_store_byte v[8:9], v11, off
.LBB151_344:
	s_mov_b64 s[22:23], -1
.LBB151_345:
	s_andn2_b64 vcc, exec, s[22:23]
	s_cbranch_vccnz .LBB151_347
; %bb.346:
	v_add_u32_e32 v14, 0x80, v14
	s_mov_b64 s[22:23], -1
	s_branch .LBB151_348
.LBB151_347:
	s_mov_b64 s[22:23], 0
                                        ; implicit-def: $vgpr14
.LBB151_348:
	s_andn2_b64 s[24:25], s[66:67], exec
	s_and_b64 s[20:21], s[20:21], exec
	s_or_b64 s[72:73], s[24:25], s[20:21]
	s_orn2_b64 s[22:23], s[22:23], exec
.LBB151_349:
	s_or_b64 exec, exec, s[70:71]
	s_mov_b64 s[20:21], 0
	s_mov_b64 s[26:27], 0
                                        ; implicit-def: $vgpr8_vgpr9
	s_and_saveexec_b64 s[70:71], s[22:23]
	s_cbranch_execz .LBB151_420
; %bb.350:
	v_cmp_gt_i32_e32 vcc, s83, v14
	s_mov_b64 s[22:23], 0
	s_mov_b64 s[24:25], s[72:73]
                                        ; implicit-def: $vgpr8_vgpr9
	s_and_saveexec_b64 s[74:75], vcc
	s_cbranch_execz .LBB151_419
; %bb.351:
	s_andn2_b64 vcc, exec, s[44:45]
	s_cbranch_vccnz .LBB151_356
; %bb.352:
	s_andn2_b64 vcc, exec, s[62:63]
	s_cbranch_vccnz .LBB151_357
; %bb.353:
	s_add_i32 s84, s84, 1
	s_mov_b32 s83, 0
	s_cmp_eq_u32 s76, 2
	v_mov_b32_e32 v2, 0
	s_cbranch_scc1 .LBB151_358
; %bb.354:
	s_and_b32 s83, s84, 28
	s_mov_b32 s85, 0
	v_mov_b32_e32 v2, 0
	s_mov_b64 s[62:63], s[4:5]
	v_mov_b32_e32 v8, v14
.LBB151_355:                            ; =>This Inner Loop Header: Depth=1
	s_load_dwordx8 s[20:27], s[62:63], 0x4
	s_load_dwordx4 s[36:39], s[62:63], 0x24
	s_load_dwordx4 s[40:43], s[60:61], 0x0
	s_add_u32 s62, s62, 48
	s_addc_u32 s63, s63, 0
	s_waitcnt lgkmcnt(0)
	v_mul_hi_u32 v3, s21, v8
	v_add_u32_e32 v3, v8, v3
	v_lshrrev_b32_e32 v3, s22, v3
	v_mul_lo_u32 v9, v3, s20
	v_mul_hi_u32 v25, s24, v3
	v_sub_u32_e32 v8, v8, v9
	v_add_u32_e32 v9, v3, v25
	v_lshrrev_b32_e32 v9, s25, v9
	v_mul_lo_u32 v25, v9, s23
	v_mul_hi_u32 v26, s27, v9
	v_sub_u32_e32 v3, v3, v25
	v_add_u32_e32 v25, v9, v26
	v_mul_lo_u32 v8, v8, s40
	v_mul_lo_u32 v3, v3, s41
	v_lshrrev_b32_e32 v25, s36, v25
	v_add3_u32 v2, v8, v2, v3
	v_mul_hi_u32 v8, s38, v25
	v_add_u32_e32 v8, v25, v8
	v_mul_lo_u32 v3, v25, s26
	v_lshrrev_b32_e32 v8, s39, v8
	s_add_i32 s85, s85, 4
	v_sub_u32_e32 v3, v9, v3
	v_mul_lo_u32 v9, v8, s37
	s_add_u32 s60, s60, 16
	v_sub_u32_e32 v9, v25, v9
	s_addc_u32 s61, s61, 0
	v_mul_lo_u32 v3, v3, s42
	v_mul_lo_u32 v9, v9, s43
	s_cmp_eq_u32 s83, s85
	v_add3_u32 v2, v3, v2, v9
	s_cbranch_scc0 .LBB151_355
	s_branch .LBB151_359
.LBB151_356:
	s_mov_b64 s[20:21], -1
                                        ; implicit-def: $vgpr2
	s_branch .LBB151_363
.LBB151_357:
	v_mov_b32_e32 v2, 0
	s_branch .LBB151_362
.LBB151_358:
	v_mov_b32_e32 v8, v14
.LBB151_359:
	s_and_b32 s24, s84, 3
	s_cmp_eq_u32 s24, 0
	s_cbranch_scc1 .LBB151_362
; %bb.360:
	s_lshl_b32 s20, s83, 2
	s_add_u32 s20, s20, s4
	s_addc_u32 s21, s5, 0
	s_add_u32 s20, s20, 0xc4
	s_addc_u32 s21, s21, 0
	s_mul_i32 s22, s83, 12
	s_add_u32 s22, s4, s22
	s_addc_u32 s23, s5, 0
.LBB151_361:                            ; =>This Inner Loop Header: Depth=1
	s_load_dwordx2 s[26:27], s[22:23], 0x4
	s_load_dword s25, s[22:23], 0xc
	s_load_dword s36, s[20:21], 0x0
	s_add_u32 s22, s22, 12
	s_addc_u32 s23, s23, 0
	s_waitcnt lgkmcnt(0)
	v_mul_hi_u32 v3, s27, v8
	v_add_u32_e32 v3, v8, v3
	v_lshrrev_b32_e32 v3, s25, v3
	s_add_u32 s20, s20, 4
	v_mul_lo_u32 v9, v3, s26
	s_addc_u32 s21, s21, 0
	s_add_i32 s24, s24, -1
	v_sub_u32_e32 v9, v8, v9
	s_cmp_lg_u32 s24, 0
	v_mov_b32_e32 v8, v3
	v_mad_u64_u32 v[2:3], s[26:27], v9, s36, v[2:3]
	s_cbranch_scc1 .LBB151_361
.LBB151_362:
	s_mov_b64 s[20:21], 0
.LBB151_363:
	s_andn2_b64 vcc, exec, s[20:21]
	s_cbranch_vccnz .LBB151_366
; %bb.364:
	v_mul_hi_u32 v2, s29, v14
	v_add_u32_e32 v2, v14, v2
	v_lshrrev_b32_e32 v3, s30, v2
	v_mul_lo_u32 v2, v3, s28
	v_sub_u32_e32 v2, v14, v2
	s_andn2_b64 vcc, exec, s[58:59]
	v_mul_lo_u32 v2, v2, s54
	s_cbranch_vccnz .LBB151_366
; %bb.365:
	v_mul_hi_u32 v8, s56, v3
	v_add_u32_e32 v8, v3, v8
	v_lshrrev_b32_e32 v8, s57, v8
	v_mul_lo_u32 v8, v8, s31
	v_sub_u32_e32 v3, v3, v8
	v_mad_u64_u32 v[2:3], s[20:21], v3, s55, v[2:3]
.LBB151_366:
	v_mov_b32_e32 v3, s53
	v_add_co_u32_e32 v8, vcc, s52, v2
	v_addc_co_u32_e32 v9, vcc, 0, v3, vcc
	v_cmp_gt_i16_e32 vcc, 11, v10
	s_cbranch_vccnz .LBB151_416
; %bb.367:
	v_cmp_lt_i16_e32 vcc, 25, v10
	s_mov_b64 s[22:23], -1
	s_mov_b64 s[20:21], s[72:73]
	s_cbranch_vccz .LBB151_395
; %bb.368:
	v_cmp_lt_i16_e32 vcc, 28, v10
	s_mov_b64 s[20:21], s[72:73]
	s_cbranch_vccz .LBB151_382
; %bb.369:
	v_cmp_lt_i16_e32 vcc, 43, v10
	;; [unrolled: 4-line block ×3, first 2 shown]
	s_mov_b64 s[20:21], s[72:73]
	s_cbranch_vccz .LBB151_374
; %bb.371:
	v_cmp_eq_u16_e32 vcc, 46, v10
	s_mov_b64 s[20:21], -1
	s_cbranch_vccz .LBB151_373
; %bb.372:
	global_store_dword v[8:9], v17, off
	s_mov_b64 s[20:21], 0
.LBB151_373:
	s_mov_b64 s[22:23], 0
.LBB151_374:
	s_and_b64 vcc, exec, s[22:23]
	s_cbranch_vccz .LBB151_377
; %bb.375:
	v_cmp_eq_u16_e32 vcc, 44, v10
	s_mov_b64 s[20:21], -1
	s_cbranch_vccz .LBB151_377
; %bb.376:
	v_mov_b32_e32 v2, s82
	global_store_byte v[8:9], v2, off
	s_mov_b64 s[20:21], 0
.LBB151_377:
	s_mov_b64 s[22:23], 0
.LBB151_378:
	s_and_b64 vcc, exec, s[22:23]
	s_cbranch_vccz .LBB151_381
; %bb.379:
	v_cmp_eq_u16_e32 vcc, 29, v10
	s_mov_b64 s[20:21], -1
	s_cbranch_vccz .LBB151_381
; %bb.380:
	global_store_dwordx2 v[8:9], v[6:7], off
	s_mov_b64 s[20:21], 0
.LBB151_381:
	s_mov_b64 s[22:23], 0
.LBB151_382:
	s_and_b64 vcc, exec, s[22:23]
	s_cbranch_vccz .LBB151_394
; %bb.383:
	v_cmp_gt_i16_e32 vcc, 27, v10
	s_mov_b64 s[22:23], -1
	s_cbranch_vccnz .LBB151_389
; %bb.384:
	v_cmp_lt_i16_e32 vcc, 27, v10
	s_cbranch_vccz .LBB151_386
; %bb.385:
	s_mov_b64 s[22:23], 0
	global_store_dword v[8:9], v24, off
.LBB151_386:
	s_andn2_b64 vcc, exec, s[22:23]
	s_cbranch_vccnz .LBB151_388
; %bb.387:
	global_store_short v[8:9], v24, off
.LBB151_388:
	s_mov_b64 s[22:23], 0
.LBB151_389:
	s_andn2_b64 vcc, exec, s[22:23]
	s_cbranch_vccnz .LBB151_394
; %bb.390:
	s_andn2_b64 vcc, exec, s[16:17]
	v_mov_b32_e32 v2, 0x80
	s_cbranch_vccnz .LBB151_393
; %bb.391:
	s_or_b64 s[16:17], s[14:15], s[50:51]
	s_andn2_b64 vcc, exec, s[16:17]
	v_mov_b32_e32 v2, 0
	s_cbranch_vccnz .LBB151_393
; %bb.392:
	v_mov_b32_e32 v2, s81
	v_cndmask_b32_e64 v2, v23, v2, s[14:15]
.LBB151_393:
	global_store_byte v[8:9], v2, off
.LBB151_394:
	s_mov_b64 s[22:23], 0
.LBB151_395:
	s_mov_b64 s[14:15], 0
	s_and_b64 vcc, exec, s[22:23]
	s_cbranch_vccz .LBB151_417
; %bb.396:
	v_cmp_lt_i16_e32 vcc, 22, v10
	s_mov_b64 s[16:17], -1
	s_cbranch_vccz .LBB151_409
; %bb.397:
	v_cmp_gt_i16_e32 vcc, 24, v10
	s_cbranch_vccnz .LBB151_406
; %bb.398:
	v_cmp_lt_i16_e32 vcc, 24, v10
	s_cbranch_vccz .LBB151_403
; %bb.399:
	s_andn2_b64 vcc, exec, s[12:13]
	v_mov_b32_e32 v2, 0x80
	s_cbranch_vccnz .LBB151_402
; %bb.400:
	s_or_b64 s[12:13], s[10:11], s[48:49]
	s_andn2_b64 vcc, exec, s[12:13]
	v_mov_b32_e32 v2, 0
	s_cbranch_vccnz .LBB151_402
; %bb.401:
	v_mov_b32_e32 v2, s80
	v_cndmask_b32_e64 v2, v21, v2, s[10:11]
.LBB151_402:
	s_mov_b64 s[16:17], 0
	global_store_byte v[8:9], v2, off
.LBB151_403:
	s_and_b64 vcc, exec, s[16:17]
	s_cbranch_vccz .LBB151_405
; %bb.404:
	v_mov_b32_e32 v2, s79
	v_cndmask_b32_e64 v2, v2, v20, s[8:9]
	v_cndmask_b32_e64 v2, v2, v22, s[6:7]
	global_store_byte v[8:9], v2, off
.LBB151_405:
	s_mov_b64 s[16:17], 0
.LBB151_406:
	s_andn2_b64 vcc, exec, s[16:17]
	s_cbranch_vccnz .LBB151_408
; %bb.407:
	v_mov_b32_e32 v2, s78
	v_cndmask_b32_e64 v2, v2, v18, s[2:3]
	v_cndmask_b32_e64 v2, v2, v19, s[0:1]
	global_store_byte v[8:9], v2, off
.LBB151_408:
	s_mov_b64 s[16:17], 0
.LBB151_409:
	s_andn2_b64 vcc, exec, s[16:17]
	s_mov_b64 s[0:1], 0
	s_cbranch_vccnz .LBB151_418
; %bb.410:
	v_cmp_lt_i16_e32 vcc, 14, v10
	s_mov_b64 s[2:3], -1
	s_cbranch_vccz .LBB151_414
; %bb.411:
	v_cmp_eq_u16_e32 vcc, 15, v10
	s_mov_b64 s[20:21], -1
	s_cbranch_vccz .LBB151_413
; %bb.412:
	global_store_short v[8:9], v17, off
	s_mov_b64 s[20:21], 0
.LBB151_413:
	s_mov_b64 s[2:3], 0
.LBB151_414:
	s_and_b64 vcc, exec, s[2:3]
	s_cbranch_vccz .LBB151_418
; %bb.415:
	v_cmp_ne_u16_e32 vcc, 11, v10
	s_andn2_b64 s[2:3], s[20:21], exec
	s_and_b64 s[6:7], vcc, exec
	s_mov_b64 s[0:1], -1
	s_or_b64 s[20:21], s[2:3], s[6:7]
	s_branch .LBB151_418
.LBB151_416:
	s_mov_b64 s[0:1], 0
	s_mov_b64 s[14:15], -1
	s_mov_b64 s[20:21], s[72:73]
	s_branch .LBB151_418
.LBB151_417:
	s_mov_b64 s[0:1], 0
.LBB151_418:
	s_and_b64 s[22:23], s[0:1], exec
	s_andn2_b64 s[0:1], s[72:73], exec
	s_and_b64 s[2:3], s[20:21], exec
	s_and_b64 s[26:27], s[14:15], exec
	s_or_b64 s[24:25], s[0:1], s[2:3]
.LBB151_419:
	s_or_b64 exec, exec, s[74:75]
	s_andn2_b64 s[0:1], s[72:73], exec
	s_and_b64 s[2:3], s[24:25], exec
	s_and_b64 s[26:27], s[26:27], exec
	s_and_b64 s[20:21], s[22:23], exec
	s_or_b64 s[72:73], s[0:1], s[2:3]
.LBB151_420:
	s_or_b64 exec, exec, s[70:71]
	s_andn2_b64 s[0:1], s[66:67], exec
	s_and_b64 s[2:3], s[72:73], exec
	s_and_b64 s[24:25], s[26:27], exec
	;; [unrolled: 1-line block ×3, first 2 shown]
	s_or_b64 s[66:67], s[0:1], s[2:3]
.LBB151_421:
	s_or_b64 exec, exec, s[68:69]
	s_andn2_b64 s[0:1], s[18:19], exec
	s_and_b64 s[2:3], s[66:67], exec
	s_and_b64 s[20:21], s[24:25], exec
	;; [unrolled: 1-line block ×3, first 2 shown]
	s_or_b64 s[18:19], s[0:1], s[2:3]
	s_or_b64 exec, exec, s[64:65]
	s_mov_b64 s[0:1], 0
	s_and_saveexec_b64 s[2:3], s[18:19]
	s_cbranch_execz .LBB151_122
.LBB151_422:
	s_mov_b64 s[0:1], exec
	s_andn2_b64 s[68:69], s[68:69], exec
	s_trap 2
	s_or_b64 exec, exec, s[2:3]
	s_and_saveexec_b64 s[2:3], s[68:69]
	s_xor_b64 s[2:3], exec, s[2:3]
	s_cbranch_execnz .LBB151_123
.LBB151_423:
	s_or_b64 exec, exec, s[2:3]
	s_and_saveexec_b64 s[2:3], s[20:21]
	s_xor_b64 s[2:3], exec, s[2:3]
	s_cbranch_execz .LBB151_461
.LBB151_424:
	v_cmp_gt_i16_e32 vcc, 5, v10
	s_mov_b64 s[6:7], -1
	s_cbranch_vccnz .LBB151_445
; %bb.425:
	v_cmp_gt_i16_e32 vcc, 8, v10
	s_cbranch_vccnz .LBB151_435
; %bb.426:
	v_cmp_gt_i16_e32 vcc, 9, v10
	s_cbranch_vccnz .LBB151_432
; %bb.427:
	v_cmp_lt_i16_e32 vcc, 9, v10
	s_cbranch_vccz .LBB151_429
; %bb.428:
	v_mov_b32_e32 v2, 0
	v_mov_b32_e32 v3, v2
	s_mov_b64 s[6:7], 0
	global_store_dwordx4 v[8:9], v[0:3], off
.LBB151_429:
	s_andn2_b64 vcc, exec, s[6:7]
	s_cbranch_vccnz .LBB151_431
; %bb.430:
	v_mov_b32_e32 v2, s77
	v_mov_b32_e32 v3, 0
	global_store_dwordx2 v[8:9], v[2:3], off
.LBB151_431:
	s_mov_b64 s[6:7], 0
.LBB151_432:
	s_andn2_b64 vcc, exec, s[6:7]
	s_cbranch_vccnz .LBB151_434
; %bb.433:
	global_store_dword v[8:9], v16, off
.LBB151_434:
	s_mov_b64 s[6:7], 0
.LBB151_435:
	s_andn2_b64 vcc, exec, s[6:7]
	s_cbranch_vccnz .LBB151_444
; %bb.436:
	v_cmp_gt_i16_e32 vcc, 6, v10
	s_mov_b64 s[6:7], -1
	s_cbranch_vccnz .LBB151_442
; %bb.437:
	v_cmp_lt_i16_e32 vcc, 6, v10
	s_cbranch_vccz .LBB151_439
; %bb.438:
	s_mov_b64 s[6:7], 0
	global_store_dwordx2 v[8:9], v[0:1], off
.LBB151_439:
	s_andn2_b64 vcc, exec, s[6:7]
	s_cbranch_vccnz .LBB151_441
; %bb.440:
	global_store_dword v[8:9], v15, off
.LBB151_441:
	s_mov_b64 s[6:7], 0
.LBB151_442:
	s_andn2_b64 vcc, exec, s[6:7]
	s_cbranch_vccnz .LBB151_444
; %bb.443:
	global_store_short v[8:9], v16, off
.LBB151_444:
	s_mov_b64 s[6:7], 0
.LBB151_445:
	s_andn2_b64 vcc, exec, s[6:7]
	s_cbranch_vccnz .LBB151_461
; %bb.446:
	v_cmp_gt_i16_e32 vcc, 2, v10
	s_mov_b64 s[6:7], -1
	s_cbranch_vccnz .LBB151_456
; %bb.447:
	v_cmp_gt_i16_e32 vcc, 3, v10
	s_cbranch_vccnz .LBB151_453
; %bb.448:
	v_cmp_lt_i16_e32 vcc, 3, v10
	s_cbranch_vccz .LBB151_450
; %bb.449:
	s_mov_b64 s[6:7], 0
	global_store_dwordx2 v[8:9], v[4:5], off
.LBB151_450:
	s_andn2_b64 vcc, exec, s[6:7]
	s_cbranch_vccnz .LBB151_452
; %bb.451:
	global_store_dword v[8:9], v13, off
.LBB151_452:
	s_mov_b64 s[6:7], 0
.LBB151_453:
	s_andn2_b64 vcc, exec, s[6:7]
	s_cbranch_vccnz .LBB151_455
; %bb.454:
	global_store_short v[8:9], v13, off
.LBB151_455:
	s_mov_b64 s[6:7], 0
.LBB151_456:
	s_andn2_b64 vcc, exec, s[6:7]
	s_cbranch_vccnz .LBB151_461
; %bb.457:
	v_cmp_lt_i16_e32 vcc, 0, v10
	s_mov_b64 s[6:7], -1
	s_cbranch_vccz .LBB151_459
; %bb.458:
	s_mov_b64 s[6:7], 0
	global_store_byte v[8:9], v12, off
.LBB151_459:
	s_andn2_b64 vcc, exec, s[6:7]
	s_cbranch_vccnz .LBB151_461
; %bb.460:
	global_store_byte v[8:9], v11, off
.LBB151_461:
	s_or_b64 exec, exec, s[2:3]
	s_and_b64 s[6:7], s[0:1], exec
                                        ; implicit-def: $vgpr9
                                        ; implicit-def: $vgpr14
.LBB151_462:
	s_or_saveexec_b64 s[24:25], s[46:47]
	s_mov_b64 s[0:1], 0
                                        ; implicit-def: $vgpr8
                                        ; implicit-def: $vgpr0_vgpr1
                                        ; implicit-def: $sgpr16
	s_xor_b64 exec, exec, s[24:25]
	s_cbranch_execz .LBB151_933
; %bb.463:
	v_cndmask_b32_e64 v0, 0, 1, s[44:45]
	v_cmp_ne_u32_e64 s[0:1], 1, v0
	s_andn2_b64 vcc, exec, s[44:45]
	s_cbranch_vccnz .LBB151_469
; %bb.464:
	s_mov_b32 s28, 0
	s_cmp_eq_u32 s33, 0
	v_mov_b32_e32 v6, 0
	s_cbranch_scc1 .LBB151_473
; %bb.465:
	s_min_u32 s29, s76, 15
	s_add_i32 s29, s29, 1
	s_cmp_eq_u32 s76, 2
	v_mov_b32_e32 v6, 0
	s_cbranch_scc1 .LBB151_470
; %bb.466:
	s_add_u32 s2, s4, 0xc4
	s_addc_u32 s3, s5, 0
	s_and_b32 s28, s29, 28
	s_mov_b32 s30, 0
	v_mov_b32_e32 v6, 0
	s_mov_b64 s[26:27], s[4:5]
	v_mov_b32_e32 v0, v14
.LBB151_467:                            ; =>This Inner Loop Header: Depth=1
	s_load_dwordx8 s[8:15], s[26:27], 0x4
	s_load_dwordx4 s[16:19], s[26:27], 0x24
	s_load_dwordx4 s[20:23], s[2:3], 0x0
	s_add_u32 s26, s26, 48
	s_addc_u32 s27, s27, 0
	s_waitcnt lgkmcnt(0)
	v_mul_hi_u32 v1, s9, v0
	v_add_u32_e32 v1, v0, v1
	v_lshrrev_b32_e32 v1, s10, v1
	v_mul_lo_u32 v2, v1, s8
	v_mul_hi_u32 v3, s12, v1
	v_sub_u32_e32 v0, v0, v2
	v_add_u32_e32 v2, v1, v3
	v_lshrrev_b32_e32 v2, s13, v2
	v_mul_lo_u32 v3, v2, s11
	v_mul_hi_u32 v4, s15, v2
	v_sub_u32_e32 v1, v1, v3
	v_add_u32_e32 v3, v2, v4
	v_mul_lo_u32 v0, v0, s20
	v_mul_lo_u32 v1, v1, s21
	v_lshrrev_b32_e32 v3, s16, v3
	v_add3_u32 v1, v0, v6, v1
	v_mul_lo_u32 v0, v3, s14
	v_mul_hi_u32 v4, s18, v3
	v_sub_u32_e32 v0, v2, v0
	v_add_u32_e32 v2, v3, v4
	v_mul_lo_u32 v4, v0, s22
	v_lshrrev_b32_e32 v0, s19, v2
	s_add_i32 s30, s30, 4
	v_mul_lo_u32 v2, v0, s17
	s_add_u32 s2, s2, 16
	v_sub_u32_e32 v2, v3, v2
	s_addc_u32 s3, s3, 0
	v_mul_lo_u32 v2, v2, s23
	s_cmp_lg_u32 s28, s30
	v_add3_u32 v6, v4, v1, v2
	s_cbranch_scc1 .LBB151_467
; %bb.468:
	s_and_b32 s10, s29, 3
	s_cmp_eq_u32 s10, 0
	s_cbranch_scc0 .LBB151_471
	s_branch .LBB151_473
.LBB151_469:
                                        ; implicit-def: $vgpr6
	s_branch .LBB151_474
.LBB151_470:
	v_mov_b32_e32 v0, v14
	s_and_b32 s10, s29, 3
	s_cmp_eq_u32 s10, 0
	s_cbranch_scc1 .LBB151_473
.LBB151_471:
	s_lshl_b32 s2, s28, 2
	s_add_u32 s2, s2, s4
	s_addc_u32 s3, 0, s5
	s_add_u32 s2, s2, 0xc4
	s_addc_u32 s3, s3, 0
	s_mul_i32 s8, s28, 12
	s_add_u32 s8, s4, s8
	s_addc_u32 s9, 0, s5
.LBB151_472:                            ; =>This Inner Loop Header: Depth=1
	s_load_dwordx2 s[12:13], s[8:9], 0x4
	s_load_dword s11, s[8:9], 0xc
	s_load_dword s14, s[2:3], 0x0
	s_add_u32 s8, s8, 12
	s_addc_u32 s9, s9, 0
	s_waitcnt lgkmcnt(0)
	v_mul_hi_u32 v1, s13, v0
	v_add_u32_e32 v1, v0, v1
	v_lshrrev_b32_e32 v1, s11, v1
	s_add_u32 s2, s2, 4
	v_mul_lo_u32 v2, v1, s12
	s_addc_u32 s3, s3, 0
	s_add_i32 s10, s10, -1
	v_sub_u32_e32 v2, v0, v2
	s_cmp_lg_u32 s10, 0
	v_mov_b32_e32 v0, v1
	v_mad_u64_u32 v[6:7], s[12:13], v2, s14, v[6:7]
	s_cbranch_scc1 .LBB151_472
.LBB151_473:
	s_cbranch_execnz .LBB151_476
.LBB151_474:
	s_load_dwordx4 s[8:11], s[4:5], 0x4
	s_load_dword s2, s[4:5], 0xc4
	s_cmp_lt_u32 s33, 2
	s_waitcnt lgkmcnt(0)
	v_mul_hi_u32 v0, s9, v14
	v_add_u32_e32 v0, v14, v0
	v_lshrrev_b32_e32 v0, s10, v0
	v_mul_lo_u32 v1, v0, s8
	v_sub_u32_e32 v1, v14, v1
	v_mul_lo_u32 v6, v1, s2
	s_cbranch_scc1 .LBB151_476
; %bb.475:
	s_load_dwordx4 s[8:11], s[4:5], 0x10
	s_load_dword s2, s[4:5], 0xc8
	s_waitcnt lgkmcnt(0)
	v_mul_hi_u32 v1, s9, v0
	v_add_u32_e32 v1, v0, v1
	v_lshrrev_b32_e32 v1, s10, v1
	v_mul_lo_u32 v1, v1, s8
	v_sub_u32_e32 v0, v0, v1
	v_mad_u64_u32 v[6:7], s[2:3], v0, s2, v[6:7]
.LBB151_476:
	s_and_b64 vcc, exec, s[0:1]
	v_add_u32_e32 v0, 0x80, v14
	s_cbranch_vccnz .LBB151_482
; %bb.477:
	s_mov_b32 s28, 0
	s_cmp_eq_u32 s33, 0
	v_mov_b32_e32 v4, 0
	s_cbranch_scc1 .LBB151_486
; %bb.478:
	s_min_u32 s29, s76, 15
	s_add_i32 s29, s29, 1
	s_cmp_eq_u32 s76, 2
	v_mov_b32_e32 v4, 0
	s_cbranch_scc1 .LBB151_483
; %bb.479:
	s_add_u32 s2, s4, 0xc4
	s_addc_u32 s3, s5, 0
	s_and_b32 s28, s29, 28
	s_mov_b32 s30, 0
	v_mov_b32_e32 v4, 0
	s_mov_b64 s[26:27], s[4:5]
	v_mov_b32_e32 v1, v0
.LBB151_480:                            ; =>This Inner Loop Header: Depth=1
	s_load_dwordx8 s[8:15], s[26:27], 0x4
	s_load_dwordx4 s[16:19], s[26:27], 0x24
	s_load_dwordx4 s[20:23], s[2:3], 0x0
	s_add_u32 s26, s26, 48
	s_addc_u32 s27, s27, 0
	s_waitcnt lgkmcnt(0)
	v_mul_hi_u32 v2, s9, v1
	v_add_u32_e32 v2, v1, v2
	v_lshrrev_b32_e32 v2, s10, v2
	v_mul_lo_u32 v3, v2, s8
	v_mul_hi_u32 v5, s12, v2
	v_sub_u32_e32 v1, v1, v3
	v_add_u32_e32 v3, v2, v5
	v_lshrrev_b32_e32 v3, s13, v3
	v_mul_lo_u32 v5, v3, s11
	v_mul_hi_u32 v7, s15, v3
	v_sub_u32_e32 v2, v2, v5
	v_add_u32_e32 v5, v3, v7
	v_mul_lo_u32 v1, v1, s20
	v_mul_lo_u32 v2, v2, s21
	v_lshrrev_b32_e32 v5, s16, v5
	v_add3_u32 v2, v1, v4, v2
	v_mul_lo_u32 v1, v5, s14
	v_mul_hi_u32 v4, s18, v5
	v_sub_u32_e32 v1, v3, v1
	v_add_u32_e32 v3, v5, v4
	v_mul_lo_u32 v4, v1, s22
	v_lshrrev_b32_e32 v1, s19, v3
	s_add_i32 s30, s30, 4
	v_mul_lo_u32 v3, v1, s17
	s_add_u32 s2, s2, 16
	v_sub_u32_e32 v3, v5, v3
	s_addc_u32 s3, s3, 0
	v_mul_lo_u32 v3, v3, s23
	s_cmp_lg_u32 s28, s30
	v_add3_u32 v4, v4, v2, v3
	s_cbranch_scc1 .LBB151_480
; %bb.481:
	s_and_b32 s10, s29, 3
	s_cmp_eq_u32 s10, 0
	s_cbranch_scc0 .LBB151_484
	s_branch .LBB151_486
.LBB151_482:
                                        ; implicit-def: $vgpr4
	s_branch .LBB151_487
.LBB151_483:
	v_mov_b32_e32 v1, v0
	s_and_b32 s10, s29, 3
	s_cmp_eq_u32 s10, 0
	s_cbranch_scc1 .LBB151_486
.LBB151_484:
	s_lshl_b32 s2, s28, 2
	s_add_u32 s2, s2, s4
	s_addc_u32 s3, 0, s5
	s_add_u32 s2, s2, 0xc4
	s_addc_u32 s3, s3, 0
	s_mul_i32 s8, s28, 12
	s_add_u32 s8, s4, s8
	s_addc_u32 s9, 0, s5
.LBB151_485:                            ; =>This Inner Loop Header: Depth=1
	s_load_dwordx2 s[12:13], s[8:9], 0x4
	s_load_dword s11, s[8:9], 0xc
	s_load_dword s14, s[2:3], 0x0
	s_add_u32 s8, s8, 12
	s_addc_u32 s9, s9, 0
	s_waitcnt lgkmcnt(0)
	v_mul_hi_u32 v2, s13, v1
	v_add_u32_e32 v2, v1, v2
	v_lshrrev_b32_e32 v2, s11, v2
	s_add_u32 s2, s2, 4
	v_mul_lo_u32 v3, v2, s12
	s_addc_u32 s3, s3, 0
	s_add_i32 s10, s10, -1
	v_sub_u32_e32 v3, v1, v3
	s_cmp_lg_u32 s10, 0
	v_mov_b32_e32 v1, v2
	v_mad_u64_u32 v[4:5], s[12:13], v3, s14, v[4:5]
	s_cbranch_scc1 .LBB151_485
.LBB151_486:
	s_cbranch_execnz .LBB151_489
.LBB151_487:
	s_load_dwordx4 s[8:11], s[4:5], 0x4
	s_load_dword s2, s[4:5], 0xc4
	s_cmp_lt_u32 s33, 2
	s_waitcnt lgkmcnt(0)
	v_mul_hi_u32 v1, s9, v0
	v_add_u32_e32 v1, v0, v1
	v_lshrrev_b32_e32 v1, s10, v1
	v_mul_lo_u32 v2, v1, s8
	v_sub_u32_e32 v0, v0, v2
	v_mul_lo_u32 v4, v0, s2
	s_cbranch_scc1 .LBB151_489
; %bb.488:
	s_load_dwordx4 s[8:11], s[4:5], 0x10
	s_load_dword s2, s[4:5], 0xc8
	s_waitcnt lgkmcnt(0)
	v_mul_hi_u32 v0, s9, v1
	v_add_u32_e32 v0, v1, v0
	v_lshrrev_b32_e32 v0, s10, v0
	v_mul_lo_u32 v0, v0, s8
	v_sub_u32_e32 v0, v1, v0
	v_mad_u64_u32 v[4:5], s[2:3], v0, s2, v[4:5]
.LBB151_489:
	s_and_b64 vcc, exec, s[0:1]
	v_add_u32_e32 v0, 0x100, v14
	s_cbranch_vccnz .LBB151_495
; %bb.490:
	s_mov_b32 s28, 0
	s_cmp_eq_u32 s33, 0
	v_mov_b32_e32 v2, 0
	s_cbranch_scc1 .LBB151_499
; %bb.491:
	s_min_u32 s29, s76, 15
	s_add_i32 s29, s29, 1
	s_cmp_eq_u32 s76, 2
	v_mov_b32_e32 v2, 0
	s_cbranch_scc1 .LBB151_496
; %bb.492:
	s_add_u32 s2, s4, 0xc4
	s_addc_u32 s3, s5, 0
	s_and_b32 s28, s29, 28
	s_mov_b32 s30, 0
	v_mov_b32_e32 v2, 0
	s_mov_b64 s[26:27], s[4:5]
	v_mov_b32_e32 v1, v0
.LBB151_493:                            ; =>This Inner Loop Header: Depth=1
	s_load_dwordx8 s[8:15], s[26:27], 0x4
	s_load_dwordx4 s[16:19], s[26:27], 0x24
	s_load_dwordx4 s[20:23], s[2:3], 0x0
	s_add_u32 s26, s26, 48
	s_addc_u32 s27, s27, 0
	s_waitcnt lgkmcnt(0)
	v_mul_hi_u32 v3, s9, v1
	v_add_u32_e32 v3, v1, v3
	v_lshrrev_b32_e32 v3, s10, v3
	v_mul_lo_u32 v5, v3, s8
	v_mul_hi_u32 v7, s12, v3
	v_sub_u32_e32 v1, v1, v5
	v_add_u32_e32 v5, v3, v7
	v_lshrrev_b32_e32 v5, s13, v5
	v_mul_lo_u32 v7, v5, s11
	v_mul_hi_u32 v8, s15, v5
	v_sub_u32_e32 v3, v3, v7
	v_add_u32_e32 v7, v5, v8
	v_mul_lo_u32 v1, v1, s20
	v_mul_lo_u32 v3, v3, s21
	v_lshrrev_b32_e32 v7, s16, v7
	v_add3_u32 v2, v1, v2, v3
	v_mul_lo_u32 v1, v7, s14
	v_mul_hi_u32 v3, s18, v7
	v_sub_u32_e32 v1, v5, v1
	v_add_u32_e32 v3, v7, v3
	v_mul_lo_u32 v5, v1, s22
	v_lshrrev_b32_e32 v1, s19, v3
	s_add_i32 s30, s30, 4
	v_mul_lo_u32 v3, v1, s17
	s_add_u32 s2, s2, 16
	v_sub_u32_e32 v3, v7, v3
	s_addc_u32 s3, s3, 0
	v_mul_lo_u32 v3, v3, s23
	s_cmp_lg_u32 s28, s30
	v_add3_u32 v2, v5, v2, v3
	s_cbranch_scc1 .LBB151_493
; %bb.494:
	s_and_b32 s10, s29, 3
	s_cmp_eq_u32 s10, 0
	s_cbranch_scc0 .LBB151_497
	s_branch .LBB151_499
.LBB151_495:
                                        ; implicit-def: $vgpr2
	s_branch .LBB151_500
.LBB151_496:
	v_mov_b32_e32 v1, v0
	s_and_b32 s10, s29, 3
	s_cmp_eq_u32 s10, 0
	s_cbranch_scc1 .LBB151_499
.LBB151_497:
	s_lshl_b32 s2, s28, 2
	s_add_u32 s2, s2, s4
	s_addc_u32 s3, 0, s5
	s_add_u32 s2, s2, 0xc4
	s_addc_u32 s3, s3, 0
	s_mul_i32 s8, s28, 12
	s_add_u32 s8, s4, s8
	s_addc_u32 s9, 0, s5
.LBB151_498:                            ; =>This Inner Loop Header: Depth=1
	s_load_dwordx2 s[12:13], s[8:9], 0x4
	s_load_dword s11, s[8:9], 0xc
	s_load_dword s14, s[2:3], 0x0
	s_add_u32 s8, s8, 12
	s_addc_u32 s9, s9, 0
	s_waitcnt lgkmcnt(0)
	v_mul_hi_u32 v3, s13, v1
	v_add_u32_e32 v3, v1, v3
	v_lshrrev_b32_e32 v3, s11, v3
	s_add_u32 s2, s2, 4
	v_mul_lo_u32 v5, v3, s12
	s_addc_u32 s3, s3, 0
	s_add_i32 s10, s10, -1
	v_sub_u32_e32 v5, v1, v5
	s_cmp_lg_u32 s10, 0
	v_mov_b32_e32 v1, v3
	v_mad_u64_u32 v[2:3], s[12:13], v5, s14, v[2:3]
	s_cbranch_scc1 .LBB151_498
.LBB151_499:
	s_cbranch_execnz .LBB151_502
.LBB151_500:
	s_load_dwordx4 s[8:11], s[4:5], 0x4
	s_load_dword s2, s[4:5], 0xc4
	s_cmp_lt_u32 s33, 2
	s_waitcnt lgkmcnt(0)
	v_mul_hi_u32 v1, s9, v0
	v_add_u32_e32 v1, v0, v1
	v_lshrrev_b32_e32 v1, s10, v1
	v_mul_lo_u32 v2, v1, s8
	v_sub_u32_e32 v0, v0, v2
	v_mul_lo_u32 v2, v0, s2
	s_cbranch_scc1 .LBB151_502
; %bb.501:
	s_load_dwordx4 s[8:11], s[4:5], 0x10
	s_load_dword s2, s[4:5], 0xc8
	s_waitcnt lgkmcnt(0)
	v_mul_hi_u32 v0, s9, v1
	v_add_u32_e32 v0, v1, v0
	v_lshrrev_b32_e32 v0, s10, v0
	v_mul_lo_u32 v0, v0, s8
	v_sub_u32_e32 v0, v1, v0
	v_mad_u64_u32 v[2:3], s[2:3], v0, s2, v[2:3]
.LBB151_502:
	s_and_b64 vcc, exec, s[0:1]
	s_cbranch_vccnz .LBB151_508
; %bb.503:
	s_mov_b32 s26, 0
	s_cmp_eq_u32 s33, 0
	v_mov_b32_e32 v0, 0
	s_cbranch_scc1 .LBB151_512
; %bb.504:
	s_min_u32 s27, s76, 15
	s_add_i32 s27, s27, 1
	s_cmp_eq_u32 s76, 2
	v_mov_b32_e32 v0, 0
	s_cbranch_scc1 .LBB151_509
; %bb.505:
	s_add_u32 s20, s4, 0xc4
	s_addc_u32 s21, s5, 0
	s_and_b32 s26, s27, 28
	s_mov_b32 s28, 0
	v_mov_b32_e32 v0, 0
	s_mov_b64 s[22:23], s[4:5]
	v_mov_b32_e32 v3, v9
.LBB151_506:                            ; =>This Inner Loop Header: Depth=1
	s_load_dwordx8 s[8:15], s[22:23], 0x4
	s_load_dwordx4 s[0:3], s[22:23], 0x24
	s_load_dwordx4 s[16:19], s[20:21], 0x0
	s_add_u32 s22, s22, 48
	s_addc_u32 s23, s23, 0
	s_waitcnt lgkmcnt(0)
	v_mul_hi_u32 v1, s9, v3
	v_add_u32_e32 v1, v3, v1
	v_lshrrev_b32_e32 v1, s10, v1
	v_mul_lo_u32 v5, v1, s8
	v_mul_hi_u32 v7, s12, v1
	v_sub_u32_e32 v3, v3, v5
	v_add_u32_e32 v5, v1, v7
	v_lshrrev_b32_e32 v5, s13, v5
	v_mul_lo_u32 v7, v5, s11
	v_mul_hi_u32 v8, s15, v5
	v_sub_u32_e32 v1, v1, v7
	v_add_u32_e32 v7, v5, v8
	v_mul_lo_u32 v3, v3, s16
	v_mul_lo_u32 v1, v1, s17
	v_lshrrev_b32_e32 v7, s0, v7
	v_add3_u32 v0, v3, v0, v1
	v_mul_hi_u32 v3, s2, v7
	v_add_u32_e32 v3, v7, v3
	v_mul_lo_u32 v1, v7, s14
	v_lshrrev_b32_e32 v3, s3, v3
	s_add_i32 s28, s28, 4
	v_sub_u32_e32 v1, v5, v1
	v_mul_lo_u32 v5, v3, s1
	s_add_u32 s20, s20, 16
	v_sub_u32_e32 v5, v7, v5
	s_addc_u32 s21, s21, 0
	v_mul_lo_u32 v1, v1, s18
	v_mul_lo_u32 v5, v5, s19
	s_cmp_lg_u32 s26, s28
	v_add3_u32 v0, v1, v0, v5
	s_cbranch_scc1 .LBB151_506
; %bb.507:
	s_and_b32 s8, s27, 3
	s_cmp_eq_u32 s8, 0
	s_cbranch_scc0 .LBB151_510
	s_branch .LBB151_512
.LBB151_508:
                                        ; implicit-def: $vgpr0
	s_branch .LBB151_513
.LBB151_509:
	v_mov_b32_e32 v3, v9
	s_and_b32 s8, s27, 3
	s_cmp_eq_u32 s8, 0
	s_cbranch_scc1 .LBB151_512
.LBB151_510:
	s_lshl_b32 s0, s26, 2
	s_add_u32 s0, s0, s4
	s_addc_u32 s1, 0, s5
	s_add_u32 s0, s0, 0xc4
	s_addc_u32 s1, s1, 0
	s_mul_i32 s2, s26, 12
	s_add_u32 s2, s4, s2
	s_addc_u32 s3, 0, s5
.LBB151_511:                            ; =>This Inner Loop Header: Depth=1
	s_load_dwordx2 s[10:11], s[2:3], 0x4
	s_load_dword s9, s[2:3], 0xc
	s_load_dword s12, s[0:1], 0x0
	s_add_u32 s2, s2, 12
	s_addc_u32 s3, s3, 0
	s_waitcnt lgkmcnt(0)
	v_mul_hi_u32 v1, s11, v3
	v_add_u32_e32 v1, v3, v1
	v_lshrrev_b32_e32 v1, s9, v1
	s_add_u32 s0, s0, 4
	v_mul_lo_u32 v5, v1, s10
	s_addc_u32 s1, s1, 0
	s_add_i32 s8, s8, -1
	v_sub_u32_e32 v5, v3, v5
	s_cmp_lg_u32 s8, 0
	v_mov_b32_e32 v3, v1
	v_mad_u64_u32 v[0:1], s[10:11], v5, s12, v[0:1]
	s_cbranch_scc1 .LBB151_511
.LBB151_512:
	s_cbranch_execnz .LBB151_515
.LBB151_513:
	s_load_dwordx4 s[0:3], s[4:5], 0x4
	s_waitcnt lgkmcnt(0)
	s_load_dword s3, s[4:5], 0xc4
	s_cmp_lt_u32 s33, 2
	v_mul_hi_u32 v0, s1, v9
	v_add_u32_e32 v0, v9, v0
	v_lshrrev_b32_e32 v1, s2, v0
	v_mul_lo_u32 v0, v1, s0
	v_sub_u32_e32 v0, v9, v0
	s_waitcnt lgkmcnt(0)
	v_mul_lo_u32 v0, v0, s3
	s_cbranch_scc1 .LBB151_515
; %bb.514:
	s_load_dwordx4 s[0:3], s[4:5], 0x10
	s_waitcnt lgkmcnt(0)
	s_load_dword s3, s[4:5], 0xc8
	v_mul_hi_u32 v3, s1, v1
	v_add_u32_e32 v3, v1, v3
	v_lshrrev_b32_e32 v3, s2, v3
	v_mul_lo_u32 v3, v3, s0
	v_sub_u32_e32 v1, v1, v3
	s_waitcnt lgkmcnt(0)
	v_mad_u64_u32 v[0:1], s[0:1], v1, s3, v[0:1]
.LBB151_515:
	s_load_dwordx2 s[8:9], s[4:5], 0x108
	s_load_dword s16, s[4:5], 0x110
	s_waitcnt lgkmcnt(0)
	v_mov_b32_e32 v1, s9
	v_add_co_u32_e32 v6, vcc, s8, v6
	v_lshrrev_b16_e64 v8, 8, s16
	v_addc_co_u32_e32 v7, vcc, 0, v1, vcc
	v_cmp_gt_i16_e64 s[0:1], 11, v8
	s_and_b64 vcc, exec, s[0:1]
	s_cbranch_vccnz .LBB151_541
; %bb.516:
	v_cmp_lt_i16_e32 vcc, 25, v8
	s_mov_b64 s[12:13], -1
	s_mov_b64 s[10:11], 0
	s_mov_b64 s[2:3], 0
	;; [unrolled: 1-line block ×3, first 2 shown]
	s_cbranch_vccz .LBB151_551
; %bb.517:
	v_cmp_lt_i16_e32 vcc, 28, v8
	s_cbranch_vccz .LBB151_530
; %bb.518:
	v_cmp_lt_i16_e32 vcc, 43, v8
	;; [unrolled: 3-line block ×3, first 2 shown]
	s_cbranch_vccz .LBB151_522
; %bb.520:
	v_cmp_eq_u16_e32 vcc, 46, v8
	s_mov_b64 s[4:5], -1
	s_mov_b64 s[12:13], 0
	s_cbranch_vccz .LBB151_522
; %bb.521:
	s_and_b32 s2, s16, 0xff
	s_lshl_b32 s2, s2, 23
	v_mov_b32_e32 v1, 0xff
	v_mov_b32_e32 v3, 0x7f800001
	;; [unrolled: 1-line block ×3, first 2 shown]
	v_cmp_ne_u16_sdwa vcc, s16, v1 src0_sel:BYTE_0 src1_sel:DWORD
	v_cndmask_b32_e32 v1, v3, v5, vcc
	v_mov_b32_e32 v3, 0
	v_mov_b32_e32 v5, 0x400000
	v_cmp_ne_u16_sdwa vcc, s16, v3 src0_sel:BYTE_0 src1_sel:DWORD
	v_cndmask_b32_e32 v1, v5, v1, vcc
	v_add_u32_e32 v3, 0x7fff, v1
	v_lshrrev_b32_e32 v3, 16, v3
	v_mov_b32_e32 v5, 0x7fc0
	v_cmp_o_f32_e32 vcc, v1, v1
	v_cndmask_b32_e32 v1, v5, v3, vcc
	global_store_dword v[6:7], v1, off
	s_mov_b64 s[4:5], 0
	s_mov_b64 s[2:3], -1
.LBB151_522:
	s_and_b64 vcc, exec, s[12:13]
	s_cbranch_vccz .LBB151_525
; %bb.523:
	v_cmp_eq_u16_e32 vcc, 44, v8
	s_mov_b64 s[4:5], -1
	s_cbranch_vccz .LBB151_525
; %bb.524:
	v_mov_b32_e32 v1, s16
	global_store_byte v[6:7], v1, off
	s_mov_b64 s[4:5], 0
	s_mov_b64 s[2:3], -1
.LBB151_525:
	s_mov_b64 s[12:13], 0
.LBB151_526:
	s_and_b64 vcc, exec, s[12:13]
	s_cbranch_vccz .LBB151_529
; %bb.527:
	v_cmp_eq_u16_e32 vcc, 29, v8
	s_mov_b64 s[4:5], -1
	s_cbranch_vccz .LBB151_529
; %bb.528:
	s_and_b32 s2, s16, 0xff
	s_lshl_b32 s2, s2, 23
	v_trunc_f32_e32 v1, s2
	v_mul_f32_e32 v3, 0x2f800000, v1
	v_floor_f32_e32 v3, v3
	v_fmac_f32_e32 v1, 0xcf800000, v3
	v_cvt_u32_f32_e32 v3, v3
	v_cvt_u32_f32_e32 v1, v1
	v_mov_b32_e32 v5, 0
	v_cmp_ne_u16_sdwa vcc, s16, v5 src0_sel:BYTE_0 src1_sel:DWORD
	v_cndmask_b32_e32 v11, 0, v3, vcc
	v_cndmask_b32_e32 v10, 0, v1, vcc
	global_store_dwordx2 v[6:7], v[10:11], off
	s_mov_b64 s[4:5], 0
	s_mov_b64 s[2:3], -1
.LBB151_529:
	s_mov_b64 s[12:13], 0
.LBB151_530:
	s_and_b64 vcc, exec, s[12:13]
	s_cbranch_vccz .LBB151_550
; %bb.531:
	v_cmp_gt_i16_e32 vcc, 27, v8
	s_mov_b64 s[2:3], -1
	s_cbranch_vccnz .LBB151_537
; %bb.532:
	v_cmp_lt_i16_e32 vcc, 27, v8
	s_cbranch_vccz .LBB151_534
; %bb.533:
	s_and_b32 s2, s16, 0xff
	s_lshl_b32 s2, s2, 23
	v_cvt_u32_f32_e32 v1, s2
	v_mov_b32_e32 v3, 0
	v_cmp_ne_u16_sdwa vcc, s16, v3 src0_sel:BYTE_0 src1_sel:DWORD
	s_mov_b64 s[2:3], 0
	v_cndmask_b32_e32 v1, 0, v1, vcc
	global_store_dword v[6:7], v1, off
.LBB151_534:
	s_andn2_b64 vcc, exec, s[2:3]
	s_cbranch_vccnz .LBB151_536
; %bb.535:
	s_and_b32 s2, s16, 0xff
	s_lshl_b32 s2, s2, 23
	v_cvt_u32_f32_e32 v1, s2
	v_mov_b32_e32 v3, 0
	v_cmp_ne_u16_sdwa vcc, s16, v3 src0_sel:BYTE_0 src1_sel:DWORD
	v_cndmask_b32_e32 v1, 0, v1, vcc
	global_store_short v[6:7], v1, off
.LBB151_536:
	s_mov_b64 s[2:3], 0
.LBB151_537:
	s_andn2_b64 vcc, exec, s[2:3]
	s_cbranch_vccnz .LBB151_549
; %bb.538:
	s_and_b32 s2, s16, 0xff
	v_mov_b32_e32 v3, 0xff
	s_lshl_b32 s14, s2, 23
	v_mov_b32_e32 v1, 0
	v_mov_b32_e32 v5, s14
	;; [unrolled: 1-line block ×3, first 2 shown]
	v_cmp_eq_u16_sdwa s[12:13], s16, v3 src0_sel:BYTE_0 src1_sel:DWORD
	v_cndmask_b32_e64 v3, |v5|, v9, s[12:13]
	v_mov_b32_e32 v5, 0x400000
	v_cmp_eq_u16_sdwa s[2:3], s16, v1 src0_sel:BYTE_0 src1_sel:DWORD
	v_cndmask_b32_e64 v1, v3, v5, s[2:3]
	s_mov_b32 s15, 0x437fffff
	v_cmp_lt_u32_e32 vcc, s15, v1
	v_mov_b32_e32 v5, 0x80
	s_cbranch_vccnz .LBB151_548
; %bb.539:
	s_mov_b32 s15, 0x3bffffff
	v_cmp_lt_u32_e32 vcc, s15, v1
	s_cbranch_vccz .LBB151_543
; %bb.540:
	s_add_i32 s14, s14, 0x487ffff
	s_lshr_b32 s14, s14, 20
	s_and_b64 s[12:13], s[12:13], exec
	s_cselect_b32 s12, 0x840, s14
	s_and_b64 s[2:3], s[2:3], exec
	s_cselect_b32 s14, 0x4c, s12
	s_mov_b64 s[12:13], 0
	s_mov_b64 s[2:3], -1
	s_branch .LBB151_544
.LBB151_541:
	s_mov_b64 s[2:3], 0
	s_mov_b64 s[4:5], s[6:7]
	s_cbranch_execnz .LBB151_601
.LBB151_542:
	s_andn2_b64 vcc, exec, s[2:3]
	s_cbranch_vccz .LBB151_639
	s_branch .LBB151_931
.LBB151_543:
	s_mov_b64 s[12:13], -1
	s_mov_b64 s[2:3], 0
                                        ; implicit-def: $sgpr14
.LBB151_544:
	s_andn2_b64 vcc, exec, s[12:13]
	v_mov_b32_e32 v3, s14
                                        ; implicit-def: $sgpr12
	s_cbranch_vccnz .LBB151_546
; %bb.545:
	v_add_f32_e32 v1, 0x46000000, v1
	v_and_b32_e32 v3, 0xff, v1
	s_mov_b32 s12, 0
	v_cmp_ne_u32_e64 s[2:3], 0, v3
.LBB151_546:
	s_andn2_b64 vcc, exec, s[2:3]
	v_mov_b32_e32 v5, s12
	s_cbranch_vccnz .LBB151_548
; %bb.547:
	v_mov_b32_e32 v5, v3
.LBB151_548:
	global_store_byte v[6:7], v5, off
.LBB151_549:
	s_mov_b64 s[2:3], -1
.LBB151_550:
	s_mov_b64 s[12:13], 0
.LBB151_551:
	s_and_b64 vcc, exec, s[12:13]
	s_cbranch_vccz .LBB151_597
; %bb.552:
	v_cmp_lt_i16_e32 vcc, 22, v8
	s_mov_b64 s[10:11], -1
	s_cbranch_vccz .LBB151_590
; %bb.553:
	v_cmp_gt_i16_e32 vcc, 24, v8
	s_mov_b64 s[2:3], -1
	s_cbranch_vccnz .LBB151_577
; %bb.554:
	v_cmp_lt_i16_e32 vcc, 24, v8
	s_cbranch_vccz .LBB151_564
; %bb.555:
	s_and_b32 s2, s16, 0xff
	v_mov_b32_e32 v3, 0xff
	s_lshl_b32 s12, s2, 23
	v_mov_b32_e32 v1, 0
	v_mov_b32_e32 v5, s12
	v_mov_b32_e32 v9, 0x7f800001
	v_cmp_eq_u16_sdwa s[10:11], s16, v3 src0_sel:BYTE_0 src1_sel:DWORD
	v_cndmask_b32_e64 v3, |v5|, v9, s[10:11]
	v_mov_b32_e32 v5, 0x400000
	v_cmp_eq_u16_sdwa s[2:3], s16, v1 src0_sel:BYTE_0 src1_sel:DWORD
	v_cndmask_b32_e64 v1, v3, v5, s[2:3]
	s_mov_b32 s13, 0x477fffff
	v_cmp_lt_u32_e32 vcc, s13, v1
	v_mov_b32_e32 v5, 0x80
	s_cbranch_vccnz .LBB151_563
; %bb.556:
	s_mov_b32 s13, 0x37ffffff
	v_cmp_lt_u32_e32 vcc, s13, v1
	s_cbranch_vccz .LBB151_558
; %bb.557:
	s_add_i32 s12, s12, 0x88fffff
	s_lshr_b32 s12, s12, 21
	s_and_b64 s[10:11], s[10:11], exec
	s_cselect_b32 s10, 0x440, s12
	s_and_b64 s[2:3], s[2:3], exec
	s_cselect_b32 s12, 0x46, s10
	s_mov_b64 s[10:11], 0
	s_mov_b64 s[2:3], -1
	s_branch .LBB151_559
.LBB151_558:
	s_mov_b64 s[10:11], -1
	s_mov_b64 s[2:3], 0
                                        ; implicit-def: $sgpr12
.LBB151_559:
	s_andn2_b64 vcc, exec, s[10:11]
	v_mov_b32_e32 v3, s12
                                        ; implicit-def: $sgpr10
	s_cbranch_vccnz .LBB151_561
; %bb.560:
	v_add_f32_e32 v1, 0x42800000, v1
	v_and_b32_e32 v3, 0xff, v1
	s_mov_b32 s10, 0
	v_cmp_ne_u32_e64 s[2:3], 0, v3
.LBB151_561:
	s_andn2_b64 vcc, exec, s[2:3]
	v_mov_b32_e32 v5, s10
	s_cbranch_vccnz .LBB151_563
; %bb.562:
	v_mov_b32_e32 v5, v3
.LBB151_563:
	s_mov_b64 s[2:3], 0
	global_store_byte v[6:7], v5, off
.LBB151_564:
	s_and_b64 vcc, exec, s[2:3]
	s_cbranch_vccz .LBB151_576
; %bb.565:
	s_and_b32 s2, s16, 0xff
	v_mov_b32_e32 v3, 0xff
	s_lshl_b32 s12, s2, 23
	v_mov_b32_e32 v1, 0
	v_mov_b32_e32 v5, s12
	;; [unrolled: 1-line block ×3, first 2 shown]
	v_cmp_eq_u16_sdwa s[10:11], s16, v3 src0_sel:BYTE_0 src1_sel:DWORD
	v_cndmask_b32_e64 v3, |v5|, v9, s[10:11]
	v_mov_b32_e32 v5, 0x400000
	v_cmp_eq_u16_sdwa s[2:3], s16, v1 src0_sel:BYTE_0 src1_sel:DWORD
	v_cndmask_b32_e64 v1, v3, v5, s[2:3]
	s_mov_b32 s13, 0x43f00000
	v_cmp_gt_u32_e32 vcc, s13, v1
	s_cbranch_vccz .LBB151_568
; %bb.566:
	s_mov_b32 s13, 0x3c7fffff
	v_cmp_lt_u32_e32 vcc, s13, v1
	s_cbranch_vccz .LBB151_569
; %bb.567:
	s_add_i32 s12, s12, 0x407ffff
	s_lshr_b32 s12, s12, 20
	s_and_b64 s[10:11], s[10:11], exec
	s_cselect_b32 s10, 0x838, s12
	s_and_b64 s[2:3], s[2:3], exec
	s_cselect_b32 s10, 0x44, s10
	s_mov_b64 s[2:3], 0
	s_branch .LBB151_570
.LBB151_568:
	s_mov_b64 s[2:3], -1
                                        ; implicit-def: $vgpr3
	s_branch .LBB151_573
.LBB151_569:
	s_mov_b64 s[2:3], -1
                                        ; implicit-def: $sgpr10
.LBB151_570:
	s_andn2_b64 vcc, exec, s[2:3]
	v_mov_b32_e32 v3, s10
	s_cbranch_vccnz .LBB151_572
; %bb.571:
	v_add_f32_e32 v3, 0x46800000, v1
.LBB151_572:
	s_mov_b64 s[2:3], 0
.LBB151_573:
	s_andn2_b64 vcc, exec, s[2:3]
	s_cbranch_vccnz .LBB151_575
; %bb.574:
	s_mov_b32 s2, 0x7f800000
	v_mov_b32_e32 v3, 0x7e
	v_mov_b32_e32 v5, 0x7f
	v_cmp_lt_u32_e32 vcc, s2, v1
	v_cndmask_b32_e32 v3, v3, v5, vcc
.LBB151_575:
	global_store_byte v[6:7], v3, off
.LBB151_576:
	s_mov_b64 s[2:3], 0
.LBB151_577:
	s_andn2_b64 vcc, exec, s[2:3]
	s_cbranch_vccnz .LBB151_589
; %bb.578:
	s_and_b32 s2, s16, 0xff
	v_mov_b32_e32 v3, 0xff
	s_lshl_b32 s12, s2, 23
	v_mov_b32_e32 v1, 0
	v_mov_b32_e32 v5, s12
	;; [unrolled: 1-line block ×3, first 2 shown]
	v_cmp_eq_u16_sdwa s[10:11], s16, v3 src0_sel:BYTE_0 src1_sel:DWORD
	v_cndmask_b32_e64 v3, |v5|, v9, s[10:11]
	v_mov_b32_e32 v5, 0x400000
	v_cmp_eq_u16_sdwa s[2:3], s16, v1 src0_sel:BYTE_0 src1_sel:DWORD
	v_cndmask_b32_e64 v1, v3, v5, s[2:3]
	s_mov_b32 s13, 0x47800000
	v_cmp_gt_u32_e32 vcc, s13, v1
	s_cbranch_vccz .LBB151_581
; %bb.579:
	s_mov_b32 s13, 0x387fffff
	v_cmp_lt_u32_e32 vcc, s13, v1
	s_cbranch_vccz .LBB151_582
; %bb.580:
	s_add_i32 s12, s12, 0x80fffff
	s_lshr_b32 s12, s12, 21
	s_and_b64 s[10:11], s[10:11], exec
	s_cselect_b32 s10, 0x43c, s12
	s_and_b64 s[2:3], s[2:3], exec
	s_cselect_b32 s10, 0x42, s10
	s_mov_b64 s[2:3], 0
	s_branch .LBB151_583
.LBB151_581:
	s_mov_b64 s[2:3], -1
                                        ; implicit-def: $vgpr3
	s_branch .LBB151_586
.LBB151_582:
	s_mov_b64 s[2:3], -1
                                        ; implicit-def: $sgpr10
.LBB151_583:
	s_andn2_b64 vcc, exec, s[2:3]
	v_mov_b32_e32 v3, s10
	s_cbranch_vccnz .LBB151_585
; %bb.584:
	v_add_f32_e32 v3, 0x43000000, v1
.LBB151_585:
	s_mov_b64 s[2:3], 0
.LBB151_586:
	s_andn2_b64 vcc, exec, s[2:3]
	s_cbranch_vccnz .LBB151_588
; %bb.587:
	s_mov_b32 s2, 0x7f800000
	v_mov_b32_e32 v3, 0x7c
	v_mov_b32_e32 v5, 0x7f
	v_cmp_lt_u32_e32 vcc, s2, v1
	v_cndmask_b32_e32 v3, v3, v5, vcc
.LBB151_588:
	global_store_byte v[6:7], v3, off
.LBB151_589:
	s_mov_b64 s[10:11], 0
	s_mov_b64 s[2:3], -1
.LBB151_590:
	s_andn2_b64 vcc, exec, s[10:11]
	s_mov_b64 s[10:11], 0
	s_cbranch_vccnz .LBB151_597
; %bb.591:
	v_cmp_lt_i16_e32 vcc, 14, v8
	s_mov_b64 s[12:13], -1
	s_cbranch_vccz .LBB151_595
; %bb.592:
	v_cmp_eq_u16_e32 vcc, 15, v8
	s_mov_b64 s[4:5], -1
	s_cbranch_vccz .LBB151_594
; %bb.593:
	s_and_b32 s2, s16, 0xff
	s_lshl_b32 s2, s2, 23
	v_mov_b32_e32 v1, 0xff
	v_mov_b32_e32 v3, 0x7f800001
	;; [unrolled: 1-line block ×3, first 2 shown]
	v_cmp_ne_u16_sdwa vcc, s16, v1 src0_sel:BYTE_0 src1_sel:DWORD
	v_cndmask_b32_e32 v1, v3, v5, vcc
	v_mov_b32_e32 v3, 0
	v_mov_b32_e32 v5, 0x400000
	v_cmp_ne_u16_sdwa vcc, s16, v3 src0_sel:BYTE_0 src1_sel:DWORD
	v_cndmask_b32_e32 v1, v5, v1, vcc
	v_add_u32_e32 v3, 0x7fff, v1
	v_lshrrev_b32_e32 v3, 16, v3
	v_mov_b32_e32 v5, 0x7fc0
	v_cmp_o_f32_e32 vcc, v1, v1
	v_cndmask_b32_e32 v1, v5, v3, vcc
	global_store_short v[6:7], v1, off
	s_mov_b64 s[4:5], 0
	s_mov_b64 s[2:3], -1
.LBB151_594:
	s_mov_b64 s[12:13], 0
.LBB151_595:
	s_and_b64 vcc, exec, s[12:13]
	s_cbranch_vccz .LBB151_597
; %bb.596:
	v_cmp_ne_u16_e64 s[4:5], 11, v8
	s_mov_b64 s[10:11], -1
.LBB151_597:
	s_and_b64 vcc, exec, s[4:5]
	s_mov_b64 s[4:5], s[6:7]
	s_cbranch_vccnz .LBB151_667
; %bb.598:
	s_andn2_b64 vcc, exec, s[10:11]
	s_cbranch_vccnz .LBB151_600
.LBB151_599:
	v_mov_b32_e32 v1, 1
	global_store_byte v[6:7], v1, off
	s_mov_b64 s[2:3], -1
.LBB151_600:
	s_branch .LBB151_542
.LBB151_601:
	v_cmp_gt_i16_e32 vcc, 5, v8
	s_mov_b64 s[2:3], -1
	s_cbranch_vccnz .LBB151_622
; %bb.602:
	v_cmp_gt_i16_e32 vcc, 8, v8
	s_cbranch_vccnz .LBB151_612
; %bb.603:
	v_cmp_gt_i16_e32 vcc, 9, v8
	s_cbranch_vccnz .LBB151_609
; %bb.604:
	v_cmp_lt_i16_e32 vcc, 9, v8
	s_cbranch_vccz .LBB151_606
; %bb.605:
	s_and_b32 s2, s16, 0xff
	s_lshl_b32 s2, s2, 23
	v_mov_b32_e32 v1, 0xff
	v_cvt_f64_f32_e32 v[10:11], s2
	v_bfrev_b32_e32 v3, 4
	v_cmp_ne_u16_sdwa vcc, s16, v1 src0_sel:BYTE_0 src1_sel:DWORD
	v_cndmask_b32_e32 v1, v3, v10, vcc
	v_mov_b32_e32 v3, 0x7ff80000
	v_mov_b32_e32 v12, 0
	v_cndmask_b32_e32 v3, v3, v11, vcc
	v_bfrev_b32_e32 v5, 28
	v_cmp_ne_u16_sdwa vcc, s16, v12 src0_sel:BYTE_0 src1_sel:DWORD
	v_cndmask_b32_e32 v11, v5, v3, vcc
	v_cndmask_b32_e32 v10, 0, v1, vcc
	v_mov_b32_e32 v13, v12
	global_store_dwordx4 v[6:7], v[10:13], off
	s_mov_b64 s[2:3], 0
.LBB151_606:
	s_andn2_b64 vcc, exec, s[2:3]
	s_cbranch_vccnz .LBB151_608
; %bb.607:
	s_and_b32 s2, s16, 0xff
	v_mov_b32_e32 v1, 0xff
	s_lshl_b32 s10, s2, 23
	v_cmp_ne_u16_sdwa s[2:3], s16, v1 src0_sel:BYTE_0 src1_sel:DWORD
	s_and_b64 s[2:3], s[2:3], exec
	v_mov_b32_e32 v11, 0
	v_cmp_ne_u16_sdwa s[2:3], s16, v11 src0_sel:BYTE_0 src1_sel:DWORD
	s_cselect_b32 s10, s10, 0x7f800001
	s_and_b64 s[2:3], s[2:3], exec
	s_cselect_b32 s2, s10, 0x400000
	v_mov_b32_e32 v10, s2
	global_store_dwordx2 v[6:7], v[10:11], off
.LBB151_608:
	s_mov_b64 s[2:3], 0
.LBB151_609:
	s_andn2_b64 vcc, exec, s[2:3]
	s_cbranch_vccnz .LBB151_611
; %bb.610:
	s_and_b32 s2, s16, 0xff
	s_lshl_b32 s2, s2, 23
	v_cvt_f16_f32_e32 v1, s2
	v_mov_b32_e32 v3, 0xff
	v_mov_b32_e32 v5, 0x7e00
	v_cmp_ne_u16_sdwa vcc, s16, v3 src0_sel:BYTE_0 src1_sel:DWORD
	v_mov_b32_e32 v3, 0
	v_cndmask_b32_e32 v1, v5, v1, vcc
	v_cmp_ne_u16_sdwa vcc, s16, v3 src0_sel:BYTE_0 src1_sel:DWORD
	v_cndmask_b32_e32 v1, 0, v1, vcc
	global_store_dword v[6:7], v1, off
.LBB151_611:
	s_mov_b64 s[2:3], 0
.LBB151_612:
	s_andn2_b64 vcc, exec, s[2:3]
	s_cbranch_vccnz .LBB151_621
; %bb.613:
	v_cmp_gt_i16_e32 vcc, 6, v8
	s_mov_b64 s[2:3], -1
	s_cbranch_vccnz .LBB151_619
; %bb.614:
	v_cmp_lt_i16_e32 vcc, 6, v8
	s_cbranch_vccz .LBB151_616
; %bb.615:
	s_and_b32 s2, s16, 0xff
	s_lshl_b32 s2, s2, 23
	v_mov_b32_e32 v1, 0xff
	v_cvt_f64_f32_e32 v[10:11], s2
	v_bfrev_b32_e32 v3, 4
	v_cmp_ne_u16_sdwa vcc, s16, v1 src0_sel:BYTE_0 src1_sel:DWORD
	v_cndmask_b32_e32 v1, v3, v10, vcc
	v_mov_b32_e32 v3, 0x7ff80000
	v_mov_b32_e32 v5, 0
	v_cndmask_b32_e32 v3, v3, v11, vcc
	v_bfrev_b32_e32 v9, 28
	v_cmp_ne_u16_sdwa vcc, s16, v5 src0_sel:BYTE_0 src1_sel:DWORD
	v_cndmask_b32_e32 v11, v9, v3, vcc
	v_cndmask_b32_e32 v10, 0, v1, vcc
	global_store_dwordx2 v[6:7], v[10:11], off
	s_mov_b64 s[2:3], 0
.LBB151_616:
	s_andn2_b64 vcc, exec, s[2:3]
	s_cbranch_vccnz .LBB151_618
; %bb.617:
	s_and_b32 s2, s16, 0xff
	s_lshl_b32 s2, s2, 23
	v_mov_b32_e32 v1, 0xff
	v_mov_b32_e32 v3, 0x7f800001
	;; [unrolled: 1-line block ×3, first 2 shown]
	v_cmp_ne_u16_sdwa vcc, s16, v1 src0_sel:BYTE_0 src1_sel:DWORD
	v_cndmask_b32_e32 v1, v3, v5, vcc
	v_mov_b32_e32 v3, 0
	v_mov_b32_e32 v5, 0x400000
	v_cmp_ne_u16_sdwa vcc, s16, v3 src0_sel:BYTE_0 src1_sel:DWORD
	v_cndmask_b32_e32 v1, v5, v1, vcc
	global_store_dword v[6:7], v1, off
.LBB151_618:
	s_mov_b64 s[2:3], 0
.LBB151_619:
	s_andn2_b64 vcc, exec, s[2:3]
	s_cbranch_vccnz .LBB151_621
; %bb.620:
	s_and_b32 s2, s16, 0xff
	s_lshl_b32 s2, s2, 23
	v_cvt_f16_f32_e32 v1, s2
	v_mov_b32_e32 v3, 0xff
	v_mov_b32_e32 v5, 0x7e00
	v_cmp_ne_u16_sdwa vcc, s16, v3 src0_sel:BYTE_0 src1_sel:DWORD
	v_mov_b32_e32 v3, 0
	v_cndmask_b32_e32 v1, v5, v1, vcc
	v_cmp_ne_u16_sdwa vcc, s16, v3 src0_sel:BYTE_0 src1_sel:DWORD
	v_cndmask_b32_e32 v1, 0, v1, vcc
	global_store_short v[6:7], v1, off
.LBB151_621:
	s_mov_b64 s[2:3], 0
.LBB151_622:
	s_andn2_b64 vcc, exec, s[2:3]
	s_cbranch_vccnz .LBB151_638
; %bb.623:
	v_cmp_gt_i16_e32 vcc, 2, v8
	s_mov_b64 s[2:3], -1
	s_cbranch_vccnz .LBB151_633
; %bb.624:
	v_cmp_gt_i16_e32 vcc, 3, v8
	s_cbranch_vccnz .LBB151_630
; %bb.625:
	v_cmp_lt_i16_e32 vcc, 3, v8
	s_cbranch_vccz .LBB151_627
; %bb.626:
	s_and_b32 s2, s16, 0xff
	s_lshl_b32 s2, s2, 23
	v_trunc_f32_e32 v1, s2
	s_mov_b32 s2, 0x2f800000
	v_mul_f32_e64 v3, |v1|, s2
	v_floor_f32_e32 v3, v3
	s_mov_b32 s2, 0xcf800000
	v_fma_f32 v5, v3, s2, |v1|
	v_cvt_u32_f32_e32 v5, v5
	v_cvt_u32_f32_e32 v3, v3
	v_ashrrev_i32_e32 v1, 31, v1
	s_mov_b64 s[2:3], 0
	v_xor_b32_e32 v5, v5, v1
	v_xor_b32_e32 v3, v3, v1
	v_sub_co_u32_e32 v5, vcc, v5, v1
	v_subb_co_u32_e32 v1, vcc, v3, v1, vcc
	v_mov_b32_e32 v3, 0
	v_cmp_ne_u16_sdwa vcc, s16, v3 src0_sel:BYTE_0 src1_sel:DWORD
	v_cndmask_b32_e32 v11, 0, v1, vcc
	v_cndmask_b32_e32 v10, 0, v5, vcc
	global_store_dwordx2 v[6:7], v[10:11], off
.LBB151_627:
	s_andn2_b64 vcc, exec, s[2:3]
	s_cbranch_vccnz .LBB151_629
; %bb.628:
	s_and_b32 s2, s16, 0xff
	s_lshl_b32 s2, s2, 23
	v_cvt_i32_f32_e32 v1, s2
	v_mov_b32_e32 v3, 0
	v_cmp_ne_u16_sdwa vcc, s16, v3 src0_sel:BYTE_0 src1_sel:DWORD
	v_cndmask_b32_e32 v1, 0, v1, vcc
	global_store_dword v[6:7], v1, off
.LBB151_629:
	s_mov_b64 s[2:3], 0
.LBB151_630:
	s_andn2_b64 vcc, exec, s[2:3]
	s_cbranch_vccnz .LBB151_632
; %bb.631:
	s_and_b32 s2, s16, 0xff
	s_lshl_b32 s2, s2, 23
	v_cvt_i32_f32_e32 v1, s2
	v_mov_b32_e32 v3, 0
	v_cmp_ne_u16_sdwa vcc, s16, v3 src0_sel:BYTE_0 src1_sel:DWORD
	v_cndmask_b32_e32 v1, 0, v1, vcc
	global_store_short v[6:7], v1, off
.LBB151_632:
	s_mov_b64 s[2:3], 0
.LBB151_633:
	s_andn2_b64 vcc, exec, s[2:3]
	s_cbranch_vccnz .LBB151_638
; %bb.634:
	v_cmp_lt_i16_e32 vcc, 0, v8
	s_mov_b64 s[2:3], -1
	s_cbranch_vccz .LBB151_636
; %bb.635:
	s_and_b32 s2, s16, 0xff
	s_lshl_b32 s2, s2, 23
	v_cvt_i32_f32_e32 v1, s2
	v_mov_b32_e32 v3, 0
	v_cmp_ne_u16_sdwa vcc, s16, v3 src0_sel:BYTE_0 src1_sel:DWORD
	s_mov_b64 s[2:3], 0
	v_cndmask_b32_e32 v1, 0, v1, vcc
	global_store_byte v[6:7], v1, off
.LBB151_636:
	s_andn2_b64 vcc, exec, s[2:3]
	s_cbranch_vccnz .LBB151_638
; %bb.637:
	s_and_b32 s2, s16, 0xff
	s_lshl_b32 s2, s2, 23
	v_trunc_f32_e32 v1, s2
	s_mov_b32 s2, 0x2f800000
	v_mul_f32_e64 v3, |v1|, s2
	v_floor_f32_e32 v3, v3
	s_mov_b32 s2, 0xcf800000
	v_fma_f32 v3, v3, s2, |v1|
	v_cvt_u32_f32_e32 v3, v3
	v_ashrrev_i32_e32 v1, 31, v1
	v_xor_b32_e32 v3, v3, v1
	v_sub_u32_e32 v1, v3, v1
	v_mov_b32_e32 v3, 0
	v_cmp_ne_u16_sdwa vcc, s16, v3 src0_sel:BYTE_0 src1_sel:DWORD
	v_cndmask_b32_e32 v1, 0, v1, vcc
	global_store_byte v[6:7], v1, off
.LBB151_638:
.LBB151_639:
	v_mov_b32_e32 v1, s9
	v_add_co_u32_e32 v4, vcc, s8, v4
	v_addc_co_u32_e32 v5, vcc, 0, v1, vcc
	s_and_b64 vcc, exec, s[0:1]
	s_cbranch_vccnz .LBB151_665
; %bb.640:
	v_cmp_lt_i16_e32 vcc, 25, v8
	s_mov_b64 s[14:15], -1
	s_mov_b64 s[12:13], 0
	s_mov_b64 s[2:3], 0
	;; [unrolled: 1-line block ×3, first 2 shown]
	s_cbranch_vccz .LBB151_676
; %bb.641:
	v_cmp_lt_i16_e32 vcc, 28, v8
	s_cbranch_vccz .LBB151_654
; %bb.642:
	v_cmp_lt_i16_e32 vcc, 43, v8
	;; [unrolled: 3-line block ×3, first 2 shown]
	s_cbranch_vccz .LBB151_646
; %bb.644:
	v_cmp_eq_u16_e32 vcc, 46, v8
	s_mov_b64 s[10:11], -1
	s_mov_b64 s[14:15], 0
	s_cbranch_vccz .LBB151_646
; %bb.645:
	s_and_b32 s2, s16, 0xff
	s_lshl_b32 s2, s2, 23
	v_mov_b32_e32 v1, 0xff
	v_mov_b32_e32 v3, 0x7f800001
	;; [unrolled: 1-line block ×3, first 2 shown]
	v_cmp_ne_u16_sdwa vcc, s16, v1 src0_sel:BYTE_0 src1_sel:DWORD
	v_cndmask_b32_e32 v1, v3, v6, vcc
	v_mov_b32_e32 v3, 0
	v_mov_b32_e32 v6, 0x400000
	v_cmp_ne_u16_sdwa vcc, s16, v3 src0_sel:BYTE_0 src1_sel:DWORD
	v_cndmask_b32_e32 v1, v6, v1, vcc
	v_add_u32_e32 v3, 0x7fff, v1
	v_lshrrev_b32_e32 v3, 16, v3
	v_mov_b32_e32 v6, 0x7fc0
	v_cmp_o_f32_e32 vcc, v1, v1
	v_cndmask_b32_e32 v1, v6, v3, vcc
	global_store_dword v[4:5], v1, off
	s_mov_b64 s[10:11], 0
	s_mov_b64 s[2:3], -1
.LBB151_646:
	s_and_b64 vcc, exec, s[14:15]
	s_cbranch_vccz .LBB151_649
; %bb.647:
	v_cmp_eq_u16_e32 vcc, 44, v8
	s_mov_b64 s[10:11], -1
	s_cbranch_vccz .LBB151_649
; %bb.648:
	v_mov_b32_e32 v1, s16
	global_store_byte v[4:5], v1, off
	s_mov_b64 s[10:11], 0
	s_mov_b64 s[2:3], -1
.LBB151_649:
	s_mov_b64 s[14:15], 0
.LBB151_650:
	s_and_b64 vcc, exec, s[14:15]
	s_cbranch_vccz .LBB151_653
; %bb.651:
	v_cmp_eq_u16_e32 vcc, 29, v8
	s_mov_b64 s[10:11], -1
	s_cbranch_vccz .LBB151_653
; %bb.652:
	s_and_b32 s2, s16, 0xff
	s_lshl_b32 s2, s2, 23
	v_trunc_f32_e32 v1, s2
	v_mul_f32_e32 v3, 0x2f800000, v1
	v_floor_f32_e32 v3, v3
	v_fmac_f32_e32 v1, 0xcf800000, v3
	v_cvt_u32_f32_e32 v3, v3
	v_cvt_u32_f32_e32 v1, v1
	v_mov_b32_e32 v6, 0
	v_cmp_ne_u16_sdwa vcc, s16, v6 src0_sel:BYTE_0 src1_sel:DWORD
	v_cndmask_b32_e32 v7, 0, v3, vcc
	v_cndmask_b32_e32 v6, 0, v1, vcc
	global_store_dwordx2 v[4:5], v[6:7], off
	s_mov_b64 s[10:11], 0
	s_mov_b64 s[2:3], -1
.LBB151_653:
	s_mov_b64 s[14:15], 0
.LBB151_654:
	s_and_b64 vcc, exec, s[14:15]
	s_cbranch_vccz .LBB151_675
; %bb.655:
	v_cmp_gt_i16_e32 vcc, 27, v8
	s_mov_b64 s[2:3], -1
	s_cbranch_vccnz .LBB151_661
; %bb.656:
	v_cmp_lt_i16_e32 vcc, 27, v8
	s_cbranch_vccz .LBB151_658
; %bb.657:
	s_and_b32 s2, s16, 0xff
	s_lshl_b32 s2, s2, 23
	v_cvt_u32_f32_e32 v1, s2
	v_mov_b32_e32 v3, 0
	v_cmp_ne_u16_sdwa vcc, s16, v3 src0_sel:BYTE_0 src1_sel:DWORD
	s_mov_b64 s[2:3], 0
	v_cndmask_b32_e32 v1, 0, v1, vcc
	global_store_dword v[4:5], v1, off
.LBB151_658:
	s_andn2_b64 vcc, exec, s[2:3]
	s_cbranch_vccnz .LBB151_660
; %bb.659:
	s_and_b32 s2, s16, 0xff
	s_lshl_b32 s2, s2, 23
	v_cvt_u32_f32_e32 v1, s2
	v_mov_b32_e32 v3, 0
	v_cmp_ne_u16_sdwa vcc, s16, v3 src0_sel:BYTE_0 src1_sel:DWORD
	v_cndmask_b32_e32 v1, 0, v1, vcc
	global_store_short v[4:5], v1, off
.LBB151_660:
	s_mov_b64 s[2:3], 0
.LBB151_661:
	s_andn2_b64 vcc, exec, s[2:3]
	s_cbranch_vccnz .LBB151_674
; %bb.662:
	s_and_b32 s2, s16, 0xff
	v_mov_b32_e32 v3, 0xff
	s_lshl_b32 s17, s2, 23
	v_mov_b32_e32 v1, 0
	v_mov_b32_e32 v6, s17
	;; [unrolled: 1-line block ×3, first 2 shown]
	v_cmp_eq_u16_sdwa s[14:15], s16, v3 src0_sel:BYTE_0 src1_sel:DWORD
	v_cndmask_b32_e64 v3, |v6|, v7, s[14:15]
	v_mov_b32_e32 v6, 0x400000
	v_cmp_eq_u16_sdwa s[2:3], s16, v1 src0_sel:BYTE_0 src1_sel:DWORD
	v_cndmask_b32_e64 v1, v3, v6, s[2:3]
	s_mov_b32 s18, 0x437fffff
	v_cmp_lt_u32_e32 vcc, s18, v1
	v_mov_b32_e32 v6, 0x80
	s_cbranch_vccnz .LBB151_673
; %bb.663:
	s_mov_b32 s18, 0x3bffffff
	v_cmp_lt_u32_e32 vcc, s18, v1
	s_cbranch_vccz .LBB151_668
; %bb.664:
	s_add_i32 s17, s17, 0x487ffff
	s_lshr_b32 s17, s17, 20
	s_and_b64 s[14:15], s[14:15], exec
	s_cselect_b32 s14, 0x840, s17
	s_and_b64 s[2:3], s[2:3], exec
	s_cselect_b32 s17, 0x4c, s14
	s_mov_b64 s[14:15], 0
	s_mov_b64 s[2:3], -1
	s_branch .LBB151_669
.LBB151_665:
	s_mov_b64 s[2:3], 0
	s_cbranch_execnz .LBB151_726
.LBB151_666:
	s_andn2_b64 vcc, exec, s[2:3]
	s_cbranch_vccz .LBB151_764
	s_branch .LBB151_931
.LBB151_667:
	s_or_b64 s[4:5], s[6:7], exec
	s_trap 2
	s_cbranch_execz .LBB151_599
	s_branch .LBB151_600
.LBB151_668:
	s_mov_b64 s[14:15], -1
	s_mov_b64 s[2:3], 0
                                        ; implicit-def: $sgpr17
.LBB151_669:
	s_andn2_b64 vcc, exec, s[14:15]
	v_mov_b32_e32 v3, s17
                                        ; implicit-def: $sgpr14
	s_cbranch_vccnz .LBB151_671
; %bb.670:
	v_add_f32_e32 v1, 0x46000000, v1
	v_and_b32_e32 v3, 0xff, v1
	s_mov_b32 s14, 0
	v_cmp_ne_u32_e64 s[2:3], 0, v3
.LBB151_671:
	s_andn2_b64 vcc, exec, s[2:3]
	v_mov_b32_e32 v6, s14
	s_cbranch_vccnz .LBB151_673
; %bb.672:
	v_mov_b32_e32 v6, v3
.LBB151_673:
	global_store_byte v[4:5], v6, off
.LBB151_674:
	s_mov_b64 s[2:3], -1
.LBB151_675:
	s_mov_b64 s[14:15], 0
.LBB151_676:
	s_and_b64 vcc, exec, s[14:15]
	s_cbranch_vccz .LBB151_722
; %bb.677:
	v_cmp_lt_i16_e32 vcc, 22, v8
	s_mov_b64 s[12:13], -1
	s_cbranch_vccz .LBB151_715
; %bb.678:
	v_cmp_gt_i16_e32 vcc, 24, v8
	s_mov_b64 s[2:3], -1
	s_cbranch_vccnz .LBB151_702
; %bb.679:
	v_cmp_lt_i16_e32 vcc, 24, v8
	s_cbranch_vccz .LBB151_689
; %bb.680:
	s_and_b32 s2, s16, 0xff
	v_mov_b32_e32 v3, 0xff
	s_lshl_b32 s14, s2, 23
	v_mov_b32_e32 v1, 0
	v_mov_b32_e32 v6, s14
	;; [unrolled: 1-line block ×3, first 2 shown]
	v_cmp_eq_u16_sdwa s[12:13], s16, v3 src0_sel:BYTE_0 src1_sel:DWORD
	v_cndmask_b32_e64 v3, |v6|, v7, s[12:13]
	v_mov_b32_e32 v6, 0x400000
	v_cmp_eq_u16_sdwa s[2:3], s16, v1 src0_sel:BYTE_0 src1_sel:DWORD
	v_cndmask_b32_e64 v1, v3, v6, s[2:3]
	s_mov_b32 s15, 0x477fffff
	v_cmp_lt_u32_e32 vcc, s15, v1
	v_mov_b32_e32 v6, 0x80
	s_cbranch_vccnz .LBB151_688
; %bb.681:
	s_mov_b32 s15, 0x37ffffff
	v_cmp_lt_u32_e32 vcc, s15, v1
	s_cbranch_vccz .LBB151_683
; %bb.682:
	s_add_i32 s14, s14, 0x88fffff
	s_lshr_b32 s14, s14, 21
	s_and_b64 s[12:13], s[12:13], exec
	s_cselect_b32 s12, 0x440, s14
	s_and_b64 s[2:3], s[2:3], exec
	s_cselect_b32 s14, 0x46, s12
	s_mov_b64 s[12:13], 0
	s_mov_b64 s[2:3], -1
	s_branch .LBB151_684
.LBB151_683:
	s_mov_b64 s[12:13], -1
	s_mov_b64 s[2:3], 0
                                        ; implicit-def: $sgpr14
.LBB151_684:
	s_andn2_b64 vcc, exec, s[12:13]
	v_mov_b32_e32 v3, s14
                                        ; implicit-def: $sgpr12
	s_cbranch_vccnz .LBB151_686
; %bb.685:
	v_add_f32_e32 v1, 0x42800000, v1
	v_and_b32_e32 v3, 0xff, v1
	s_mov_b32 s12, 0
	v_cmp_ne_u32_e64 s[2:3], 0, v3
.LBB151_686:
	s_andn2_b64 vcc, exec, s[2:3]
	v_mov_b32_e32 v6, s12
	s_cbranch_vccnz .LBB151_688
; %bb.687:
	v_mov_b32_e32 v6, v3
.LBB151_688:
	s_mov_b64 s[2:3], 0
	global_store_byte v[4:5], v6, off
.LBB151_689:
	s_and_b64 vcc, exec, s[2:3]
	s_cbranch_vccz .LBB151_701
; %bb.690:
	s_and_b32 s2, s16, 0xff
	v_mov_b32_e32 v3, 0xff
	s_lshl_b32 s14, s2, 23
	v_mov_b32_e32 v1, 0
	v_mov_b32_e32 v6, s14
	;; [unrolled: 1-line block ×3, first 2 shown]
	v_cmp_eq_u16_sdwa s[12:13], s16, v3 src0_sel:BYTE_0 src1_sel:DWORD
	v_cndmask_b32_e64 v3, |v6|, v7, s[12:13]
	v_mov_b32_e32 v6, 0x400000
	v_cmp_eq_u16_sdwa s[2:3], s16, v1 src0_sel:BYTE_0 src1_sel:DWORD
	v_cndmask_b32_e64 v1, v3, v6, s[2:3]
	s_mov_b32 s15, 0x43f00000
	v_cmp_gt_u32_e32 vcc, s15, v1
	s_cbranch_vccz .LBB151_693
; %bb.691:
	s_mov_b32 s15, 0x3c7fffff
	v_cmp_lt_u32_e32 vcc, s15, v1
	s_cbranch_vccz .LBB151_694
; %bb.692:
	s_add_i32 s14, s14, 0x407ffff
	s_lshr_b32 s14, s14, 20
	s_and_b64 s[12:13], s[12:13], exec
	s_cselect_b32 s12, 0x838, s14
	s_and_b64 s[2:3], s[2:3], exec
	s_cselect_b32 s12, 0x44, s12
	s_mov_b64 s[2:3], 0
	s_branch .LBB151_695
.LBB151_693:
	s_mov_b64 s[2:3], -1
                                        ; implicit-def: $vgpr3
	s_branch .LBB151_698
.LBB151_694:
	s_mov_b64 s[2:3], -1
                                        ; implicit-def: $sgpr12
.LBB151_695:
	s_andn2_b64 vcc, exec, s[2:3]
	v_mov_b32_e32 v3, s12
	s_cbranch_vccnz .LBB151_697
; %bb.696:
	v_add_f32_e32 v3, 0x46800000, v1
.LBB151_697:
	s_mov_b64 s[2:3], 0
.LBB151_698:
	s_andn2_b64 vcc, exec, s[2:3]
	s_cbranch_vccnz .LBB151_700
; %bb.699:
	s_mov_b32 s2, 0x7f800000
	v_mov_b32_e32 v3, 0x7e
	v_mov_b32_e32 v6, 0x7f
	v_cmp_lt_u32_e32 vcc, s2, v1
	v_cndmask_b32_e32 v3, v3, v6, vcc
.LBB151_700:
	global_store_byte v[4:5], v3, off
.LBB151_701:
	s_mov_b64 s[2:3], 0
.LBB151_702:
	s_andn2_b64 vcc, exec, s[2:3]
	s_cbranch_vccnz .LBB151_714
; %bb.703:
	s_and_b32 s2, s16, 0xff
	v_mov_b32_e32 v3, 0xff
	s_lshl_b32 s14, s2, 23
	v_mov_b32_e32 v1, 0
	v_mov_b32_e32 v6, s14
	;; [unrolled: 1-line block ×3, first 2 shown]
	v_cmp_eq_u16_sdwa s[12:13], s16, v3 src0_sel:BYTE_0 src1_sel:DWORD
	v_cndmask_b32_e64 v3, |v6|, v7, s[12:13]
	v_mov_b32_e32 v6, 0x400000
	v_cmp_eq_u16_sdwa s[2:3], s16, v1 src0_sel:BYTE_0 src1_sel:DWORD
	v_cndmask_b32_e64 v1, v3, v6, s[2:3]
	s_mov_b32 s15, 0x47800000
	v_cmp_gt_u32_e32 vcc, s15, v1
	s_cbranch_vccz .LBB151_706
; %bb.704:
	s_mov_b32 s15, 0x387fffff
	v_cmp_lt_u32_e32 vcc, s15, v1
	s_cbranch_vccz .LBB151_707
; %bb.705:
	s_add_i32 s14, s14, 0x80fffff
	s_lshr_b32 s14, s14, 21
	s_and_b64 s[12:13], s[12:13], exec
	s_cselect_b32 s12, 0x43c, s14
	s_and_b64 s[2:3], s[2:3], exec
	s_cselect_b32 s12, 0x42, s12
	s_mov_b64 s[2:3], 0
	s_branch .LBB151_708
.LBB151_706:
	s_mov_b64 s[2:3], -1
                                        ; implicit-def: $vgpr3
	s_branch .LBB151_711
.LBB151_707:
	s_mov_b64 s[2:3], -1
                                        ; implicit-def: $sgpr12
.LBB151_708:
	s_andn2_b64 vcc, exec, s[2:3]
	v_mov_b32_e32 v3, s12
	s_cbranch_vccnz .LBB151_710
; %bb.709:
	v_add_f32_e32 v3, 0x43000000, v1
.LBB151_710:
	s_mov_b64 s[2:3], 0
.LBB151_711:
	s_andn2_b64 vcc, exec, s[2:3]
	s_cbranch_vccnz .LBB151_713
; %bb.712:
	s_mov_b32 s2, 0x7f800000
	v_mov_b32_e32 v3, 0x7c
	v_mov_b32_e32 v6, 0x7f
	v_cmp_lt_u32_e32 vcc, s2, v1
	v_cndmask_b32_e32 v3, v3, v6, vcc
.LBB151_713:
	global_store_byte v[4:5], v3, off
.LBB151_714:
	s_mov_b64 s[12:13], 0
	s_mov_b64 s[2:3], -1
.LBB151_715:
	s_andn2_b64 vcc, exec, s[12:13]
	s_mov_b64 s[12:13], 0
	s_cbranch_vccnz .LBB151_722
; %bb.716:
	v_cmp_lt_i16_e32 vcc, 14, v8
	s_mov_b64 s[14:15], -1
	s_cbranch_vccz .LBB151_720
; %bb.717:
	v_cmp_eq_u16_e32 vcc, 15, v8
	s_mov_b64 s[10:11], -1
	s_cbranch_vccz .LBB151_719
; %bb.718:
	s_and_b32 s2, s16, 0xff
	s_lshl_b32 s2, s2, 23
	v_mov_b32_e32 v1, 0xff
	v_mov_b32_e32 v3, 0x7f800001
	;; [unrolled: 1-line block ×3, first 2 shown]
	v_cmp_ne_u16_sdwa vcc, s16, v1 src0_sel:BYTE_0 src1_sel:DWORD
	v_cndmask_b32_e32 v1, v3, v6, vcc
	v_mov_b32_e32 v3, 0
	v_mov_b32_e32 v6, 0x400000
	v_cmp_ne_u16_sdwa vcc, s16, v3 src0_sel:BYTE_0 src1_sel:DWORD
	v_cndmask_b32_e32 v1, v6, v1, vcc
	v_add_u32_e32 v3, 0x7fff, v1
	v_lshrrev_b32_e32 v3, 16, v3
	v_mov_b32_e32 v6, 0x7fc0
	v_cmp_o_f32_e32 vcc, v1, v1
	v_cndmask_b32_e32 v1, v6, v3, vcc
	global_store_short v[4:5], v1, off
	s_mov_b64 s[10:11], 0
	s_mov_b64 s[2:3], -1
.LBB151_719:
	s_mov_b64 s[14:15], 0
.LBB151_720:
	s_and_b64 vcc, exec, s[14:15]
	s_cbranch_vccz .LBB151_722
; %bb.721:
	v_cmp_ne_u16_e64 s[10:11], 11, v8
	s_mov_b64 s[12:13], -1
.LBB151_722:
	s_and_b64 vcc, exec, s[10:11]
	s_cbranch_vccnz .LBB151_820
; %bb.723:
	s_andn2_b64 vcc, exec, s[12:13]
	s_cbranch_vccnz .LBB151_725
.LBB151_724:
	v_mov_b32_e32 v1, 1
	s_mov_b64 s[2:3], -1
	global_store_byte v[4:5], v1, off
.LBB151_725:
	s_branch .LBB151_666
.LBB151_726:
	v_cmp_gt_i16_e32 vcc, 5, v8
	s_mov_b64 s[2:3], -1
	s_cbranch_vccnz .LBB151_747
; %bb.727:
	v_cmp_gt_i16_e32 vcc, 8, v8
	s_cbranch_vccnz .LBB151_737
; %bb.728:
	v_cmp_gt_i16_e32 vcc, 9, v8
	s_cbranch_vccnz .LBB151_734
; %bb.729:
	v_cmp_lt_i16_e32 vcc, 9, v8
	s_cbranch_vccz .LBB151_731
; %bb.730:
	s_and_b32 s2, s16, 0xff
	s_lshl_b32 s2, s2, 23
	v_mov_b32_e32 v1, 0xff
	v_cvt_f64_f32_e32 v[6:7], s2
	v_bfrev_b32_e32 v3, 4
	v_cmp_ne_u16_sdwa vcc, s16, v1 src0_sel:BYTE_0 src1_sel:DWORD
	v_cndmask_b32_e32 v1, v3, v6, vcc
	v_mov_b32_e32 v3, 0x7ff80000
	v_mov_b32_e32 v12, 0
	v_cndmask_b32_e32 v3, v3, v7, vcc
	v_bfrev_b32_e32 v6, 28
	v_cmp_ne_u16_sdwa vcc, s16, v12 src0_sel:BYTE_0 src1_sel:DWORD
	v_cndmask_b32_e32 v11, v6, v3, vcc
	v_cndmask_b32_e32 v10, 0, v1, vcc
	v_mov_b32_e32 v13, v12
	global_store_dwordx4 v[4:5], v[10:13], off
	s_mov_b64 s[2:3], 0
.LBB151_731:
	s_andn2_b64 vcc, exec, s[2:3]
	s_cbranch_vccnz .LBB151_733
; %bb.732:
	s_and_b32 s2, s16, 0xff
	v_mov_b32_e32 v1, 0xff
	s_lshl_b32 s10, s2, 23
	v_cmp_ne_u16_sdwa s[2:3], s16, v1 src0_sel:BYTE_0 src1_sel:DWORD
	s_and_b64 s[2:3], s[2:3], exec
	v_mov_b32_e32 v7, 0
	v_cmp_ne_u16_sdwa s[2:3], s16, v7 src0_sel:BYTE_0 src1_sel:DWORD
	s_cselect_b32 s10, s10, 0x7f800001
	s_and_b64 s[2:3], s[2:3], exec
	s_cselect_b32 s2, s10, 0x400000
	v_mov_b32_e32 v6, s2
	global_store_dwordx2 v[4:5], v[6:7], off
.LBB151_733:
	s_mov_b64 s[2:3], 0
.LBB151_734:
	s_andn2_b64 vcc, exec, s[2:3]
	s_cbranch_vccnz .LBB151_736
; %bb.735:
	s_and_b32 s2, s16, 0xff
	s_lshl_b32 s2, s2, 23
	v_cvt_f16_f32_e32 v1, s2
	v_mov_b32_e32 v3, 0xff
	v_mov_b32_e32 v6, 0x7e00
	v_cmp_ne_u16_sdwa vcc, s16, v3 src0_sel:BYTE_0 src1_sel:DWORD
	v_mov_b32_e32 v3, 0
	v_cndmask_b32_e32 v1, v6, v1, vcc
	v_cmp_ne_u16_sdwa vcc, s16, v3 src0_sel:BYTE_0 src1_sel:DWORD
	v_cndmask_b32_e32 v1, 0, v1, vcc
	global_store_dword v[4:5], v1, off
.LBB151_736:
	s_mov_b64 s[2:3], 0
.LBB151_737:
	s_andn2_b64 vcc, exec, s[2:3]
	s_cbranch_vccnz .LBB151_746
; %bb.738:
	v_cmp_gt_i16_e32 vcc, 6, v8
	s_mov_b64 s[2:3], -1
	s_cbranch_vccnz .LBB151_744
; %bb.739:
	v_cmp_lt_i16_e32 vcc, 6, v8
	s_cbranch_vccz .LBB151_741
; %bb.740:
	s_and_b32 s2, s16, 0xff
	s_lshl_b32 s2, s2, 23
	v_mov_b32_e32 v1, 0xff
	v_cvt_f64_f32_e32 v[6:7], s2
	v_bfrev_b32_e32 v3, 4
	v_cmp_ne_u16_sdwa vcc, s16, v1 src0_sel:BYTE_0 src1_sel:DWORD
	v_cndmask_b32_e32 v1, v3, v6, vcc
	v_mov_b32_e32 v3, 0x7ff80000
	v_mov_b32_e32 v6, 0
	v_cndmask_b32_e32 v3, v3, v7, vcc
	v_bfrev_b32_e32 v7, 28
	v_cmp_ne_u16_sdwa vcc, s16, v6 src0_sel:BYTE_0 src1_sel:DWORD
	v_cndmask_b32_e32 v7, v7, v3, vcc
	v_cndmask_b32_e32 v6, 0, v1, vcc
	global_store_dwordx2 v[4:5], v[6:7], off
	s_mov_b64 s[2:3], 0
.LBB151_741:
	s_andn2_b64 vcc, exec, s[2:3]
	s_cbranch_vccnz .LBB151_743
; %bb.742:
	s_and_b32 s2, s16, 0xff
	s_lshl_b32 s2, s2, 23
	v_mov_b32_e32 v1, 0xff
	v_mov_b32_e32 v3, 0x7f800001
	;; [unrolled: 1-line block ×3, first 2 shown]
	v_cmp_ne_u16_sdwa vcc, s16, v1 src0_sel:BYTE_0 src1_sel:DWORD
	v_cndmask_b32_e32 v1, v3, v6, vcc
	v_mov_b32_e32 v3, 0
	v_mov_b32_e32 v6, 0x400000
	v_cmp_ne_u16_sdwa vcc, s16, v3 src0_sel:BYTE_0 src1_sel:DWORD
	v_cndmask_b32_e32 v1, v6, v1, vcc
	global_store_dword v[4:5], v1, off
.LBB151_743:
	s_mov_b64 s[2:3], 0
.LBB151_744:
	s_andn2_b64 vcc, exec, s[2:3]
	s_cbranch_vccnz .LBB151_746
; %bb.745:
	s_and_b32 s2, s16, 0xff
	s_lshl_b32 s2, s2, 23
	v_cvt_f16_f32_e32 v1, s2
	v_mov_b32_e32 v3, 0xff
	v_mov_b32_e32 v6, 0x7e00
	v_cmp_ne_u16_sdwa vcc, s16, v3 src0_sel:BYTE_0 src1_sel:DWORD
	v_mov_b32_e32 v3, 0
	v_cndmask_b32_e32 v1, v6, v1, vcc
	v_cmp_ne_u16_sdwa vcc, s16, v3 src0_sel:BYTE_0 src1_sel:DWORD
	v_cndmask_b32_e32 v1, 0, v1, vcc
	global_store_short v[4:5], v1, off
.LBB151_746:
	s_mov_b64 s[2:3], 0
.LBB151_747:
	s_andn2_b64 vcc, exec, s[2:3]
	s_cbranch_vccnz .LBB151_763
; %bb.748:
	v_cmp_gt_i16_e32 vcc, 2, v8
	s_mov_b64 s[2:3], -1
	s_cbranch_vccnz .LBB151_758
; %bb.749:
	v_cmp_gt_i16_e32 vcc, 3, v8
	s_cbranch_vccnz .LBB151_755
; %bb.750:
	v_cmp_lt_i16_e32 vcc, 3, v8
	s_cbranch_vccz .LBB151_752
; %bb.751:
	s_and_b32 s2, s16, 0xff
	s_lshl_b32 s2, s2, 23
	v_trunc_f32_e32 v1, s2
	s_mov_b32 s2, 0x2f800000
	v_mul_f32_e64 v3, |v1|, s2
	v_floor_f32_e32 v3, v3
	s_mov_b32 s2, 0xcf800000
	v_fma_f32 v6, v3, s2, |v1|
	v_cvt_u32_f32_e32 v6, v6
	v_cvt_u32_f32_e32 v3, v3
	v_ashrrev_i32_e32 v1, 31, v1
	s_mov_b64 s[2:3], 0
	v_xor_b32_e32 v6, v6, v1
	v_xor_b32_e32 v3, v3, v1
	v_sub_co_u32_e32 v6, vcc, v6, v1
	v_subb_co_u32_e32 v1, vcc, v3, v1, vcc
	v_mov_b32_e32 v3, 0
	v_cmp_ne_u16_sdwa vcc, s16, v3 src0_sel:BYTE_0 src1_sel:DWORD
	v_cndmask_b32_e32 v7, 0, v1, vcc
	v_cndmask_b32_e32 v6, 0, v6, vcc
	global_store_dwordx2 v[4:5], v[6:7], off
.LBB151_752:
	s_andn2_b64 vcc, exec, s[2:3]
	s_cbranch_vccnz .LBB151_754
; %bb.753:
	s_and_b32 s2, s16, 0xff
	s_lshl_b32 s2, s2, 23
	v_cvt_i32_f32_e32 v1, s2
	v_mov_b32_e32 v3, 0
	v_cmp_ne_u16_sdwa vcc, s16, v3 src0_sel:BYTE_0 src1_sel:DWORD
	v_cndmask_b32_e32 v1, 0, v1, vcc
	global_store_dword v[4:5], v1, off
.LBB151_754:
	s_mov_b64 s[2:3], 0
.LBB151_755:
	s_andn2_b64 vcc, exec, s[2:3]
	s_cbranch_vccnz .LBB151_757
; %bb.756:
	s_and_b32 s2, s16, 0xff
	s_lshl_b32 s2, s2, 23
	v_cvt_i32_f32_e32 v1, s2
	v_mov_b32_e32 v3, 0
	v_cmp_ne_u16_sdwa vcc, s16, v3 src0_sel:BYTE_0 src1_sel:DWORD
	v_cndmask_b32_e32 v1, 0, v1, vcc
	global_store_short v[4:5], v1, off
.LBB151_757:
	s_mov_b64 s[2:3], 0
.LBB151_758:
	s_andn2_b64 vcc, exec, s[2:3]
	s_cbranch_vccnz .LBB151_763
; %bb.759:
	v_cmp_lt_i16_e32 vcc, 0, v8
	s_mov_b64 s[2:3], -1
	s_cbranch_vccz .LBB151_761
; %bb.760:
	s_and_b32 s2, s16, 0xff
	s_lshl_b32 s2, s2, 23
	v_cvt_i32_f32_e32 v1, s2
	v_mov_b32_e32 v3, 0
	v_cmp_ne_u16_sdwa vcc, s16, v3 src0_sel:BYTE_0 src1_sel:DWORD
	s_mov_b64 s[2:3], 0
	v_cndmask_b32_e32 v1, 0, v1, vcc
	global_store_byte v[4:5], v1, off
.LBB151_761:
	s_andn2_b64 vcc, exec, s[2:3]
	s_cbranch_vccnz .LBB151_763
; %bb.762:
	s_and_b32 s2, s16, 0xff
	s_lshl_b32 s2, s2, 23
	v_trunc_f32_e32 v1, s2
	s_mov_b32 s2, 0x2f800000
	v_mul_f32_e64 v3, |v1|, s2
	v_floor_f32_e32 v3, v3
	s_mov_b32 s2, 0xcf800000
	v_fma_f32 v3, v3, s2, |v1|
	v_cvt_u32_f32_e32 v3, v3
	v_ashrrev_i32_e32 v1, 31, v1
	v_xor_b32_e32 v3, v3, v1
	v_sub_u32_e32 v1, v3, v1
	v_mov_b32_e32 v3, 0
	v_cmp_ne_u16_sdwa vcc, s16, v3 src0_sel:BYTE_0 src1_sel:DWORD
	v_cndmask_b32_e32 v1, 0, v1, vcc
	global_store_byte v[4:5], v1, off
.LBB151_763:
.LBB151_764:
	v_mov_b32_e32 v1, s9
	v_add_co_u32_e32 v2, vcc, s8, v2
	v_addc_co_u32_e32 v3, vcc, 0, v1, vcc
	s_and_b64 vcc, exec, s[0:1]
	s_cbranch_vccnz .LBB151_790
; %bb.765:
	v_cmp_lt_i16_e32 vcc, 25, v8
	s_mov_b64 s[14:15], -1
	s_mov_b64 s[12:13], 0
	s_mov_b64 s[2:3], 0
	;; [unrolled: 1-line block ×3, first 2 shown]
	s_cbranch_vccz .LBB151_829
; %bb.766:
	v_cmp_lt_i16_e32 vcc, 28, v8
	s_cbranch_vccz .LBB151_779
; %bb.767:
	v_cmp_lt_i16_e32 vcc, 43, v8
	;; [unrolled: 3-line block ×3, first 2 shown]
	s_cbranch_vccz .LBB151_771
; %bb.769:
	v_cmp_eq_u16_e32 vcc, 46, v8
	s_mov_b64 s[10:11], -1
	s_mov_b64 s[14:15], 0
	s_cbranch_vccz .LBB151_771
; %bb.770:
	s_and_b32 s2, s16, 0xff
	s_lshl_b32 s2, s2, 23
	v_mov_b32_e32 v1, 0xff
	v_mov_b32_e32 v4, 0x7f800001
	;; [unrolled: 1-line block ×3, first 2 shown]
	v_cmp_ne_u16_sdwa vcc, s16, v1 src0_sel:BYTE_0 src1_sel:DWORD
	v_cndmask_b32_e32 v1, v4, v5, vcc
	v_mov_b32_e32 v4, 0
	v_mov_b32_e32 v5, 0x400000
	v_cmp_ne_u16_sdwa vcc, s16, v4 src0_sel:BYTE_0 src1_sel:DWORD
	v_cndmask_b32_e32 v1, v5, v1, vcc
	v_add_u32_e32 v4, 0x7fff, v1
	v_lshrrev_b32_e32 v4, 16, v4
	v_mov_b32_e32 v5, 0x7fc0
	v_cmp_o_f32_e32 vcc, v1, v1
	v_cndmask_b32_e32 v1, v5, v4, vcc
	global_store_dword v[2:3], v1, off
	s_mov_b64 s[10:11], 0
	s_mov_b64 s[2:3], -1
.LBB151_771:
	s_and_b64 vcc, exec, s[14:15]
	s_cbranch_vccz .LBB151_774
; %bb.772:
	v_cmp_eq_u16_e32 vcc, 44, v8
	s_mov_b64 s[10:11], -1
	s_cbranch_vccz .LBB151_774
; %bb.773:
	v_mov_b32_e32 v1, s16
	global_store_byte v[2:3], v1, off
	s_mov_b64 s[10:11], 0
	s_mov_b64 s[2:3], -1
.LBB151_774:
	s_mov_b64 s[14:15], 0
.LBB151_775:
	s_and_b64 vcc, exec, s[14:15]
	s_cbranch_vccz .LBB151_778
; %bb.776:
	v_cmp_eq_u16_e32 vcc, 29, v8
	s_mov_b64 s[10:11], -1
	s_cbranch_vccz .LBB151_778
; %bb.777:
	s_and_b32 s2, s16, 0xff
	s_lshl_b32 s2, s2, 23
	v_trunc_f32_e32 v1, s2
	v_mul_f32_e32 v4, 0x2f800000, v1
	v_floor_f32_e32 v4, v4
	v_fmac_f32_e32 v1, 0xcf800000, v4
	v_cvt_u32_f32_e32 v4, v4
	v_cvt_u32_f32_e32 v1, v1
	v_mov_b32_e32 v5, 0
	v_cmp_ne_u16_sdwa vcc, s16, v5 src0_sel:BYTE_0 src1_sel:DWORD
	v_cndmask_b32_e32 v5, 0, v4, vcc
	v_cndmask_b32_e32 v4, 0, v1, vcc
	global_store_dwordx2 v[2:3], v[4:5], off
	s_mov_b64 s[10:11], 0
	s_mov_b64 s[2:3], -1
.LBB151_778:
	s_mov_b64 s[14:15], 0
.LBB151_779:
	s_and_b64 vcc, exec, s[14:15]
	s_cbranch_vccz .LBB151_828
; %bb.780:
	v_cmp_gt_i16_e32 vcc, 27, v8
	s_mov_b64 s[2:3], -1
	s_cbranch_vccnz .LBB151_786
; %bb.781:
	v_cmp_lt_i16_e32 vcc, 27, v8
	s_cbranch_vccz .LBB151_783
; %bb.782:
	s_and_b32 s2, s16, 0xff
	s_lshl_b32 s2, s2, 23
	v_cvt_u32_f32_e32 v1, s2
	v_mov_b32_e32 v4, 0
	v_cmp_ne_u16_sdwa vcc, s16, v4 src0_sel:BYTE_0 src1_sel:DWORD
	s_mov_b64 s[2:3], 0
	v_cndmask_b32_e32 v1, 0, v1, vcc
	global_store_dword v[2:3], v1, off
.LBB151_783:
	s_andn2_b64 vcc, exec, s[2:3]
	s_cbranch_vccnz .LBB151_785
; %bb.784:
	s_and_b32 s2, s16, 0xff
	s_lshl_b32 s2, s2, 23
	v_cvt_u32_f32_e32 v1, s2
	v_mov_b32_e32 v4, 0
	v_cmp_ne_u16_sdwa vcc, s16, v4 src0_sel:BYTE_0 src1_sel:DWORD
	v_cndmask_b32_e32 v1, 0, v1, vcc
	global_store_short v[2:3], v1, off
.LBB151_785:
	s_mov_b64 s[2:3], 0
.LBB151_786:
	s_andn2_b64 vcc, exec, s[2:3]
	s_cbranch_vccnz .LBB151_827
; %bb.787:
	s_and_b32 s2, s16, 0xff
	v_mov_b32_e32 v4, 0xff
	s_lshl_b32 s17, s2, 23
	v_mov_b32_e32 v1, 0
	v_mov_b32_e32 v5, s17
	;; [unrolled: 1-line block ×3, first 2 shown]
	v_cmp_eq_u16_sdwa s[14:15], s16, v4 src0_sel:BYTE_0 src1_sel:DWORD
	v_cndmask_b32_e64 v4, |v5|, v6, s[14:15]
	v_mov_b32_e32 v5, 0x400000
	v_cmp_eq_u16_sdwa s[2:3], s16, v1 src0_sel:BYTE_0 src1_sel:DWORD
	v_cndmask_b32_e64 v1, v4, v5, s[2:3]
	s_mov_b32 s18, 0x437fffff
	v_cmp_lt_u32_e32 vcc, s18, v1
	v_mov_b32_e32 v5, 0x80
	s_cbranch_vccnz .LBB151_826
; %bb.788:
	s_mov_b32 s18, 0x3bffffff
	v_cmp_lt_u32_e32 vcc, s18, v1
	s_cbranch_vccz .LBB151_821
; %bb.789:
	s_add_i32 s17, s17, 0x487ffff
	s_lshr_b32 s17, s17, 20
	s_and_b64 s[14:15], s[14:15], exec
	s_cselect_b32 s14, 0x840, s17
	s_and_b64 s[2:3], s[2:3], exec
	s_cselect_b32 s17, 0x4c, s14
	s_mov_b64 s[14:15], 0
	s_mov_b64 s[2:3], -1
	s_branch .LBB151_822
.LBB151_790:
	s_mov_b64 s[2:3], 0
	s_cbranch_execnz .LBB151_893
.LBB151_791:
	s_andn2_b64 vcc, exec, s[2:3]
	s_cbranch_vccnz .LBB151_931
.LBB151_792:
	v_mov_b32_e32 v1, s9
	v_add_co_u32_e32 v0, vcc, s8, v0
	v_addc_co_u32_e32 v1, vcc, 0, v1, vcc
	s_and_b64 vcc, exec, s[0:1]
	s_cbranch_vccnz .LBB151_819
; %bb.793:
	v_cmp_lt_i16_e32 vcc, 25, v8
	s_mov_b64 s[0:1], -1
	s_mov_b64 s[8:9], 0
	s_mov_b64 s[2:3], 0
	s_cbranch_vccz .LBB151_843
; %bb.794:
	v_cmp_lt_i16_e32 vcc, 28, v8
	s_cbranch_vccz .LBB151_808
; %bb.795:
	v_cmp_lt_i16_e32 vcc, 43, v8
	;; [unrolled: 3-line block ×3, first 2 shown]
	s_cbranch_vccz .LBB151_800
; %bb.797:
	v_cmp_eq_u16_e32 vcc, 46, v8
	s_mov_b64 s[2:3], -1
	s_cbranch_vccz .LBB151_799
; %bb.798:
	s_and_b32 s0, s16, 0xff
	s_lshl_b32 s0, s0, 23
	v_mov_b32_e32 v2, 0xff
	v_mov_b32_e32 v3, 0x7f800001
	;; [unrolled: 1-line block ×3, first 2 shown]
	v_cmp_ne_u16_sdwa vcc, s16, v2 src0_sel:BYTE_0 src1_sel:DWORD
	v_cndmask_b32_e32 v2, v3, v4, vcc
	v_mov_b32_e32 v3, 0
	v_mov_b32_e32 v4, 0x400000
	v_cmp_ne_u16_sdwa vcc, s16, v3 src0_sel:BYTE_0 src1_sel:DWORD
	v_cndmask_b32_e32 v2, v4, v2, vcc
	v_add_u32_e32 v3, 0x7fff, v2
	v_lshrrev_b32_e32 v3, 16, v3
	v_mov_b32_e32 v4, 0x7fc0
	v_cmp_o_f32_e32 vcc, v2, v2
	v_cndmask_b32_e32 v2, v4, v3, vcc
	global_store_dword v[0:1], v2, off
	s_mov_b64 s[2:3], 0
.LBB151_799:
	s_mov_b64 s[0:1], 0
.LBB151_800:
	s_and_b64 vcc, exec, s[0:1]
	s_cbranch_vccz .LBB151_803
; %bb.801:
	v_cmp_eq_u16_e32 vcc, 44, v8
	s_mov_b64 s[2:3], -1
	s_cbranch_vccz .LBB151_803
; %bb.802:
	v_mov_b32_e32 v2, s16
	global_store_byte v[0:1], v2, off
	s_mov_b64 s[2:3], 0
.LBB151_803:
	s_mov_b64 s[0:1], 0
.LBB151_804:
	s_and_b64 vcc, exec, s[0:1]
	s_cbranch_vccz .LBB151_807
; %bb.805:
	v_cmp_eq_u16_e32 vcc, 29, v8
	s_mov_b64 s[2:3], -1
	s_cbranch_vccz .LBB151_807
; %bb.806:
	s_and_b32 s0, s16, 0xff
	s_lshl_b32 s0, s0, 23
	v_trunc_f32_e32 v2, s0
	v_mul_f32_e32 v3, 0x2f800000, v2
	v_floor_f32_e32 v3, v3
	v_fmac_f32_e32 v2, 0xcf800000, v3
	v_cvt_u32_f32_e32 v3, v3
	v_cvt_u32_f32_e32 v2, v2
	v_mov_b32_e32 v4, 0
	v_cmp_ne_u16_sdwa vcc, s16, v4 src0_sel:BYTE_0 src1_sel:DWORD
	v_cndmask_b32_e32 v3, 0, v3, vcc
	v_cndmask_b32_e32 v2, 0, v2, vcc
	global_store_dwordx2 v[0:1], v[2:3], off
	s_mov_b64 s[2:3], 0
.LBB151_807:
	s_mov_b64 s[0:1], 0
.LBB151_808:
	s_and_b64 vcc, exec, s[0:1]
	s_cbranch_vccz .LBB151_842
; %bb.809:
	v_cmp_gt_i16_e32 vcc, 27, v8
	s_mov_b64 s[0:1], -1
	s_cbranch_vccnz .LBB151_815
; %bb.810:
	v_cmp_lt_i16_e32 vcc, 27, v8
	s_cbranch_vccz .LBB151_812
; %bb.811:
	s_and_b32 s0, s16, 0xff
	s_lshl_b32 s0, s0, 23
	v_cvt_u32_f32_e32 v2, s0
	v_mov_b32_e32 v3, 0
	v_cmp_ne_u16_sdwa vcc, s16, v3 src0_sel:BYTE_0 src1_sel:DWORD
	s_mov_b64 s[0:1], 0
	v_cndmask_b32_e32 v2, 0, v2, vcc
	global_store_dword v[0:1], v2, off
.LBB151_812:
	s_andn2_b64 vcc, exec, s[0:1]
	s_cbranch_vccnz .LBB151_814
; %bb.813:
	s_and_b32 s0, s16, 0xff
	s_lshl_b32 s0, s0, 23
	v_cvt_u32_f32_e32 v2, s0
	v_mov_b32_e32 v3, 0
	v_cmp_ne_u16_sdwa vcc, s16, v3 src0_sel:BYTE_0 src1_sel:DWORD
	v_cndmask_b32_e32 v2, 0, v2, vcc
	global_store_short v[0:1], v2, off
.LBB151_814:
	s_mov_b64 s[0:1], 0
.LBB151_815:
	s_andn2_b64 vcc, exec, s[0:1]
	s_cbranch_vccnz .LBB151_842
; %bb.816:
	s_and_b32 s0, s16, 0xff
	v_mov_b32_e32 v3, 0xff
	s_lshl_b32 s12, s0, 23
	v_mov_b32_e32 v2, 0
	v_mov_b32_e32 v4, s12
	;; [unrolled: 1-line block ×3, first 2 shown]
	v_cmp_eq_u16_sdwa s[10:11], s16, v3 src0_sel:BYTE_0 src1_sel:DWORD
	v_cndmask_b32_e64 v3, |v4|, v5, s[10:11]
	v_mov_b32_e32 v4, 0x400000
	v_cmp_eq_u16_sdwa s[0:1], s16, v2 src0_sel:BYTE_0 src1_sel:DWORD
	v_cndmask_b32_e64 v2, v3, v4, s[0:1]
	s_mov_b32 s13, 0x437fffff
	v_cmp_lt_u32_e32 vcc, s13, v2
	v_mov_b32_e32 v4, 0x80
	s_cbranch_vccnz .LBB151_841
; %bb.817:
	s_mov_b32 s13, 0x3bffffff
	v_cmp_lt_u32_e32 vcc, s13, v2
	s_cbranch_vccz .LBB151_836
; %bb.818:
	s_add_i32 s12, s12, 0x487ffff
	s_lshr_b32 s12, s12, 20
	s_and_b64 s[10:11], s[10:11], exec
	s_cselect_b32 s10, 0x840, s12
	s_and_b64 s[0:1], s[0:1], exec
	s_cselect_b32 s12, 0x4c, s10
	s_mov_b64 s[10:11], 0
	s_mov_b64 s[0:1], -1
	s_branch .LBB151_837
.LBB151_819:
	s_mov_b64 s[8:9], 0
	s_mov_b64 s[0:1], -1
	s_branch .LBB151_932
.LBB151_820:
	s_trap 2
	s_or_b64 s[4:5], s[4:5], exec
	s_cbranch_execz .LBB151_724
	s_branch .LBB151_725
.LBB151_821:
	s_mov_b64 s[14:15], -1
	s_mov_b64 s[2:3], 0
                                        ; implicit-def: $sgpr17
.LBB151_822:
	s_andn2_b64 vcc, exec, s[14:15]
	v_mov_b32_e32 v4, s17
                                        ; implicit-def: $sgpr14
	s_cbranch_vccnz .LBB151_824
; %bb.823:
	v_add_f32_e32 v1, 0x46000000, v1
	v_and_b32_e32 v4, 0xff, v1
	s_mov_b32 s14, 0
	v_cmp_ne_u32_e64 s[2:3], 0, v4
.LBB151_824:
	s_andn2_b64 vcc, exec, s[2:3]
	v_mov_b32_e32 v5, s14
	s_cbranch_vccnz .LBB151_826
; %bb.825:
	v_mov_b32_e32 v5, v4
.LBB151_826:
	global_store_byte v[2:3], v5, off
.LBB151_827:
	s_mov_b64 s[2:3], -1
.LBB151_828:
	s_mov_b64 s[14:15], 0
.LBB151_829:
	s_and_b64 vcc, exec, s[14:15]
	s_cbranch_vccz .LBB151_889
; %bb.830:
	v_cmp_lt_i16_e32 vcc, 22, v8
	s_mov_b64 s[12:13], -1
	s_cbranch_vccz .LBB151_882
; %bb.831:
	v_cmp_gt_i16_e32 vcc, 24, v8
	s_mov_b64 s[2:3], -1
	s_cbranch_vccnz .LBB151_869
; %bb.832:
	v_cmp_lt_i16_e32 vcc, 24, v8
	s_cbranch_vccz .LBB151_856
; %bb.833:
	s_and_b32 s2, s16, 0xff
	v_mov_b32_e32 v4, 0xff
	s_lshl_b32 s14, s2, 23
	v_mov_b32_e32 v1, 0
	v_mov_b32_e32 v5, s14
	;; [unrolled: 1-line block ×3, first 2 shown]
	v_cmp_eq_u16_sdwa s[12:13], s16, v4 src0_sel:BYTE_0 src1_sel:DWORD
	v_cndmask_b32_e64 v4, |v5|, v6, s[12:13]
	v_mov_b32_e32 v5, 0x400000
	v_cmp_eq_u16_sdwa s[2:3], s16, v1 src0_sel:BYTE_0 src1_sel:DWORD
	v_cndmask_b32_e64 v1, v4, v5, s[2:3]
	s_mov_b32 s15, 0x477fffff
	v_cmp_lt_u32_e32 vcc, s15, v1
	v_mov_b32_e32 v5, 0x80
	s_cbranch_vccnz .LBB151_855
; %bb.834:
	s_mov_b32 s15, 0x37ffffff
	v_cmp_lt_u32_e32 vcc, s15, v1
	s_cbranch_vccz .LBB151_850
; %bb.835:
	s_add_i32 s14, s14, 0x88fffff
	s_lshr_b32 s14, s14, 21
	s_and_b64 s[12:13], s[12:13], exec
	s_cselect_b32 s12, 0x440, s14
	s_and_b64 s[2:3], s[2:3], exec
	s_cselect_b32 s14, 0x46, s12
	s_mov_b64 s[12:13], 0
	s_mov_b64 s[2:3], -1
	s_branch .LBB151_851
.LBB151_836:
	s_mov_b64 s[10:11], -1
	s_mov_b64 s[0:1], 0
                                        ; implicit-def: $sgpr12
.LBB151_837:
	s_andn2_b64 vcc, exec, s[10:11]
	v_mov_b32_e32 v3, s12
                                        ; implicit-def: $sgpr10
	s_cbranch_vccnz .LBB151_839
; %bb.838:
	v_add_f32_e32 v2, 0x46000000, v2
	v_and_b32_e32 v3, 0xff, v2
	s_mov_b32 s10, 0
	v_cmp_ne_u32_e64 s[0:1], 0, v3
.LBB151_839:
	s_andn2_b64 vcc, exec, s[0:1]
	v_mov_b32_e32 v4, s10
	s_cbranch_vccnz .LBB151_841
; %bb.840:
	v_mov_b32_e32 v4, v3
.LBB151_841:
	global_store_byte v[0:1], v4, off
.LBB151_842:
	s_mov_b64 s[0:1], 0
.LBB151_843:
	s_and_b64 vcc, exec, s[0:1]
	s_cbranch_vccz .LBB151_1016
; %bb.844:
	v_cmp_lt_i16_e32 vcc, 22, v8
	s_mov_b64 s[0:1], -1
	s_cbranch_vccz .LBB151_1009
; %bb.845:
	v_cmp_gt_i16_e32 vcc, 24, v8
	s_cbranch_vccnz .LBB151_996
; %bb.846:
	v_cmp_lt_i16_e32 vcc, 24, v8
	s_cbranch_vccz .LBB151_983
; %bb.847:
	s_and_b32 s0, s16, 0xff
	v_mov_b32_e32 v3, 0xff
	s_lshl_b32 s10, s0, 23
	v_mov_b32_e32 v2, 0
	v_mov_b32_e32 v4, s10
	;; [unrolled: 1-line block ×3, first 2 shown]
	v_cmp_eq_u16_sdwa s[8:9], s16, v3 src0_sel:BYTE_0 src1_sel:DWORD
	v_cndmask_b32_e64 v3, |v4|, v5, s[8:9]
	v_mov_b32_e32 v4, 0x400000
	v_cmp_eq_u16_sdwa s[0:1], s16, v2 src0_sel:BYTE_0 src1_sel:DWORD
	v_cndmask_b32_e64 v2, v3, v4, s[0:1]
	s_mov_b32 s11, 0x477fffff
	v_cmp_lt_u32_e32 vcc, s11, v2
	v_mov_b32_e32 v4, 0x80
	s_cbranch_vccnz .LBB151_982
; %bb.848:
	s_mov_b32 s11, 0x37ffffff
	v_cmp_lt_u32_e32 vcc, s11, v2
	s_cbranch_vccz .LBB151_977
; %bb.849:
	s_add_i32 s10, s10, 0x88fffff
	s_lshr_b32 s10, s10, 21
	s_and_b64 s[8:9], s[8:9], exec
	s_cselect_b32 s8, 0x440, s10
	s_and_b64 s[0:1], s[0:1], exec
	s_cselect_b32 s10, 0x46, s8
	s_mov_b64 s[8:9], 0
	s_mov_b64 s[0:1], -1
	s_branch .LBB151_978
.LBB151_850:
	s_mov_b64 s[12:13], -1
	s_mov_b64 s[2:3], 0
                                        ; implicit-def: $sgpr14
.LBB151_851:
	s_andn2_b64 vcc, exec, s[12:13]
	v_mov_b32_e32 v4, s14
                                        ; implicit-def: $sgpr12
	s_cbranch_vccnz .LBB151_853
; %bb.852:
	v_add_f32_e32 v1, 0x42800000, v1
	v_and_b32_e32 v4, 0xff, v1
	s_mov_b32 s12, 0
	v_cmp_ne_u32_e64 s[2:3], 0, v4
.LBB151_853:
	s_andn2_b64 vcc, exec, s[2:3]
	v_mov_b32_e32 v5, s12
	s_cbranch_vccnz .LBB151_855
; %bb.854:
	v_mov_b32_e32 v5, v4
.LBB151_855:
	s_mov_b64 s[2:3], 0
	global_store_byte v[2:3], v5, off
.LBB151_856:
	s_and_b64 vcc, exec, s[2:3]
	s_cbranch_vccz .LBB151_868
; %bb.857:
	s_and_b32 s2, s16, 0xff
	v_mov_b32_e32 v4, 0xff
	s_lshl_b32 s14, s2, 23
	v_mov_b32_e32 v1, 0
	v_mov_b32_e32 v5, s14
	;; [unrolled: 1-line block ×3, first 2 shown]
	v_cmp_eq_u16_sdwa s[12:13], s16, v4 src0_sel:BYTE_0 src1_sel:DWORD
	v_cndmask_b32_e64 v4, |v5|, v6, s[12:13]
	v_mov_b32_e32 v5, 0x400000
	v_cmp_eq_u16_sdwa s[2:3], s16, v1 src0_sel:BYTE_0 src1_sel:DWORD
	v_cndmask_b32_e64 v1, v4, v5, s[2:3]
	s_mov_b32 s15, 0x43f00000
	v_cmp_gt_u32_e32 vcc, s15, v1
	s_cbranch_vccz .LBB151_860
; %bb.858:
	s_mov_b32 s15, 0x3c7fffff
	v_cmp_lt_u32_e32 vcc, s15, v1
	s_cbranch_vccz .LBB151_861
; %bb.859:
	s_add_i32 s14, s14, 0x407ffff
	s_lshr_b32 s14, s14, 20
	s_and_b64 s[12:13], s[12:13], exec
	s_cselect_b32 s12, 0x838, s14
	s_and_b64 s[2:3], s[2:3], exec
	s_cselect_b32 s12, 0x44, s12
	s_mov_b64 s[2:3], 0
	s_branch .LBB151_862
.LBB151_860:
	s_mov_b64 s[2:3], -1
                                        ; implicit-def: $vgpr4
	s_branch .LBB151_865
.LBB151_861:
	s_mov_b64 s[2:3], -1
                                        ; implicit-def: $sgpr12
.LBB151_862:
	s_andn2_b64 vcc, exec, s[2:3]
	v_mov_b32_e32 v4, s12
	s_cbranch_vccnz .LBB151_864
; %bb.863:
	v_add_f32_e32 v4, 0x46800000, v1
.LBB151_864:
	s_mov_b64 s[2:3], 0
.LBB151_865:
	s_andn2_b64 vcc, exec, s[2:3]
	s_cbranch_vccnz .LBB151_867
; %bb.866:
	s_mov_b32 s2, 0x7f800000
	v_mov_b32_e32 v4, 0x7e
	v_mov_b32_e32 v5, 0x7f
	v_cmp_lt_u32_e32 vcc, s2, v1
	v_cndmask_b32_e32 v4, v4, v5, vcc
.LBB151_867:
	global_store_byte v[2:3], v4, off
.LBB151_868:
	s_mov_b64 s[2:3], 0
.LBB151_869:
	s_andn2_b64 vcc, exec, s[2:3]
	s_cbranch_vccnz .LBB151_881
; %bb.870:
	s_and_b32 s2, s16, 0xff
	v_mov_b32_e32 v4, 0xff
	s_lshl_b32 s14, s2, 23
	v_mov_b32_e32 v1, 0
	v_mov_b32_e32 v5, s14
	;; [unrolled: 1-line block ×3, first 2 shown]
	v_cmp_eq_u16_sdwa s[12:13], s16, v4 src0_sel:BYTE_0 src1_sel:DWORD
	v_cndmask_b32_e64 v4, |v5|, v6, s[12:13]
	v_mov_b32_e32 v5, 0x400000
	v_cmp_eq_u16_sdwa s[2:3], s16, v1 src0_sel:BYTE_0 src1_sel:DWORD
	v_cndmask_b32_e64 v1, v4, v5, s[2:3]
	s_mov_b32 s15, 0x47800000
	v_cmp_gt_u32_e32 vcc, s15, v1
	s_cbranch_vccz .LBB151_873
; %bb.871:
	s_mov_b32 s15, 0x387fffff
	v_cmp_lt_u32_e32 vcc, s15, v1
	s_cbranch_vccz .LBB151_874
; %bb.872:
	s_add_i32 s14, s14, 0x80fffff
	s_lshr_b32 s14, s14, 21
	s_and_b64 s[12:13], s[12:13], exec
	s_cselect_b32 s12, 0x43c, s14
	s_and_b64 s[2:3], s[2:3], exec
	s_cselect_b32 s12, 0x42, s12
	s_mov_b64 s[2:3], 0
	s_branch .LBB151_875
.LBB151_873:
	s_mov_b64 s[2:3], -1
                                        ; implicit-def: $vgpr4
	s_branch .LBB151_878
.LBB151_874:
	s_mov_b64 s[2:3], -1
                                        ; implicit-def: $sgpr12
.LBB151_875:
	s_andn2_b64 vcc, exec, s[2:3]
	v_mov_b32_e32 v4, s12
	s_cbranch_vccnz .LBB151_877
; %bb.876:
	v_add_f32_e32 v4, 0x43000000, v1
.LBB151_877:
	s_mov_b64 s[2:3], 0
.LBB151_878:
	s_andn2_b64 vcc, exec, s[2:3]
	s_cbranch_vccnz .LBB151_880
; %bb.879:
	s_mov_b32 s2, 0x7f800000
	v_mov_b32_e32 v4, 0x7c
	v_mov_b32_e32 v5, 0x7f
	v_cmp_lt_u32_e32 vcc, s2, v1
	v_cndmask_b32_e32 v4, v4, v5, vcc
.LBB151_880:
	global_store_byte v[2:3], v4, off
.LBB151_881:
	s_mov_b64 s[12:13], 0
	s_mov_b64 s[2:3], -1
.LBB151_882:
	s_andn2_b64 vcc, exec, s[12:13]
	s_mov_b64 s[12:13], 0
	s_cbranch_vccnz .LBB151_889
; %bb.883:
	v_cmp_lt_i16_e32 vcc, 14, v8
	s_mov_b64 s[14:15], -1
	s_cbranch_vccz .LBB151_887
; %bb.884:
	v_cmp_eq_u16_e32 vcc, 15, v8
	s_mov_b64 s[10:11], -1
	s_cbranch_vccz .LBB151_886
; %bb.885:
	s_and_b32 s2, s16, 0xff
	s_lshl_b32 s2, s2, 23
	v_mov_b32_e32 v1, 0xff
	v_mov_b32_e32 v4, 0x7f800001
	;; [unrolled: 1-line block ×3, first 2 shown]
	v_cmp_ne_u16_sdwa vcc, s16, v1 src0_sel:BYTE_0 src1_sel:DWORD
	v_cndmask_b32_e32 v1, v4, v5, vcc
	v_mov_b32_e32 v4, 0
	v_mov_b32_e32 v5, 0x400000
	v_cmp_ne_u16_sdwa vcc, s16, v4 src0_sel:BYTE_0 src1_sel:DWORD
	v_cndmask_b32_e32 v1, v5, v1, vcc
	v_add_u32_e32 v4, 0x7fff, v1
	v_lshrrev_b32_e32 v4, 16, v4
	v_mov_b32_e32 v5, 0x7fc0
	v_cmp_o_f32_e32 vcc, v1, v1
	v_cndmask_b32_e32 v1, v5, v4, vcc
	global_store_short v[2:3], v1, off
	s_mov_b64 s[10:11], 0
	s_mov_b64 s[2:3], -1
.LBB151_886:
	s_mov_b64 s[14:15], 0
.LBB151_887:
	s_and_b64 vcc, exec, s[14:15]
	s_cbranch_vccz .LBB151_889
; %bb.888:
	v_cmp_ne_u16_e64 s[10:11], 11, v8
	s_mov_b64 s[12:13], -1
.LBB151_889:
	s_and_b64 vcc, exec, s[10:11]
	s_cbranch_vccnz .LBB151_976
; %bb.890:
	s_andn2_b64 vcc, exec, s[12:13]
	s_cbranch_vccnz .LBB151_892
.LBB151_891:
	v_mov_b32_e32 v1, 1
	s_mov_b64 s[2:3], -1
	global_store_byte v[2:3], v1, off
.LBB151_892:
	s_branch .LBB151_791
.LBB151_893:
	v_cmp_gt_i16_e32 vcc, 5, v8
	s_mov_b64 s[2:3], -1
	s_cbranch_vccnz .LBB151_914
; %bb.894:
	v_cmp_gt_i16_e32 vcc, 8, v8
	s_cbranch_vccnz .LBB151_904
; %bb.895:
	v_cmp_gt_i16_e32 vcc, 9, v8
	s_cbranch_vccnz .LBB151_901
; %bb.896:
	v_cmp_lt_i16_e32 vcc, 9, v8
	s_cbranch_vccz .LBB151_898
; %bb.897:
	s_and_b32 s2, s16, 0xff
	s_lshl_b32 s2, s2, 23
	v_mov_b32_e32 v1, 0xff
	v_cvt_f64_f32_e32 v[4:5], s2
	v_bfrev_b32_e32 v6, 4
	v_cmp_ne_u16_sdwa vcc, s16, v1 src0_sel:BYTE_0 src1_sel:DWORD
	v_cndmask_b32_e32 v1, v6, v4, vcc
	v_mov_b32_e32 v4, 0x7ff80000
	v_mov_b32_e32 v6, 0
	v_cndmask_b32_e32 v4, v4, v5, vcc
	v_bfrev_b32_e32 v5, 28
	v_cmp_ne_u16_sdwa vcc, s16, v6 src0_sel:BYTE_0 src1_sel:DWORD
	v_cndmask_b32_e32 v5, v5, v4, vcc
	v_cndmask_b32_e32 v4, 0, v1, vcc
	v_mov_b32_e32 v7, v6
	global_store_dwordx4 v[2:3], v[4:7], off
	s_mov_b64 s[2:3], 0
.LBB151_898:
	s_andn2_b64 vcc, exec, s[2:3]
	s_cbranch_vccnz .LBB151_900
; %bb.899:
	s_and_b32 s2, s16, 0xff
	v_mov_b32_e32 v1, 0xff
	s_lshl_b32 s10, s2, 23
	v_cmp_ne_u16_sdwa s[2:3], s16, v1 src0_sel:BYTE_0 src1_sel:DWORD
	s_and_b64 s[2:3], s[2:3], exec
	v_mov_b32_e32 v5, 0
	v_cmp_ne_u16_sdwa s[2:3], s16, v5 src0_sel:BYTE_0 src1_sel:DWORD
	s_cselect_b32 s10, s10, 0x7f800001
	s_and_b64 s[2:3], s[2:3], exec
	s_cselect_b32 s2, s10, 0x400000
	v_mov_b32_e32 v4, s2
	global_store_dwordx2 v[2:3], v[4:5], off
.LBB151_900:
	s_mov_b64 s[2:3], 0
.LBB151_901:
	s_andn2_b64 vcc, exec, s[2:3]
	s_cbranch_vccnz .LBB151_903
; %bb.902:
	s_and_b32 s2, s16, 0xff
	s_lshl_b32 s2, s2, 23
	v_cvt_f16_f32_e32 v1, s2
	v_mov_b32_e32 v4, 0xff
	v_mov_b32_e32 v5, 0x7e00
	v_cmp_ne_u16_sdwa vcc, s16, v4 src0_sel:BYTE_0 src1_sel:DWORD
	v_mov_b32_e32 v4, 0
	v_cndmask_b32_e32 v1, v5, v1, vcc
	v_cmp_ne_u16_sdwa vcc, s16, v4 src0_sel:BYTE_0 src1_sel:DWORD
	v_cndmask_b32_e32 v1, 0, v1, vcc
	global_store_dword v[2:3], v1, off
.LBB151_903:
	s_mov_b64 s[2:3], 0
.LBB151_904:
	s_andn2_b64 vcc, exec, s[2:3]
	s_cbranch_vccnz .LBB151_913
; %bb.905:
	v_cmp_gt_i16_e32 vcc, 6, v8
	s_mov_b64 s[2:3], -1
	s_cbranch_vccnz .LBB151_911
; %bb.906:
	v_cmp_lt_i16_e32 vcc, 6, v8
	s_cbranch_vccz .LBB151_908
; %bb.907:
	s_and_b32 s2, s16, 0xff
	s_lshl_b32 s2, s2, 23
	v_mov_b32_e32 v1, 0xff
	v_cvt_f64_f32_e32 v[4:5], s2
	v_bfrev_b32_e32 v6, 4
	v_cmp_ne_u16_sdwa vcc, s16, v1 src0_sel:BYTE_0 src1_sel:DWORD
	v_cndmask_b32_e32 v1, v6, v4, vcc
	v_mov_b32_e32 v4, 0x7ff80000
	v_cndmask_b32_e32 v4, v4, v5, vcc
	v_mov_b32_e32 v5, 0
	v_bfrev_b32_e32 v6, 28
	v_cmp_ne_u16_sdwa vcc, s16, v5 src0_sel:BYTE_0 src1_sel:DWORD
	v_cndmask_b32_e32 v5, v6, v4, vcc
	v_cndmask_b32_e32 v4, 0, v1, vcc
	global_store_dwordx2 v[2:3], v[4:5], off
	s_mov_b64 s[2:3], 0
.LBB151_908:
	s_andn2_b64 vcc, exec, s[2:3]
	s_cbranch_vccnz .LBB151_910
; %bb.909:
	s_and_b32 s2, s16, 0xff
	s_lshl_b32 s2, s2, 23
	v_mov_b32_e32 v1, 0xff
	v_mov_b32_e32 v4, 0x7f800001
	;; [unrolled: 1-line block ×3, first 2 shown]
	v_cmp_ne_u16_sdwa vcc, s16, v1 src0_sel:BYTE_0 src1_sel:DWORD
	v_cndmask_b32_e32 v1, v4, v5, vcc
	v_mov_b32_e32 v4, 0
	v_mov_b32_e32 v5, 0x400000
	v_cmp_ne_u16_sdwa vcc, s16, v4 src0_sel:BYTE_0 src1_sel:DWORD
	v_cndmask_b32_e32 v1, v5, v1, vcc
	global_store_dword v[2:3], v1, off
.LBB151_910:
	s_mov_b64 s[2:3], 0
.LBB151_911:
	s_andn2_b64 vcc, exec, s[2:3]
	s_cbranch_vccnz .LBB151_913
; %bb.912:
	s_and_b32 s2, s16, 0xff
	s_lshl_b32 s2, s2, 23
	v_cvt_f16_f32_e32 v1, s2
	v_mov_b32_e32 v4, 0xff
	v_mov_b32_e32 v5, 0x7e00
	v_cmp_ne_u16_sdwa vcc, s16, v4 src0_sel:BYTE_0 src1_sel:DWORD
	v_mov_b32_e32 v4, 0
	v_cndmask_b32_e32 v1, v5, v1, vcc
	v_cmp_ne_u16_sdwa vcc, s16, v4 src0_sel:BYTE_0 src1_sel:DWORD
	v_cndmask_b32_e32 v1, 0, v1, vcc
	global_store_short v[2:3], v1, off
.LBB151_913:
	s_mov_b64 s[2:3], 0
.LBB151_914:
	s_andn2_b64 vcc, exec, s[2:3]
	s_cbranch_vccnz .LBB151_930
; %bb.915:
	v_cmp_gt_i16_e32 vcc, 2, v8
	s_mov_b64 s[2:3], -1
	s_cbranch_vccnz .LBB151_925
; %bb.916:
	v_cmp_gt_i16_e32 vcc, 3, v8
	s_cbranch_vccnz .LBB151_922
; %bb.917:
	v_cmp_lt_i16_e32 vcc, 3, v8
	s_cbranch_vccz .LBB151_919
; %bb.918:
	s_and_b32 s2, s16, 0xff
	s_lshl_b32 s2, s2, 23
	v_trunc_f32_e32 v1, s2
	s_mov_b32 s2, 0x2f800000
	v_mul_f32_e64 v4, |v1|, s2
	v_floor_f32_e32 v4, v4
	s_mov_b32 s2, 0xcf800000
	v_fma_f32 v5, v4, s2, |v1|
	v_cvt_u32_f32_e32 v5, v5
	v_cvt_u32_f32_e32 v4, v4
	v_ashrrev_i32_e32 v1, 31, v1
	s_mov_b64 s[2:3], 0
	v_xor_b32_e32 v5, v5, v1
	v_xor_b32_e32 v4, v4, v1
	v_sub_co_u32_e32 v6, vcc, v5, v1
	v_subb_co_u32_e32 v1, vcc, v4, v1, vcc
	v_mov_b32_e32 v4, 0
	v_cmp_ne_u16_sdwa vcc, s16, v4 src0_sel:BYTE_0 src1_sel:DWORD
	v_cndmask_b32_e32 v5, 0, v1, vcc
	v_cndmask_b32_e32 v4, 0, v6, vcc
	global_store_dwordx2 v[2:3], v[4:5], off
.LBB151_919:
	s_andn2_b64 vcc, exec, s[2:3]
	s_cbranch_vccnz .LBB151_921
; %bb.920:
	s_and_b32 s2, s16, 0xff
	s_lshl_b32 s2, s2, 23
	v_cvt_i32_f32_e32 v1, s2
	v_mov_b32_e32 v4, 0
	v_cmp_ne_u16_sdwa vcc, s16, v4 src0_sel:BYTE_0 src1_sel:DWORD
	v_cndmask_b32_e32 v1, 0, v1, vcc
	global_store_dword v[2:3], v1, off
.LBB151_921:
	s_mov_b64 s[2:3], 0
.LBB151_922:
	s_andn2_b64 vcc, exec, s[2:3]
	s_cbranch_vccnz .LBB151_924
; %bb.923:
	s_and_b32 s2, s16, 0xff
	s_lshl_b32 s2, s2, 23
	v_cvt_i32_f32_e32 v1, s2
	v_mov_b32_e32 v4, 0
	v_cmp_ne_u16_sdwa vcc, s16, v4 src0_sel:BYTE_0 src1_sel:DWORD
	v_cndmask_b32_e32 v1, 0, v1, vcc
	global_store_short v[2:3], v1, off
.LBB151_924:
	s_mov_b64 s[2:3], 0
.LBB151_925:
	s_andn2_b64 vcc, exec, s[2:3]
	s_cbranch_vccnz .LBB151_930
; %bb.926:
	v_cmp_lt_i16_e32 vcc, 0, v8
	s_mov_b64 s[2:3], -1
	s_cbranch_vccz .LBB151_928
; %bb.927:
	s_and_b32 s2, s16, 0xff
	s_lshl_b32 s2, s2, 23
	v_cvt_i32_f32_e32 v1, s2
	v_mov_b32_e32 v4, 0
	v_cmp_ne_u16_sdwa vcc, s16, v4 src0_sel:BYTE_0 src1_sel:DWORD
	s_mov_b64 s[2:3], 0
	v_cndmask_b32_e32 v1, 0, v1, vcc
	global_store_byte v[2:3], v1, off
.LBB151_928:
	s_andn2_b64 vcc, exec, s[2:3]
	s_cbranch_vccnz .LBB151_930
; %bb.929:
	s_and_b32 s2, s16, 0xff
	s_lshl_b32 s2, s2, 23
	v_trunc_f32_e32 v1, s2
	s_mov_b32 s2, 0x2f800000
	v_mul_f32_e64 v4, |v1|, s2
	v_floor_f32_e32 v4, v4
	s_mov_b32 s2, 0xcf800000
	v_fma_f32 v4, v4, s2, |v1|
	v_cvt_u32_f32_e32 v4, v4
	v_ashrrev_i32_e32 v1, 31, v1
	v_xor_b32_e32 v4, v4, v1
	v_sub_u32_e32 v1, v4, v1
	v_mov_b32_e32 v4, 0
	v_cmp_ne_u16_sdwa vcc, s16, v4 src0_sel:BYTE_0 src1_sel:DWORD
	v_cndmask_b32_e32 v1, 0, v1, vcc
	global_store_byte v[2:3], v1, off
.LBB151_930:
	s_branch .LBB151_792
.LBB151_931:
	s_mov_b64 s[0:1], 0
	s_mov_b64 s[8:9], 0
                                        ; implicit-def: $vgpr8
                                        ; implicit-def: $vgpr0_vgpr1
.LBB151_932:
	s_andn2_b64 s[2:3], s[6:7], exec
	s_and_b64 s[4:5], s[4:5], exec
	s_and_b64 s[0:1], s[0:1], exec
	;; [unrolled: 1-line block ×3, first 2 shown]
	s_or_b64 s[6:7], s[2:3], s[4:5]
.LBB151_933:
	s_or_b64 exec, exec, s[24:25]
	s_and_saveexec_b64 s[2:3], s[6:7]
	s_cbranch_execz .LBB151_936
; %bb.934:
	; divergent unreachable
	s_or_b64 exec, exec, s[2:3]
	s_and_saveexec_b64 s[2:3], s[34:35]
	s_xor_b64 s[2:3], exec, s[2:3]
	s_cbranch_execnz .LBB151_937
.LBB151_935:
	s_or_b64 exec, exec, s[2:3]
	s_and_saveexec_b64 s[2:3], s[0:1]
	s_cbranch_execnz .LBB151_938
	s_branch .LBB151_975
.LBB151_936:
	s_or_b64 exec, exec, s[2:3]
	s_and_saveexec_b64 s[2:3], s[34:35]
	s_xor_b64 s[2:3], exec, s[2:3]
	s_cbranch_execz .LBB151_935
.LBB151_937:
	v_mov_b32_e32 v2, 1
	global_store_byte v[0:1], v2, off
	s_or_b64 exec, exec, s[2:3]
	s_and_saveexec_b64 s[2:3], s[0:1]
	s_cbranch_execz .LBB151_975
.LBB151_938:
	v_cmp_gt_i16_e32 vcc, 5, v8
	s_mov_b64 s[0:1], -1
	s_cbranch_vccnz .LBB151_959
; %bb.939:
	v_cmp_gt_i16_e32 vcc, 8, v8
	s_cbranch_vccnz .LBB151_949
; %bb.940:
	v_cmp_gt_i16_e32 vcc, 9, v8
	s_cbranch_vccnz .LBB151_946
; %bb.941:
	v_cmp_lt_i16_e32 vcc, 9, v8
	s_cbranch_vccz .LBB151_943
; %bb.942:
	s_and_b32 s0, s16, 0xff
	s_lshl_b32 s0, s0, 23
	v_mov_b32_e32 v4, 0xff
	v_cvt_f64_f32_e32 v[2:3], s0
	v_cmp_ne_u16_sdwa vcc, s16, v4 src0_sel:BYTE_0 src1_sel:DWORD
	v_mov_b32_e32 v4, 0x7ff80000
	v_bfrev_b32_e32 v5, 4
	v_cndmask_b32_e32 v3, v4, v3, vcc
	v_mov_b32_e32 v4, 0
	v_cndmask_b32_e32 v2, v5, v2, vcc
	v_bfrev_b32_e32 v5, 28
	v_cmp_ne_u16_sdwa vcc, s16, v4 src0_sel:BYTE_0 src1_sel:DWORD
	v_cndmask_b32_e32 v3, v5, v3, vcc
	v_cndmask_b32_e32 v2, 0, v2, vcc
	v_mov_b32_e32 v5, v4
	global_store_dwordx4 v[0:1], v[2:5], off
	s_mov_b64 s[0:1], 0
.LBB151_943:
	s_andn2_b64 vcc, exec, s[0:1]
	s_cbranch_vccnz .LBB151_945
; %bb.944:
	s_and_b32 s0, s16, 0xff
	v_mov_b32_e32 v2, 0xff
	s_lshl_b32 s2, s0, 23
	v_cmp_ne_u16_sdwa s[0:1], s16, v2 src0_sel:BYTE_0 src1_sel:DWORD
	s_and_b64 s[0:1], s[0:1], exec
	v_mov_b32_e32 v3, 0
	v_cmp_ne_u16_sdwa s[0:1], s16, v3 src0_sel:BYTE_0 src1_sel:DWORD
	s_cselect_b32 s2, s2, 0x7f800001
	s_and_b64 s[0:1], s[0:1], exec
	s_cselect_b32 s0, s2, 0x400000
	v_mov_b32_e32 v2, s0
	global_store_dwordx2 v[0:1], v[2:3], off
.LBB151_945:
	s_mov_b64 s[0:1], 0
.LBB151_946:
	s_andn2_b64 vcc, exec, s[0:1]
	s_cbranch_vccnz .LBB151_948
; %bb.947:
	s_and_b32 s0, s16, 0xff
	s_lshl_b32 s0, s0, 23
	v_cvt_f16_f32_e32 v2, s0
	v_mov_b32_e32 v3, 0xff
	v_mov_b32_e32 v4, 0x7e00
	v_cmp_ne_u16_sdwa vcc, s16, v3 src0_sel:BYTE_0 src1_sel:DWORD
	v_mov_b32_e32 v3, 0
	v_cndmask_b32_e32 v2, v4, v2, vcc
	v_cmp_ne_u16_sdwa vcc, s16, v3 src0_sel:BYTE_0 src1_sel:DWORD
	v_cndmask_b32_e32 v2, 0, v2, vcc
	global_store_dword v[0:1], v2, off
.LBB151_948:
	s_mov_b64 s[0:1], 0
.LBB151_949:
	s_andn2_b64 vcc, exec, s[0:1]
	s_cbranch_vccnz .LBB151_958
; %bb.950:
	v_cmp_gt_i16_e32 vcc, 6, v8
	s_mov_b64 s[0:1], -1
	s_cbranch_vccnz .LBB151_956
; %bb.951:
	v_cmp_lt_i16_e32 vcc, 6, v8
	s_cbranch_vccz .LBB151_953
; %bb.952:
	s_and_b32 s0, s16, 0xff
	s_lshl_b32 s0, s0, 23
	v_mov_b32_e32 v4, 0xff
	v_cvt_f64_f32_e32 v[2:3], s0
	v_cmp_ne_u16_sdwa vcc, s16, v4 src0_sel:BYTE_0 src1_sel:DWORD
	v_mov_b32_e32 v4, 0x7ff80000
	v_bfrev_b32_e32 v5, 4
	v_cndmask_b32_e32 v3, v4, v3, vcc
	v_mov_b32_e32 v4, 0
	v_cndmask_b32_e32 v2, v5, v2, vcc
	v_bfrev_b32_e32 v5, 28
	v_cmp_ne_u16_sdwa vcc, s16, v4 src0_sel:BYTE_0 src1_sel:DWORD
	v_cndmask_b32_e32 v3, v5, v3, vcc
	v_cndmask_b32_e32 v2, 0, v2, vcc
	global_store_dwordx2 v[0:1], v[2:3], off
	s_mov_b64 s[0:1], 0
.LBB151_953:
	s_andn2_b64 vcc, exec, s[0:1]
	s_cbranch_vccnz .LBB151_955
; %bb.954:
	s_and_b32 s0, s16, 0xff
	s_lshl_b32 s0, s0, 23
	v_mov_b32_e32 v2, 0xff
	v_mov_b32_e32 v3, 0x7f800001
	;; [unrolled: 1-line block ×3, first 2 shown]
	v_cmp_ne_u16_sdwa vcc, s16, v2 src0_sel:BYTE_0 src1_sel:DWORD
	v_cndmask_b32_e32 v2, v3, v4, vcc
	v_mov_b32_e32 v3, 0
	v_mov_b32_e32 v4, 0x400000
	v_cmp_ne_u16_sdwa vcc, s16, v3 src0_sel:BYTE_0 src1_sel:DWORD
	v_cndmask_b32_e32 v2, v4, v2, vcc
	global_store_dword v[0:1], v2, off
.LBB151_955:
	s_mov_b64 s[0:1], 0
.LBB151_956:
	s_andn2_b64 vcc, exec, s[0:1]
	s_cbranch_vccnz .LBB151_958
; %bb.957:
	s_and_b32 s0, s16, 0xff
	s_lshl_b32 s0, s0, 23
	v_cvt_f16_f32_e32 v2, s0
	v_mov_b32_e32 v3, 0xff
	v_mov_b32_e32 v4, 0x7e00
	v_cmp_ne_u16_sdwa vcc, s16, v3 src0_sel:BYTE_0 src1_sel:DWORD
	v_mov_b32_e32 v3, 0
	v_cndmask_b32_e32 v2, v4, v2, vcc
	v_cmp_ne_u16_sdwa vcc, s16, v3 src0_sel:BYTE_0 src1_sel:DWORD
	v_cndmask_b32_e32 v2, 0, v2, vcc
	global_store_short v[0:1], v2, off
.LBB151_958:
	s_mov_b64 s[0:1], 0
.LBB151_959:
	s_andn2_b64 vcc, exec, s[0:1]
	s_cbranch_vccnz .LBB151_975
; %bb.960:
	v_cmp_gt_i16_e32 vcc, 2, v8
	s_mov_b64 s[0:1], -1
	s_cbranch_vccnz .LBB151_970
; %bb.961:
	v_cmp_gt_i16_e32 vcc, 3, v8
	s_cbranch_vccnz .LBB151_967
; %bb.962:
	v_cmp_lt_i16_e32 vcc, 3, v8
	s_cbranch_vccz .LBB151_964
; %bb.963:
	s_and_b32 s0, s16, 0xff
	s_lshl_b32 s0, s0, 23
	v_trunc_f32_e32 v2, s0
	s_mov_b32 s0, 0x2f800000
	v_mul_f32_e64 v3, |v2|, s0
	v_floor_f32_e32 v3, v3
	s_mov_b32 s0, 0xcf800000
	v_fma_f32 v4, v3, s0, |v2|
	v_cvt_u32_f32_e32 v4, v4
	v_cvt_u32_f32_e32 v3, v3
	v_ashrrev_i32_e32 v2, 31, v2
	s_mov_b64 s[0:1], 0
	v_xor_b32_e32 v4, v4, v2
	v_xor_b32_e32 v3, v3, v2
	v_sub_co_u32_e32 v4, vcc, v4, v2
	v_subb_co_u32_e32 v2, vcc, v3, v2, vcc
	v_mov_b32_e32 v3, 0
	v_cmp_ne_u16_sdwa vcc, s16, v3 src0_sel:BYTE_0 src1_sel:DWORD
	v_cndmask_b32_e32 v3, 0, v2, vcc
	v_cndmask_b32_e32 v2, 0, v4, vcc
	global_store_dwordx2 v[0:1], v[2:3], off
.LBB151_964:
	s_andn2_b64 vcc, exec, s[0:1]
	s_cbranch_vccnz .LBB151_966
; %bb.965:
	s_and_b32 s0, s16, 0xff
	s_lshl_b32 s0, s0, 23
	v_cvt_i32_f32_e32 v2, s0
	v_mov_b32_e32 v3, 0
	v_cmp_ne_u16_sdwa vcc, s16, v3 src0_sel:BYTE_0 src1_sel:DWORD
	v_cndmask_b32_e32 v2, 0, v2, vcc
	global_store_dword v[0:1], v2, off
.LBB151_966:
	s_mov_b64 s[0:1], 0
.LBB151_967:
	s_andn2_b64 vcc, exec, s[0:1]
	s_cbranch_vccnz .LBB151_969
; %bb.968:
	s_and_b32 s0, s16, 0xff
	s_lshl_b32 s0, s0, 23
	v_cvt_i32_f32_e32 v2, s0
	v_mov_b32_e32 v3, 0
	v_cmp_ne_u16_sdwa vcc, s16, v3 src0_sel:BYTE_0 src1_sel:DWORD
	v_cndmask_b32_e32 v2, 0, v2, vcc
	global_store_short v[0:1], v2, off
.LBB151_969:
	s_mov_b64 s[0:1], 0
.LBB151_970:
	s_andn2_b64 vcc, exec, s[0:1]
	s_cbranch_vccnz .LBB151_975
; %bb.971:
	v_cmp_lt_i16_e32 vcc, 0, v8
	s_mov_b64 s[0:1], -1
	s_cbranch_vccz .LBB151_973
; %bb.972:
	s_and_b32 s0, s16, 0xff
	s_lshl_b32 s0, s0, 23
	v_cvt_i32_f32_e32 v2, s0
	v_mov_b32_e32 v3, 0
	v_cmp_ne_u16_sdwa vcc, s16, v3 src0_sel:BYTE_0 src1_sel:DWORD
	s_mov_b64 s[0:1], 0
	v_cndmask_b32_e32 v2, 0, v2, vcc
	global_store_byte v[0:1], v2, off
.LBB151_973:
	s_andn2_b64 vcc, exec, s[0:1]
	s_cbranch_vccnz .LBB151_975
; %bb.974:
	s_and_b32 s0, s16, 0xff
	s_lshl_b32 s0, s0, 23
	v_trunc_f32_e32 v2, s0
	s_mov_b32 s0, 0x2f800000
	v_mul_f32_e64 v3, |v2|, s0
	v_floor_f32_e32 v3, v3
	s_mov_b32 s0, 0xcf800000
	v_fma_f32 v3, v3, s0, |v2|
	v_cvt_u32_f32_e32 v3, v3
	v_ashrrev_i32_e32 v2, 31, v2
	v_xor_b32_e32 v3, v3, v2
	v_sub_u32_e32 v2, v3, v2
	v_mov_b32_e32 v3, 0
	v_cmp_ne_u16_sdwa vcc, s16, v3 src0_sel:BYTE_0 src1_sel:DWORD
	v_cndmask_b32_e32 v2, 0, v2, vcc
	global_store_byte v[0:1], v2, off
	s_endpgm
.LBB151_975:
	s_endpgm
.LBB151_976:
	s_trap 2
	s_or_b64 s[4:5], s[4:5], exec
	s_cbranch_execz .LBB151_891
	s_branch .LBB151_892
.LBB151_977:
	s_mov_b64 s[8:9], -1
	s_mov_b64 s[0:1], 0
                                        ; implicit-def: $sgpr10
.LBB151_978:
	s_andn2_b64 vcc, exec, s[8:9]
	v_mov_b32_e32 v3, s10
                                        ; implicit-def: $sgpr8
	s_cbranch_vccnz .LBB151_980
; %bb.979:
	v_add_f32_e32 v2, 0x42800000, v2
	v_and_b32_e32 v3, 0xff, v2
	s_mov_b32 s8, 0
	v_cmp_ne_u32_e64 s[0:1], 0, v3
.LBB151_980:
	s_andn2_b64 vcc, exec, s[0:1]
	v_mov_b32_e32 v4, s8
	s_cbranch_vccnz .LBB151_982
; %bb.981:
	v_mov_b32_e32 v4, v3
.LBB151_982:
	s_mov_b64 s[0:1], 0
	global_store_byte v[0:1], v4, off
.LBB151_983:
	s_and_b64 vcc, exec, s[0:1]
	s_cbranch_vccz .LBB151_995
; %bb.984:
	s_and_b32 s0, s16, 0xff
	v_mov_b32_e32 v3, 0xff
	s_lshl_b32 s10, s0, 23
	v_mov_b32_e32 v2, 0
	v_mov_b32_e32 v4, s10
	;; [unrolled: 1-line block ×3, first 2 shown]
	v_cmp_eq_u16_sdwa s[8:9], s16, v3 src0_sel:BYTE_0 src1_sel:DWORD
	v_cndmask_b32_e64 v3, |v4|, v5, s[8:9]
	v_mov_b32_e32 v4, 0x400000
	v_cmp_eq_u16_sdwa s[0:1], s16, v2 src0_sel:BYTE_0 src1_sel:DWORD
	v_cndmask_b32_e64 v2, v3, v4, s[0:1]
	s_mov_b32 s11, 0x43f00000
	v_cmp_gt_u32_e32 vcc, s11, v2
	s_cbranch_vccz .LBB151_987
; %bb.985:
	s_mov_b32 s11, 0x3c7fffff
	v_cmp_lt_u32_e32 vcc, s11, v2
	s_cbranch_vccz .LBB151_988
; %bb.986:
	s_add_i32 s10, s10, 0x407ffff
	s_lshr_b32 s10, s10, 20
	s_and_b64 s[8:9], s[8:9], exec
	s_cselect_b32 s8, 0x838, s10
	s_and_b64 s[0:1], s[0:1], exec
	s_cselect_b32 s8, 0x44, s8
	s_mov_b64 s[0:1], 0
	s_branch .LBB151_989
.LBB151_987:
	s_mov_b64 s[0:1], -1
                                        ; implicit-def: $vgpr3
	s_branch .LBB151_992
.LBB151_988:
	s_mov_b64 s[0:1], -1
                                        ; implicit-def: $sgpr8
.LBB151_989:
	s_andn2_b64 vcc, exec, s[0:1]
	v_mov_b32_e32 v3, s8
	s_cbranch_vccnz .LBB151_991
; %bb.990:
	v_add_f32_e32 v3, 0x46800000, v2
.LBB151_991:
	s_mov_b64 s[0:1], 0
.LBB151_992:
	s_andn2_b64 vcc, exec, s[0:1]
	s_cbranch_vccnz .LBB151_994
; %bb.993:
	s_mov_b32 s0, 0x7f800000
	v_mov_b32_e32 v3, 0x7e
	v_mov_b32_e32 v4, 0x7f
	v_cmp_lt_u32_e32 vcc, s0, v2
	v_cndmask_b32_e32 v3, v3, v4, vcc
.LBB151_994:
	global_store_byte v[0:1], v3, off
.LBB151_995:
	s_mov_b64 s[0:1], 0
.LBB151_996:
	s_andn2_b64 vcc, exec, s[0:1]
	s_cbranch_vccnz .LBB151_1008
; %bb.997:
	s_and_b32 s0, s16, 0xff
	v_mov_b32_e32 v3, 0xff
	s_lshl_b32 s10, s0, 23
	v_mov_b32_e32 v2, 0
	v_mov_b32_e32 v4, s10
	;; [unrolled: 1-line block ×3, first 2 shown]
	v_cmp_eq_u16_sdwa s[8:9], s16, v3 src0_sel:BYTE_0 src1_sel:DWORD
	v_cndmask_b32_e64 v3, |v4|, v5, s[8:9]
	v_mov_b32_e32 v4, 0x400000
	v_cmp_eq_u16_sdwa s[0:1], s16, v2 src0_sel:BYTE_0 src1_sel:DWORD
	v_cndmask_b32_e64 v2, v3, v4, s[0:1]
	s_mov_b32 s11, 0x47800000
	v_cmp_gt_u32_e32 vcc, s11, v2
	s_cbranch_vccz .LBB151_1000
; %bb.998:
	s_mov_b32 s11, 0x387fffff
	v_cmp_lt_u32_e32 vcc, s11, v2
	s_cbranch_vccz .LBB151_1001
; %bb.999:
	s_add_i32 s10, s10, 0x80fffff
	s_lshr_b32 s10, s10, 21
	s_and_b64 s[8:9], s[8:9], exec
	s_cselect_b32 s8, 0x43c, s10
	s_and_b64 s[0:1], s[0:1], exec
	s_cselect_b32 s8, 0x42, s8
	s_mov_b64 s[0:1], 0
	s_branch .LBB151_1002
.LBB151_1000:
	s_mov_b64 s[0:1], -1
                                        ; implicit-def: $vgpr3
	s_branch .LBB151_1005
.LBB151_1001:
	s_mov_b64 s[0:1], -1
                                        ; implicit-def: $sgpr8
.LBB151_1002:
	s_andn2_b64 vcc, exec, s[0:1]
	v_mov_b32_e32 v3, s8
	s_cbranch_vccnz .LBB151_1004
; %bb.1003:
	v_add_f32_e32 v3, 0x43000000, v2
.LBB151_1004:
	s_mov_b64 s[0:1], 0
.LBB151_1005:
	s_andn2_b64 vcc, exec, s[0:1]
	s_cbranch_vccnz .LBB151_1007
; %bb.1006:
	s_mov_b32 s0, 0x7f800000
	v_mov_b32_e32 v3, 0x7c
	v_mov_b32_e32 v4, 0x7f
	v_cmp_lt_u32_e32 vcc, s0, v2
	v_cndmask_b32_e32 v3, v3, v4, vcc
.LBB151_1007:
	global_store_byte v[0:1], v3, off
.LBB151_1008:
	s_mov_b64 s[0:1], 0
.LBB151_1009:
	s_andn2_b64 vcc, exec, s[0:1]
	s_mov_b64 s[8:9], 0
	s_cbranch_vccnz .LBB151_1016
; %bb.1010:
	v_cmp_lt_i16_e32 vcc, 14, v8
	s_mov_b64 s[0:1], -1
	s_cbranch_vccz .LBB151_1014
; %bb.1011:
	v_cmp_eq_u16_e32 vcc, 15, v8
	s_mov_b64 s[2:3], -1
	s_cbranch_vccz .LBB151_1013
; %bb.1012:
	s_and_b32 s0, s16, 0xff
	s_lshl_b32 s0, s0, 23
	v_mov_b32_e32 v2, 0xff
	v_mov_b32_e32 v3, 0x7f800001
	;; [unrolled: 1-line block ×3, first 2 shown]
	v_cmp_ne_u16_sdwa vcc, s16, v2 src0_sel:BYTE_0 src1_sel:DWORD
	v_cndmask_b32_e32 v2, v3, v4, vcc
	v_mov_b32_e32 v3, 0
	v_mov_b32_e32 v4, 0x400000
	v_cmp_ne_u16_sdwa vcc, s16, v3 src0_sel:BYTE_0 src1_sel:DWORD
	v_cndmask_b32_e32 v2, v4, v2, vcc
	v_add_u32_e32 v3, 0x7fff, v2
	v_lshrrev_b32_e32 v3, 16, v3
	v_mov_b32_e32 v4, 0x7fc0
	v_cmp_o_f32_e32 vcc, v2, v2
	v_cndmask_b32_e32 v2, v4, v3, vcc
	global_store_short v[0:1], v2, off
	s_mov_b64 s[2:3], 0
.LBB151_1013:
	s_mov_b64 s[0:1], 0
.LBB151_1014:
	s_and_b64 vcc, exec, s[0:1]
	s_cbranch_vccz .LBB151_1016
; %bb.1015:
	v_cmp_ne_u16_e64 s[2:3], 11, v8
	s_mov_b64 s[8:9], -1
.LBB151_1016:
	s_and_b64 vcc, exec, s[2:3]
	s_cbranch_vccnz .LBB151_1018
.LBB151_1017:
	s_mov_b64 s[0:1], 0
	s_branch .LBB151_932
.LBB151_1018:
	s_mov_b64 s[8:9], 0
	s_or_b64 s[4:5], s[4:5], exec
	s_trap 2
	s_branch .LBB151_1017
	.section	.rodata,"a",@progbits
	.p2align	6, 0x0
	.amdhsa_kernel _ZN2at6native32elementwise_kernel_manual_unrollILi128ELi4EZNS0_15gpu_kernel_implINS0_11FillFunctorIN3c1014Float8_e8m0fnuEEEEEvRNS_18TensorIteratorBaseERKT_EUlibE0_EEviT1_
		.amdhsa_group_segment_fixed_size 0
		.amdhsa_private_segment_fixed_size 0
		.amdhsa_kernarg_size 288
		.amdhsa_user_sgpr_count 6
		.amdhsa_user_sgpr_private_segment_buffer 1
		.amdhsa_user_sgpr_dispatch_ptr 0
		.amdhsa_user_sgpr_queue_ptr 0
		.amdhsa_user_sgpr_kernarg_segment_ptr 1
		.amdhsa_user_sgpr_dispatch_id 0
		.amdhsa_user_sgpr_flat_scratch_init 0
		.amdhsa_user_sgpr_kernarg_preload_length 0
		.amdhsa_user_sgpr_kernarg_preload_offset 0
		.amdhsa_user_sgpr_private_segment_size 0
		.amdhsa_uses_dynamic_stack 0
		.amdhsa_system_sgpr_private_segment_wavefront_offset 0
		.amdhsa_system_sgpr_workgroup_id_x 1
		.amdhsa_system_sgpr_workgroup_id_y 0
		.amdhsa_system_sgpr_workgroup_id_z 0
		.amdhsa_system_sgpr_workgroup_info 0
		.amdhsa_system_vgpr_workitem_id 0
		.amdhsa_next_free_vgpr 27
		.amdhsa_next_free_sgpr 88
		.amdhsa_accum_offset 28
		.amdhsa_reserve_vcc 1
		.amdhsa_reserve_flat_scratch 0
		.amdhsa_float_round_mode_32 0
		.amdhsa_float_round_mode_16_64 0
		.amdhsa_float_denorm_mode_32 3
		.amdhsa_float_denorm_mode_16_64 3
		.amdhsa_dx10_clamp 1
		.amdhsa_ieee_mode 1
		.amdhsa_fp16_overflow 0
		.amdhsa_tg_split 0
		.amdhsa_exception_fp_ieee_invalid_op 0
		.amdhsa_exception_fp_denorm_src 0
		.amdhsa_exception_fp_ieee_div_zero 0
		.amdhsa_exception_fp_ieee_overflow 0
		.amdhsa_exception_fp_ieee_underflow 0
		.amdhsa_exception_fp_ieee_inexact 0
		.amdhsa_exception_int_div_zero 0
	.end_amdhsa_kernel
	.section	.text._ZN2at6native32elementwise_kernel_manual_unrollILi128ELi4EZNS0_15gpu_kernel_implINS0_11FillFunctorIN3c1014Float8_e8m0fnuEEEEEvRNS_18TensorIteratorBaseERKT_EUlibE0_EEviT1_,"axG",@progbits,_ZN2at6native32elementwise_kernel_manual_unrollILi128ELi4EZNS0_15gpu_kernel_implINS0_11FillFunctorIN3c1014Float8_e8m0fnuEEEEEvRNS_18TensorIteratorBaseERKT_EUlibE0_EEviT1_,comdat
.Lfunc_end151:
	.size	_ZN2at6native32elementwise_kernel_manual_unrollILi128ELi4EZNS0_15gpu_kernel_implINS0_11FillFunctorIN3c1014Float8_e8m0fnuEEEEEvRNS_18TensorIteratorBaseERKT_EUlibE0_EEviT1_, .Lfunc_end151-_ZN2at6native32elementwise_kernel_manual_unrollILi128ELi4EZNS0_15gpu_kernel_implINS0_11FillFunctorIN3c1014Float8_e8m0fnuEEEEEvRNS_18TensorIteratorBaseERKT_EUlibE0_EEviT1_
                                        ; -- End function
	.section	.AMDGPU.csdata,"",@progbits
; Kernel info:
; codeLenInByte = 20836
; NumSgprs: 92
; NumVgprs: 27
; NumAgprs: 0
; TotalNumVgprs: 27
; ScratchSize: 0
; MemoryBound: 0
; FloatMode: 240
; IeeeMode: 1
; LDSByteSize: 0 bytes/workgroup (compile time only)
; SGPRBlocks: 11
; VGPRBlocks: 3
; NumSGPRsForWavesPerEU: 92
; NumVGPRsForWavesPerEU: 27
; AccumOffset: 28
; Occupancy: 8
; WaveLimiterHint : 1
; COMPUTE_PGM_RSRC2:SCRATCH_EN: 0
; COMPUTE_PGM_RSRC2:USER_SGPR: 6
; COMPUTE_PGM_RSRC2:TRAP_HANDLER: 0
; COMPUTE_PGM_RSRC2:TGID_X_EN: 1
; COMPUTE_PGM_RSRC2:TGID_Y_EN: 0
; COMPUTE_PGM_RSRC2:TGID_Z_EN: 0
; COMPUTE_PGM_RSRC2:TIDIG_COMP_CNT: 0
; COMPUTE_PGM_RSRC3_GFX90A:ACCUM_OFFSET: 6
; COMPUTE_PGM_RSRC3_GFX90A:TG_SPLIT: 0
	.section	.text._ZN2at6native29vectorized_elementwise_kernelILi16ENS0_11FillFunctorItEESt5arrayIPcLm1EEEEviT0_T1_,"axG",@progbits,_ZN2at6native29vectorized_elementwise_kernelILi16ENS0_11FillFunctorItEESt5arrayIPcLm1EEEEviT0_T1_,comdat
	.protected	_ZN2at6native29vectorized_elementwise_kernelILi16ENS0_11FillFunctorItEESt5arrayIPcLm1EEEEviT0_T1_ ; -- Begin function _ZN2at6native29vectorized_elementwise_kernelILi16ENS0_11FillFunctorItEESt5arrayIPcLm1EEEEviT0_T1_
	.globl	_ZN2at6native29vectorized_elementwise_kernelILi16ENS0_11FillFunctorItEESt5arrayIPcLm1EEEEviT0_T1_
	.p2align	8
	.type	_ZN2at6native29vectorized_elementwise_kernelILi16ENS0_11FillFunctorItEESt5arrayIPcLm1EEEEviT0_T1_,@function
_ZN2at6native29vectorized_elementwise_kernelILi16ENS0_11FillFunctorItEESt5arrayIPcLm1EEEEviT0_T1_: ; @_ZN2at6native29vectorized_elementwise_kernelILi16ENS0_11FillFunctorItEESt5arrayIPcLm1EEEEviT0_T1_
; %bb.0:
	s_load_dwordx4 s[8:11], s[4:5], 0x0
	s_lshl_b32 s2, s6, 11
	s_mov_b64 s[0:1], -1
	s_waitcnt lgkmcnt(0)
	s_sub_i32 s4, s8, s2
	s_cmpk_gt_i32 s4, 0x7ff
	s_pack_ll_b32_b16 s5, s9, s9
	s_cbranch_scc0 .LBB152_2
; %bb.1:
	s_ashr_i32 s3, s2, 31
	s_lshl_b64 s[0:1], s[2:3], 1
	s_add_u32 s0, s10, s0
	s_addc_u32 s1, s11, s1
	v_lshlrev_b32_e32 v1, 4, v0
	v_mov_b32_e32 v2, s5
	v_mov_b32_e32 v3, s5
	;; [unrolled: 1-line block ×4, first 2 shown]
	global_store_dwordx4 v1, v[2:5], s[0:1]
	s_mov_b64 s[0:1], 0
.LBB152_2:
	s_andn2_b64 vcc, exec, s[0:1]
	s_cbranch_vccnz .LBB152_12
; %bb.3:
	v_or_b32_e32 v5, 0x100, v0
	v_mov_b32_e32 v1, s9
	v_mov_b32_e32 v6, s5
	v_cmp_gt_i32_e64 s[0:1], s4, v5
	v_cndmask_b32_e64 v4, v1, v6, s[0:1]
	v_or_b32_e32 v2, 0x300, v0
	s_and_b32 s0, 0xffff, s9
	v_mov_b32_e32 v7, s0
	v_cmp_gt_i32_e64 s[0:1], s4, v2
	v_or_b32_e32 v2, 0x500, v0
	v_cndmask_b32_e64 v3, v7, v6, s[0:1]
	v_cmp_gt_i32_e64 s[0:1], s4, v2
	v_cndmask_b32_e64 v2, v1, v6, s[0:1]
	v_or_b32_e32 v1, 0x700, v0
	v_cmp_gt_i32_e64 s[0:1], s4, v1
	v_cmp_gt_i32_e32 vcc, s4, v0
	v_cndmask_b32_e64 v1, v7, v6, s[0:1]
	s_and_saveexec_b64 s[0:1], vcc
	s_cbranch_execnz .LBB152_13
; %bb.4:
	s_or_b64 exec, exec, s[0:1]
	v_cmp_gt_i32_e32 vcc, s4, v0
	s_and_saveexec_b64 s[0:1], vcc
	s_cbranch_execnz .LBB152_14
.LBB152_5:
	s_or_b64 exec, exec, s[0:1]
	v_cmp_gt_i32_e32 vcc, s4, v0
	s_and_saveexec_b64 s[0:1], vcc
	s_cbranch_execnz .LBB152_15
.LBB152_6:
	s_or_b64 exec, exec, s[0:1]
	v_cmp_gt_i32_e32 vcc, s4, v0
	s_and_saveexec_b64 s[0:1], vcc
	s_cbranch_execnz .LBB152_16
.LBB152_7:
	s_or_b64 exec, exec, s[0:1]
	v_cmp_gt_i32_e32 vcc, s4, v0
	s_and_saveexec_b64 s[0:1], vcc
	s_cbranch_execnz .LBB152_17
.LBB152_8:
	s_or_b64 exec, exec, s[0:1]
	v_cmp_gt_i32_e32 vcc, s4, v0
	s_and_saveexec_b64 s[0:1], vcc
	s_cbranch_execnz .LBB152_18
.LBB152_9:
	s_or_b64 exec, exec, s[0:1]
	v_cmp_gt_i32_e32 vcc, s4, v0
	s_and_saveexec_b64 s[0:1], vcc
	s_cbranch_execnz .LBB152_19
.LBB152_10:
	s_or_b64 exec, exec, s[0:1]
	v_cmp_gt_i32_e32 vcc, s4, v0
	s_and_saveexec_b64 s[0:1], vcc
	s_cbranch_execz .LBB152_12
.LBB152_11:
	v_add_u32_e32 v2, s2, v0
	v_mov_b32_e32 v3, 0
	v_lshlrev_b64 v[2:3], 1, v[2:3]
	v_mov_b32_e32 v0, s11
	v_add_co_u32_e32 v2, vcc, s10, v2
	v_addc_co_u32_e32 v3, vcc, v0, v3, vcc
	global_store_short_d16_hi v[2:3], v1, off
.LBB152_12:
	s_endpgm
.LBB152_13:
	v_or_b32_e32 v6, s2, v0
	v_mov_b32_e32 v7, 0
	v_lshlrev_b64 v[6:7], 1, v[6:7]
	v_mov_b32_e32 v0, s11
	v_add_co_u32_e32 v6, vcc, s10, v6
	v_addc_co_u32_e32 v7, vcc, v0, v7, vcc
	v_mov_b32_e32 v0, v5
	global_store_short v[6:7], v4, off
	s_or_b64 exec, exec, s[0:1]
	v_cmp_gt_i32_e32 vcc, s4, v0
	s_and_saveexec_b64 s[0:1], vcc
	s_cbranch_execz .LBB152_5
.LBB152_14:
	v_add_u32_e32 v6, s2, v0
	v_mov_b32_e32 v7, 0
	v_lshlrev_b64 v[6:7], 1, v[6:7]
	v_mov_b32_e32 v5, s11
	v_add_co_u32_e32 v6, vcc, s10, v6
	v_addc_co_u32_e32 v7, vcc, v5, v7, vcc
	v_add_u32_e32 v0, 0x100, v0
	global_store_short_d16_hi v[6:7], v4, off
	s_or_b64 exec, exec, s[0:1]
	v_cmp_gt_i32_e32 vcc, s4, v0
	s_and_saveexec_b64 s[0:1], vcc
	s_cbranch_execz .LBB152_6
.LBB152_15:
	v_add_u32_e32 v4, s2, v0
	v_mov_b32_e32 v5, 0
	v_lshlrev_b64 v[4:5], 1, v[4:5]
	v_mov_b32_e32 v6, s11
	v_add_co_u32_e32 v4, vcc, s10, v4
	v_addc_co_u32_e32 v5, vcc, v6, v5, vcc
	v_add_u32_e32 v0, 0x100, v0
	global_store_short v[4:5], v3, off
	s_or_b64 exec, exec, s[0:1]
	v_cmp_gt_i32_e32 vcc, s4, v0
	s_and_saveexec_b64 s[0:1], vcc
	s_cbranch_execz .LBB152_7
.LBB152_16:
	v_add_u32_e32 v4, s2, v0
	v_mov_b32_e32 v5, 0
	v_lshlrev_b64 v[4:5], 1, v[4:5]
	v_mov_b32_e32 v6, s11
	v_add_co_u32_e32 v4, vcc, s10, v4
	v_addc_co_u32_e32 v5, vcc, v6, v5, vcc
	v_add_u32_e32 v0, 0x100, v0
	global_store_short_d16_hi v[4:5], v3, off
	s_or_b64 exec, exec, s[0:1]
	v_cmp_gt_i32_e32 vcc, s4, v0
	s_and_saveexec_b64 s[0:1], vcc
	s_cbranch_execz .LBB152_8
.LBB152_17:
	v_add_u32_e32 v4, s2, v0
	v_mov_b32_e32 v5, 0
	v_lshlrev_b64 v[4:5], 1, v[4:5]
	v_mov_b32_e32 v3, s11
	v_add_co_u32_e32 v4, vcc, s10, v4
	v_addc_co_u32_e32 v5, vcc, v3, v5, vcc
	v_add_u32_e32 v0, 0x100, v0
	global_store_short v[4:5], v2, off
	s_or_b64 exec, exec, s[0:1]
	v_cmp_gt_i32_e32 vcc, s4, v0
	s_and_saveexec_b64 s[0:1], vcc
	s_cbranch_execz .LBB152_9
.LBB152_18:
	v_add_u32_e32 v4, s2, v0
	v_mov_b32_e32 v5, 0
	v_lshlrev_b64 v[4:5], 1, v[4:5]
	v_mov_b32_e32 v3, s11
	v_add_co_u32_e32 v4, vcc, s10, v4
	v_addc_co_u32_e32 v5, vcc, v3, v5, vcc
	v_add_u32_e32 v0, 0x100, v0
	global_store_short_d16_hi v[4:5], v2, off
	s_or_b64 exec, exec, s[0:1]
	v_cmp_gt_i32_e32 vcc, s4, v0
	s_and_saveexec_b64 s[0:1], vcc
	s_cbranch_execz .LBB152_10
.LBB152_19:
	v_add_u32_e32 v2, s2, v0
	v_mov_b32_e32 v3, 0
	v_lshlrev_b64 v[2:3], 1, v[2:3]
	v_mov_b32_e32 v4, s11
	v_add_co_u32_e32 v2, vcc, s10, v2
	v_addc_co_u32_e32 v3, vcc, v4, v3, vcc
	v_add_u32_e32 v0, 0x100, v0
	global_store_short v[2:3], v1, off
	s_or_b64 exec, exec, s[0:1]
	v_cmp_gt_i32_e32 vcc, s4, v0
	s_and_saveexec_b64 s[0:1], vcc
	s_cbranch_execnz .LBB152_11
	s_branch .LBB152_12
	.section	.rodata,"a",@progbits
	.p2align	6, 0x0
	.amdhsa_kernel _ZN2at6native29vectorized_elementwise_kernelILi16ENS0_11FillFunctorItEESt5arrayIPcLm1EEEEviT0_T1_
		.amdhsa_group_segment_fixed_size 0
		.amdhsa_private_segment_fixed_size 0
		.amdhsa_kernarg_size 16
		.amdhsa_user_sgpr_count 6
		.amdhsa_user_sgpr_private_segment_buffer 1
		.amdhsa_user_sgpr_dispatch_ptr 0
		.amdhsa_user_sgpr_queue_ptr 0
		.amdhsa_user_sgpr_kernarg_segment_ptr 1
		.amdhsa_user_sgpr_dispatch_id 0
		.amdhsa_user_sgpr_flat_scratch_init 0
		.amdhsa_user_sgpr_kernarg_preload_length 0
		.amdhsa_user_sgpr_kernarg_preload_offset 0
		.amdhsa_user_sgpr_private_segment_size 0
		.amdhsa_uses_dynamic_stack 0
		.amdhsa_system_sgpr_private_segment_wavefront_offset 0
		.amdhsa_system_sgpr_workgroup_id_x 1
		.amdhsa_system_sgpr_workgroup_id_y 0
		.amdhsa_system_sgpr_workgroup_id_z 0
		.amdhsa_system_sgpr_workgroup_info 0
		.amdhsa_system_vgpr_workitem_id 0
		.amdhsa_next_free_vgpr 8
		.amdhsa_next_free_sgpr 12
		.amdhsa_accum_offset 8
		.amdhsa_reserve_vcc 1
		.amdhsa_reserve_flat_scratch 0
		.amdhsa_float_round_mode_32 0
		.amdhsa_float_round_mode_16_64 0
		.amdhsa_float_denorm_mode_32 3
		.amdhsa_float_denorm_mode_16_64 3
		.amdhsa_dx10_clamp 1
		.amdhsa_ieee_mode 1
		.amdhsa_fp16_overflow 0
		.amdhsa_tg_split 0
		.amdhsa_exception_fp_ieee_invalid_op 0
		.amdhsa_exception_fp_denorm_src 0
		.amdhsa_exception_fp_ieee_div_zero 0
		.amdhsa_exception_fp_ieee_overflow 0
		.amdhsa_exception_fp_ieee_underflow 0
		.amdhsa_exception_fp_ieee_inexact 0
		.amdhsa_exception_int_div_zero 0
	.end_amdhsa_kernel
	.section	.text._ZN2at6native29vectorized_elementwise_kernelILi16ENS0_11FillFunctorItEESt5arrayIPcLm1EEEEviT0_T1_,"axG",@progbits,_ZN2at6native29vectorized_elementwise_kernelILi16ENS0_11FillFunctorItEESt5arrayIPcLm1EEEEviT0_T1_,comdat
.Lfunc_end152:
	.size	_ZN2at6native29vectorized_elementwise_kernelILi16ENS0_11FillFunctorItEESt5arrayIPcLm1EEEEviT0_T1_, .Lfunc_end152-_ZN2at6native29vectorized_elementwise_kernelILi16ENS0_11FillFunctorItEESt5arrayIPcLm1EEEEviT0_T1_
                                        ; -- End function
	.section	.AMDGPU.csdata,"",@progbits
; Kernel info:
; codeLenInByte = 792
; NumSgprs: 16
; NumVgprs: 8
; NumAgprs: 0
; TotalNumVgprs: 8
; ScratchSize: 0
; MemoryBound: 0
; FloatMode: 240
; IeeeMode: 1
; LDSByteSize: 0 bytes/workgroup (compile time only)
; SGPRBlocks: 1
; VGPRBlocks: 0
; NumSGPRsForWavesPerEU: 16
; NumVGPRsForWavesPerEU: 8
; AccumOffset: 8
; Occupancy: 8
; WaveLimiterHint : 0
; COMPUTE_PGM_RSRC2:SCRATCH_EN: 0
; COMPUTE_PGM_RSRC2:USER_SGPR: 6
; COMPUTE_PGM_RSRC2:TRAP_HANDLER: 0
; COMPUTE_PGM_RSRC2:TGID_X_EN: 1
; COMPUTE_PGM_RSRC2:TGID_Y_EN: 0
; COMPUTE_PGM_RSRC2:TGID_Z_EN: 0
; COMPUTE_PGM_RSRC2:TIDIG_COMP_CNT: 0
; COMPUTE_PGM_RSRC3_GFX90A:ACCUM_OFFSET: 1
; COMPUTE_PGM_RSRC3_GFX90A:TG_SPLIT: 0
	.section	.text._ZN2at6native29vectorized_elementwise_kernelILi8ENS0_11FillFunctorItEESt5arrayIPcLm1EEEEviT0_T1_,"axG",@progbits,_ZN2at6native29vectorized_elementwise_kernelILi8ENS0_11FillFunctorItEESt5arrayIPcLm1EEEEviT0_T1_,comdat
	.protected	_ZN2at6native29vectorized_elementwise_kernelILi8ENS0_11FillFunctorItEESt5arrayIPcLm1EEEEviT0_T1_ ; -- Begin function _ZN2at6native29vectorized_elementwise_kernelILi8ENS0_11FillFunctorItEESt5arrayIPcLm1EEEEviT0_T1_
	.globl	_ZN2at6native29vectorized_elementwise_kernelILi8ENS0_11FillFunctorItEESt5arrayIPcLm1EEEEviT0_T1_
	.p2align	8
	.type	_ZN2at6native29vectorized_elementwise_kernelILi8ENS0_11FillFunctorItEESt5arrayIPcLm1EEEEviT0_T1_,@function
_ZN2at6native29vectorized_elementwise_kernelILi8ENS0_11FillFunctorItEESt5arrayIPcLm1EEEEviT0_T1_: ; @_ZN2at6native29vectorized_elementwise_kernelILi8ENS0_11FillFunctorItEESt5arrayIPcLm1EEEEviT0_T1_
; %bb.0:
	s_load_dwordx4 s[8:11], s[4:5], 0x0
	s_lshl_b32 s2, s6, 11
	s_mov_b64 s[0:1], -1
	s_waitcnt lgkmcnt(0)
	s_sub_i32 s4, s8, s2
	s_cmpk_gt_i32 s4, 0x7ff
	s_pack_ll_b32_b16 s5, s9, s9
	s_cbranch_scc0 .LBB153_2
; %bb.1:
	s_ashr_i32 s3, s2, 31
	s_lshl_b64 s[0:1], s[2:3], 1
	s_add_u32 s0, s10, s0
	s_addc_u32 s1, s11, s1
	v_lshlrev_b32_e32 v1, 4, v0
	v_mov_b32_e32 v2, s5
	v_mov_b32_e32 v3, s5
	v_mov_b32_e32 v4, s5
	v_mov_b32_e32 v5, s5
	global_store_dwordx4 v1, v[2:5], s[0:1]
	s_mov_b64 s[0:1], 0
.LBB153_2:
	s_andn2_b64 vcc, exec, s[0:1]
	s_cbranch_vccnz .LBB153_12
; %bb.3:
	v_or_b32_e32 v5, 0x100, v0
	v_mov_b32_e32 v1, s9
	v_mov_b32_e32 v6, s5
	v_cmp_gt_i32_e64 s[0:1], s4, v5
	v_cndmask_b32_e64 v4, v1, v6, s[0:1]
	v_or_b32_e32 v2, 0x300, v0
	s_and_b32 s0, 0xffff, s9
	v_mov_b32_e32 v7, s0
	v_cmp_gt_i32_e64 s[0:1], s4, v2
	v_or_b32_e32 v2, 0x500, v0
	v_cndmask_b32_e64 v3, v7, v6, s[0:1]
	v_cmp_gt_i32_e64 s[0:1], s4, v2
	v_cndmask_b32_e64 v2, v1, v6, s[0:1]
	v_or_b32_e32 v1, 0x700, v0
	v_cmp_gt_i32_e64 s[0:1], s4, v1
	v_cmp_gt_i32_e32 vcc, s4, v0
	v_cndmask_b32_e64 v1, v7, v6, s[0:1]
	s_and_saveexec_b64 s[0:1], vcc
	s_cbranch_execnz .LBB153_13
; %bb.4:
	s_or_b64 exec, exec, s[0:1]
	v_cmp_gt_i32_e32 vcc, s4, v0
	s_and_saveexec_b64 s[0:1], vcc
	s_cbranch_execnz .LBB153_14
.LBB153_5:
	s_or_b64 exec, exec, s[0:1]
	v_cmp_gt_i32_e32 vcc, s4, v0
	s_and_saveexec_b64 s[0:1], vcc
	s_cbranch_execnz .LBB153_15
.LBB153_6:
	s_or_b64 exec, exec, s[0:1]
	v_cmp_gt_i32_e32 vcc, s4, v0
	s_and_saveexec_b64 s[0:1], vcc
	s_cbranch_execnz .LBB153_16
.LBB153_7:
	s_or_b64 exec, exec, s[0:1]
	v_cmp_gt_i32_e32 vcc, s4, v0
	s_and_saveexec_b64 s[0:1], vcc
	s_cbranch_execnz .LBB153_17
.LBB153_8:
	s_or_b64 exec, exec, s[0:1]
	v_cmp_gt_i32_e32 vcc, s4, v0
	s_and_saveexec_b64 s[0:1], vcc
	s_cbranch_execnz .LBB153_18
.LBB153_9:
	s_or_b64 exec, exec, s[0:1]
	v_cmp_gt_i32_e32 vcc, s4, v0
	s_and_saveexec_b64 s[0:1], vcc
	s_cbranch_execnz .LBB153_19
.LBB153_10:
	s_or_b64 exec, exec, s[0:1]
	v_cmp_gt_i32_e32 vcc, s4, v0
	s_and_saveexec_b64 s[0:1], vcc
	s_cbranch_execz .LBB153_12
.LBB153_11:
	v_add_u32_e32 v2, s2, v0
	v_mov_b32_e32 v3, 0
	v_lshlrev_b64 v[2:3], 1, v[2:3]
	v_mov_b32_e32 v0, s11
	v_add_co_u32_e32 v2, vcc, s10, v2
	v_addc_co_u32_e32 v3, vcc, v0, v3, vcc
	global_store_short_d16_hi v[2:3], v1, off
.LBB153_12:
	s_endpgm
.LBB153_13:
	v_or_b32_e32 v6, s2, v0
	v_mov_b32_e32 v7, 0
	v_lshlrev_b64 v[6:7], 1, v[6:7]
	v_mov_b32_e32 v0, s11
	v_add_co_u32_e32 v6, vcc, s10, v6
	v_addc_co_u32_e32 v7, vcc, v0, v7, vcc
	v_mov_b32_e32 v0, v5
	global_store_short v[6:7], v4, off
	s_or_b64 exec, exec, s[0:1]
	v_cmp_gt_i32_e32 vcc, s4, v0
	s_and_saveexec_b64 s[0:1], vcc
	s_cbranch_execz .LBB153_5
.LBB153_14:
	v_add_u32_e32 v6, s2, v0
	v_mov_b32_e32 v7, 0
	v_lshlrev_b64 v[6:7], 1, v[6:7]
	v_mov_b32_e32 v5, s11
	v_add_co_u32_e32 v6, vcc, s10, v6
	v_addc_co_u32_e32 v7, vcc, v5, v7, vcc
	v_add_u32_e32 v0, 0x100, v0
	global_store_short_d16_hi v[6:7], v4, off
	s_or_b64 exec, exec, s[0:1]
	v_cmp_gt_i32_e32 vcc, s4, v0
	s_and_saveexec_b64 s[0:1], vcc
	s_cbranch_execz .LBB153_6
.LBB153_15:
	v_add_u32_e32 v4, s2, v0
	v_mov_b32_e32 v5, 0
	v_lshlrev_b64 v[4:5], 1, v[4:5]
	v_mov_b32_e32 v6, s11
	v_add_co_u32_e32 v4, vcc, s10, v4
	v_addc_co_u32_e32 v5, vcc, v6, v5, vcc
	v_add_u32_e32 v0, 0x100, v0
	global_store_short v[4:5], v3, off
	s_or_b64 exec, exec, s[0:1]
	v_cmp_gt_i32_e32 vcc, s4, v0
	s_and_saveexec_b64 s[0:1], vcc
	s_cbranch_execz .LBB153_7
.LBB153_16:
	v_add_u32_e32 v4, s2, v0
	v_mov_b32_e32 v5, 0
	v_lshlrev_b64 v[4:5], 1, v[4:5]
	v_mov_b32_e32 v6, s11
	v_add_co_u32_e32 v4, vcc, s10, v4
	v_addc_co_u32_e32 v5, vcc, v6, v5, vcc
	v_add_u32_e32 v0, 0x100, v0
	global_store_short_d16_hi v[4:5], v3, off
	s_or_b64 exec, exec, s[0:1]
	v_cmp_gt_i32_e32 vcc, s4, v0
	s_and_saveexec_b64 s[0:1], vcc
	s_cbranch_execz .LBB153_8
.LBB153_17:
	v_add_u32_e32 v4, s2, v0
	v_mov_b32_e32 v5, 0
	v_lshlrev_b64 v[4:5], 1, v[4:5]
	v_mov_b32_e32 v3, s11
	v_add_co_u32_e32 v4, vcc, s10, v4
	v_addc_co_u32_e32 v5, vcc, v3, v5, vcc
	v_add_u32_e32 v0, 0x100, v0
	global_store_short v[4:5], v2, off
	s_or_b64 exec, exec, s[0:1]
	v_cmp_gt_i32_e32 vcc, s4, v0
	s_and_saveexec_b64 s[0:1], vcc
	s_cbranch_execz .LBB153_9
.LBB153_18:
	v_add_u32_e32 v4, s2, v0
	v_mov_b32_e32 v5, 0
	v_lshlrev_b64 v[4:5], 1, v[4:5]
	v_mov_b32_e32 v3, s11
	v_add_co_u32_e32 v4, vcc, s10, v4
	v_addc_co_u32_e32 v5, vcc, v3, v5, vcc
	v_add_u32_e32 v0, 0x100, v0
	global_store_short_d16_hi v[4:5], v2, off
	s_or_b64 exec, exec, s[0:1]
	v_cmp_gt_i32_e32 vcc, s4, v0
	s_and_saveexec_b64 s[0:1], vcc
	s_cbranch_execz .LBB153_10
.LBB153_19:
	v_add_u32_e32 v2, s2, v0
	v_mov_b32_e32 v3, 0
	v_lshlrev_b64 v[2:3], 1, v[2:3]
	v_mov_b32_e32 v4, s11
	v_add_co_u32_e32 v2, vcc, s10, v2
	v_addc_co_u32_e32 v3, vcc, v4, v3, vcc
	v_add_u32_e32 v0, 0x100, v0
	global_store_short v[2:3], v1, off
	s_or_b64 exec, exec, s[0:1]
	v_cmp_gt_i32_e32 vcc, s4, v0
	s_and_saveexec_b64 s[0:1], vcc
	s_cbranch_execnz .LBB153_11
	s_branch .LBB153_12
	.section	.rodata,"a",@progbits
	.p2align	6, 0x0
	.amdhsa_kernel _ZN2at6native29vectorized_elementwise_kernelILi8ENS0_11FillFunctorItEESt5arrayIPcLm1EEEEviT0_T1_
		.amdhsa_group_segment_fixed_size 0
		.amdhsa_private_segment_fixed_size 0
		.amdhsa_kernarg_size 16
		.amdhsa_user_sgpr_count 6
		.amdhsa_user_sgpr_private_segment_buffer 1
		.amdhsa_user_sgpr_dispatch_ptr 0
		.amdhsa_user_sgpr_queue_ptr 0
		.amdhsa_user_sgpr_kernarg_segment_ptr 1
		.amdhsa_user_sgpr_dispatch_id 0
		.amdhsa_user_sgpr_flat_scratch_init 0
		.amdhsa_user_sgpr_kernarg_preload_length 0
		.amdhsa_user_sgpr_kernarg_preload_offset 0
		.amdhsa_user_sgpr_private_segment_size 0
		.amdhsa_uses_dynamic_stack 0
		.amdhsa_system_sgpr_private_segment_wavefront_offset 0
		.amdhsa_system_sgpr_workgroup_id_x 1
		.amdhsa_system_sgpr_workgroup_id_y 0
		.amdhsa_system_sgpr_workgroup_id_z 0
		.amdhsa_system_sgpr_workgroup_info 0
		.amdhsa_system_vgpr_workitem_id 0
		.amdhsa_next_free_vgpr 8
		.amdhsa_next_free_sgpr 12
		.amdhsa_accum_offset 8
		.amdhsa_reserve_vcc 1
		.amdhsa_reserve_flat_scratch 0
		.amdhsa_float_round_mode_32 0
		.amdhsa_float_round_mode_16_64 0
		.amdhsa_float_denorm_mode_32 3
		.amdhsa_float_denorm_mode_16_64 3
		.amdhsa_dx10_clamp 1
		.amdhsa_ieee_mode 1
		.amdhsa_fp16_overflow 0
		.amdhsa_tg_split 0
		.amdhsa_exception_fp_ieee_invalid_op 0
		.amdhsa_exception_fp_denorm_src 0
		.amdhsa_exception_fp_ieee_div_zero 0
		.amdhsa_exception_fp_ieee_overflow 0
		.amdhsa_exception_fp_ieee_underflow 0
		.amdhsa_exception_fp_ieee_inexact 0
		.amdhsa_exception_int_div_zero 0
	.end_amdhsa_kernel
	.section	.text._ZN2at6native29vectorized_elementwise_kernelILi8ENS0_11FillFunctorItEESt5arrayIPcLm1EEEEviT0_T1_,"axG",@progbits,_ZN2at6native29vectorized_elementwise_kernelILi8ENS0_11FillFunctorItEESt5arrayIPcLm1EEEEviT0_T1_,comdat
.Lfunc_end153:
	.size	_ZN2at6native29vectorized_elementwise_kernelILi8ENS0_11FillFunctorItEESt5arrayIPcLm1EEEEviT0_T1_, .Lfunc_end153-_ZN2at6native29vectorized_elementwise_kernelILi8ENS0_11FillFunctorItEESt5arrayIPcLm1EEEEviT0_T1_
                                        ; -- End function
	.section	.AMDGPU.csdata,"",@progbits
; Kernel info:
; codeLenInByte = 792
; NumSgprs: 16
; NumVgprs: 8
; NumAgprs: 0
; TotalNumVgprs: 8
; ScratchSize: 0
; MemoryBound: 0
; FloatMode: 240
; IeeeMode: 1
; LDSByteSize: 0 bytes/workgroup (compile time only)
; SGPRBlocks: 1
; VGPRBlocks: 0
; NumSGPRsForWavesPerEU: 16
; NumVGPRsForWavesPerEU: 8
; AccumOffset: 8
; Occupancy: 8
; WaveLimiterHint : 0
; COMPUTE_PGM_RSRC2:SCRATCH_EN: 0
; COMPUTE_PGM_RSRC2:USER_SGPR: 6
; COMPUTE_PGM_RSRC2:TRAP_HANDLER: 0
; COMPUTE_PGM_RSRC2:TGID_X_EN: 1
; COMPUTE_PGM_RSRC2:TGID_Y_EN: 0
; COMPUTE_PGM_RSRC2:TGID_Z_EN: 0
; COMPUTE_PGM_RSRC2:TIDIG_COMP_CNT: 0
; COMPUTE_PGM_RSRC3_GFX90A:ACCUM_OFFSET: 1
; COMPUTE_PGM_RSRC3_GFX90A:TG_SPLIT: 0
	.section	.text._ZN2at6native29vectorized_elementwise_kernelILi4ENS0_11FillFunctorItEESt5arrayIPcLm1EEEEviT0_T1_,"axG",@progbits,_ZN2at6native29vectorized_elementwise_kernelILi4ENS0_11FillFunctorItEESt5arrayIPcLm1EEEEviT0_T1_,comdat
	.protected	_ZN2at6native29vectorized_elementwise_kernelILi4ENS0_11FillFunctorItEESt5arrayIPcLm1EEEEviT0_T1_ ; -- Begin function _ZN2at6native29vectorized_elementwise_kernelILi4ENS0_11FillFunctorItEESt5arrayIPcLm1EEEEviT0_T1_
	.globl	_ZN2at6native29vectorized_elementwise_kernelILi4ENS0_11FillFunctorItEESt5arrayIPcLm1EEEEviT0_T1_
	.p2align	8
	.type	_ZN2at6native29vectorized_elementwise_kernelILi4ENS0_11FillFunctorItEESt5arrayIPcLm1EEEEviT0_T1_,@function
_ZN2at6native29vectorized_elementwise_kernelILi4ENS0_11FillFunctorItEESt5arrayIPcLm1EEEEviT0_T1_: ; @_ZN2at6native29vectorized_elementwise_kernelILi4ENS0_11FillFunctorItEESt5arrayIPcLm1EEEEviT0_T1_
; %bb.0:
	s_load_dwordx4 s[8:11], s[4:5], 0x0
	s_lshl_b32 s2, s6, 11
	s_mov_b64 s[0:1], -1
	s_waitcnt lgkmcnt(0)
	s_sub_i32 s4, s8, s2
	s_cmpk_gt_i32 s4, 0x7ff
	s_cbranch_scc0 .LBB154_2
; %bb.1:
	s_ashr_i32 s3, s2, 31
	s_lshl_b64 s[0:1], s[2:3], 1
	s_add_u32 s0, s10, s0
	s_addc_u32 s1, s11, s1
	s_and_b32 s3, 0xffff, s9
	s_mul_i32 s6, s3, 0x10001
	s_mov_b32 s7, s6
	v_lshlrev_b32_e32 v1, 3, v0
	v_pk_mov_b32 v[2:3], s[6:7], s[6:7] op_sel:[0,1]
	global_store_dwordx2 v1, v[2:3], s[0:1]
	global_store_dwordx2 v1, v[2:3], s[0:1] offset:2048
	s_mov_b64 s[0:1], 0
.LBB154_2:
	s_andn2_b64 vcc, exec, s[0:1]
	s_cbranch_vccnz .LBB154_12
; %bb.3:
	v_or_b32_e32 v5, 0x100, v0
	s_pack_ll_b32_b16 s0, s9, s9
	v_mov_b32_e32 v1, s9
	v_mov_b32_e32 v6, s0
	v_cmp_gt_i32_e64 s[0:1], s4, v5
	v_cndmask_b32_e64 v4, v1, v6, s[0:1]
	v_or_b32_e32 v2, 0x300, v0
	s_and_b32 s0, 0xffff, s9
	v_mov_b32_e32 v7, s0
	v_cmp_gt_i32_e64 s[0:1], s4, v2
	v_or_b32_e32 v2, 0x500, v0
	v_cndmask_b32_e64 v3, v7, v6, s[0:1]
	v_cmp_gt_i32_e64 s[0:1], s4, v2
	v_cndmask_b32_e64 v2, v1, v6, s[0:1]
	v_or_b32_e32 v1, 0x700, v0
	v_cmp_gt_i32_e64 s[0:1], s4, v1
	v_cmp_gt_i32_e32 vcc, s4, v0
	v_cndmask_b32_e64 v1, v7, v6, s[0:1]
	s_and_saveexec_b64 s[0:1], vcc
	s_cbranch_execnz .LBB154_13
; %bb.4:
	s_or_b64 exec, exec, s[0:1]
	v_cmp_gt_i32_e32 vcc, s4, v0
	s_and_saveexec_b64 s[0:1], vcc
	s_cbranch_execnz .LBB154_14
.LBB154_5:
	s_or_b64 exec, exec, s[0:1]
	v_cmp_gt_i32_e32 vcc, s4, v0
	s_and_saveexec_b64 s[0:1], vcc
	s_cbranch_execnz .LBB154_15
.LBB154_6:
	s_or_b64 exec, exec, s[0:1]
	v_cmp_gt_i32_e32 vcc, s4, v0
	s_and_saveexec_b64 s[0:1], vcc
	s_cbranch_execnz .LBB154_16
.LBB154_7:
	s_or_b64 exec, exec, s[0:1]
	v_cmp_gt_i32_e32 vcc, s4, v0
	s_and_saveexec_b64 s[0:1], vcc
	s_cbranch_execnz .LBB154_17
.LBB154_8:
	s_or_b64 exec, exec, s[0:1]
	v_cmp_gt_i32_e32 vcc, s4, v0
	s_and_saveexec_b64 s[0:1], vcc
	s_cbranch_execnz .LBB154_18
.LBB154_9:
	s_or_b64 exec, exec, s[0:1]
	v_cmp_gt_i32_e32 vcc, s4, v0
	s_and_saveexec_b64 s[0:1], vcc
	s_cbranch_execnz .LBB154_19
.LBB154_10:
	s_or_b64 exec, exec, s[0:1]
	v_cmp_gt_i32_e32 vcc, s4, v0
	s_and_saveexec_b64 s[0:1], vcc
	s_cbranch_execz .LBB154_12
.LBB154_11:
	v_add_u32_e32 v2, s2, v0
	v_mov_b32_e32 v3, 0
	v_lshlrev_b64 v[2:3], 1, v[2:3]
	v_mov_b32_e32 v0, s11
	v_add_co_u32_e32 v2, vcc, s10, v2
	v_addc_co_u32_e32 v3, vcc, v0, v3, vcc
	global_store_short_d16_hi v[2:3], v1, off
.LBB154_12:
	s_endpgm
.LBB154_13:
	v_or_b32_e32 v6, s2, v0
	v_mov_b32_e32 v7, 0
	v_lshlrev_b64 v[6:7], 1, v[6:7]
	v_mov_b32_e32 v0, s11
	v_add_co_u32_e32 v6, vcc, s10, v6
	v_addc_co_u32_e32 v7, vcc, v0, v7, vcc
	v_mov_b32_e32 v0, v5
	global_store_short v[6:7], v4, off
	s_or_b64 exec, exec, s[0:1]
	v_cmp_gt_i32_e32 vcc, s4, v0
	s_and_saveexec_b64 s[0:1], vcc
	s_cbranch_execz .LBB154_5
.LBB154_14:
	v_add_u32_e32 v6, s2, v0
	v_mov_b32_e32 v7, 0
	v_lshlrev_b64 v[6:7], 1, v[6:7]
	v_mov_b32_e32 v5, s11
	v_add_co_u32_e32 v6, vcc, s10, v6
	v_addc_co_u32_e32 v7, vcc, v5, v7, vcc
	v_add_u32_e32 v0, 0x100, v0
	global_store_short_d16_hi v[6:7], v4, off
	s_or_b64 exec, exec, s[0:1]
	v_cmp_gt_i32_e32 vcc, s4, v0
	s_and_saveexec_b64 s[0:1], vcc
	s_cbranch_execz .LBB154_6
.LBB154_15:
	v_add_u32_e32 v4, s2, v0
	v_mov_b32_e32 v5, 0
	v_lshlrev_b64 v[4:5], 1, v[4:5]
	v_mov_b32_e32 v6, s11
	v_add_co_u32_e32 v4, vcc, s10, v4
	v_addc_co_u32_e32 v5, vcc, v6, v5, vcc
	v_add_u32_e32 v0, 0x100, v0
	global_store_short v[4:5], v3, off
	s_or_b64 exec, exec, s[0:1]
	v_cmp_gt_i32_e32 vcc, s4, v0
	s_and_saveexec_b64 s[0:1], vcc
	s_cbranch_execz .LBB154_7
.LBB154_16:
	v_add_u32_e32 v4, s2, v0
	v_mov_b32_e32 v5, 0
	v_lshlrev_b64 v[4:5], 1, v[4:5]
	v_mov_b32_e32 v6, s11
	v_add_co_u32_e32 v4, vcc, s10, v4
	v_addc_co_u32_e32 v5, vcc, v6, v5, vcc
	v_add_u32_e32 v0, 0x100, v0
	global_store_short_d16_hi v[4:5], v3, off
	s_or_b64 exec, exec, s[0:1]
	v_cmp_gt_i32_e32 vcc, s4, v0
	s_and_saveexec_b64 s[0:1], vcc
	s_cbranch_execz .LBB154_8
.LBB154_17:
	v_add_u32_e32 v4, s2, v0
	v_mov_b32_e32 v5, 0
	v_lshlrev_b64 v[4:5], 1, v[4:5]
	v_mov_b32_e32 v3, s11
	v_add_co_u32_e32 v4, vcc, s10, v4
	v_addc_co_u32_e32 v5, vcc, v3, v5, vcc
	v_add_u32_e32 v0, 0x100, v0
	global_store_short v[4:5], v2, off
	s_or_b64 exec, exec, s[0:1]
	v_cmp_gt_i32_e32 vcc, s4, v0
	s_and_saveexec_b64 s[0:1], vcc
	s_cbranch_execz .LBB154_9
.LBB154_18:
	v_add_u32_e32 v4, s2, v0
	v_mov_b32_e32 v5, 0
	v_lshlrev_b64 v[4:5], 1, v[4:5]
	v_mov_b32_e32 v3, s11
	v_add_co_u32_e32 v4, vcc, s10, v4
	v_addc_co_u32_e32 v5, vcc, v3, v5, vcc
	v_add_u32_e32 v0, 0x100, v0
	global_store_short_d16_hi v[4:5], v2, off
	s_or_b64 exec, exec, s[0:1]
	v_cmp_gt_i32_e32 vcc, s4, v0
	s_and_saveexec_b64 s[0:1], vcc
	s_cbranch_execz .LBB154_10
.LBB154_19:
	v_add_u32_e32 v2, s2, v0
	v_mov_b32_e32 v3, 0
	v_lshlrev_b64 v[2:3], 1, v[2:3]
	v_mov_b32_e32 v4, s11
	v_add_co_u32_e32 v2, vcc, s10, v2
	v_addc_co_u32_e32 v3, vcc, v4, v3, vcc
	v_add_u32_e32 v0, 0x100, v0
	global_store_short v[2:3], v1, off
	s_or_b64 exec, exec, s[0:1]
	v_cmp_gt_i32_e32 vcc, s4, v0
	s_and_saveexec_b64 s[0:1], vcc
	s_cbranch_execnz .LBB154_11
	s_branch .LBB154_12
	.section	.rodata,"a",@progbits
	.p2align	6, 0x0
	.amdhsa_kernel _ZN2at6native29vectorized_elementwise_kernelILi4ENS0_11FillFunctorItEESt5arrayIPcLm1EEEEviT0_T1_
		.amdhsa_group_segment_fixed_size 0
		.amdhsa_private_segment_fixed_size 0
		.amdhsa_kernarg_size 16
		.amdhsa_user_sgpr_count 6
		.amdhsa_user_sgpr_private_segment_buffer 1
		.amdhsa_user_sgpr_dispatch_ptr 0
		.amdhsa_user_sgpr_queue_ptr 0
		.amdhsa_user_sgpr_kernarg_segment_ptr 1
		.amdhsa_user_sgpr_dispatch_id 0
		.amdhsa_user_sgpr_flat_scratch_init 0
		.amdhsa_user_sgpr_kernarg_preload_length 0
		.amdhsa_user_sgpr_kernarg_preload_offset 0
		.amdhsa_user_sgpr_private_segment_size 0
		.amdhsa_uses_dynamic_stack 0
		.amdhsa_system_sgpr_private_segment_wavefront_offset 0
		.amdhsa_system_sgpr_workgroup_id_x 1
		.amdhsa_system_sgpr_workgroup_id_y 0
		.amdhsa_system_sgpr_workgroup_id_z 0
		.amdhsa_system_sgpr_workgroup_info 0
		.amdhsa_system_vgpr_workitem_id 0
		.amdhsa_next_free_vgpr 8
		.amdhsa_next_free_sgpr 12
		.amdhsa_accum_offset 8
		.amdhsa_reserve_vcc 1
		.amdhsa_reserve_flat_scratch 0
		.amdhsa_float_round_mode_32 0
		.amdhsa_float_round_mode_16_64 0
		.amdhsa_float_denorm_mode_32 3
		.amdhsa_float_denorm_mode_16_64 3
		.amdhsa_dx10_clamp 1
		.amdhsa_ieee_mode 1
		.amdhsa_fp16_overflow 0
		.amdhsa_tg_split 0
		.amdhsa_exception_fp_ieee_invalid_op 0
		.amdhsa_exception_fp_denorm_src 0
		.amdhsa_exception_fp_ieee_div_zero 0
		.amdhsa_exception_fp_ieee_overflow 0
		.amdhsa_exception_fp_ieee_underflow 0
		.amdhsa_exception_fp_ieee_inexact 0
		.amdhsa_exception_int_div_zero 0
	.end_amdhsa_kernel
	.section	.text._ZN2at6native29vectorized_elementwise_kernelILi4ENS0_11FillFunctorItEESt5arrayIPcLm1EEEEviT0_T1_,"axG",@progbits,_ZN2at6native29vectorized_elementwise_kernelILi4ENS0_11FillFunctorItEESt5arrayIPcLm1EEEEviT0_T1_,comdat
.Lfunc_end154:
	.size	_ZN2at6native29vectorized_elementwise_kernelILi4ENS0_11FillFunctorItEESt5arrayIPcLm1EEEEviT0_T1_, .Lfunc_end154-_ZN2at6native29vectorized_elementwise_kernelILi4ENS0_11FillFunctorItEESt5arrayIPcLm1EEEEviT0_T1_
                                        ; -- End function
	.section	.AMDGPU.csdata,"",@progbits
; Kernel info:
; codeLenInByte = 812
; NumSgprs: 16
; NumVgprs: 8
; NumAgprs: 0
; TotalNumVgprs: 8
; ScratchSize: 0
; MemoryBound: 0
; FloatMode: 240
; IeeeMode: 1
; LDSByteSize: 0 bytes/workgroup (compile time only)
; SGPRBlocks: 1
; VGPRBlocks: 0
; NumSGPRsForWavesPerEU: 16
; NumVGPRsForWavesPerEU: 8
; AccumOffset: 8
; Occupancy: 8
; WaveLimiterHint : 1
; COMPUTE_PGM_RSRC2:SCRATCH_EN: 0
; COMPUTE_PGM_RSRC2:USER_SGPR: 6
; COMPUTE_PGM_RSRC2:TRAP_HANDLER: 0
; COMPUTE_PGM_RSRC2:TGID_X_EN: 1
; COMPUTE_PGM_RSRC2:TGID_Y_EN: 0
; COMPUTE_PGM_RSRC2:TGID_Z_EN: 0
; COMPUTE_PGM_RSRC2:TIDIG_COMP_CNT: 0
; COMPUTE_PGM_RSRC3_GFX90A:ACCUM_OFFSET: 1
; COMPUTE_PGM_RSRC3_GFX90A:TG_SPLIT: 0
	.section	.text._ZN2at6native29vectorized_elementwise_kernelILi2ENS0_11FillFunctorItEESt5arrayIPcLm1EEEEviT0_T1_,"axG",@progbits,_ZN2at6native29vectorized_elementwise_kernelILi2ENS0_11FillFunctorItEESt5arrayIPcLm1EEEEviT0_T1_,comdat
	.protected	_ZN2at6native29vectorized_elementwise_kernelILi2ENS0_11FillFunctorItEESt5arrayIPcLm1EEEEviT0_T1_ ; -- Begin function _ZN2at6native29vectorized_elementwise_kernelILi2ENS0_11FillFunctorItEESt5arrayIPcLm1EEEEviT0_T1_
	.globl	_ZN2at6native29vectorized_elementwise_kernelILi2ENS0_11FillFunctorItEESt5arrayIPcLm1EEEEviT0_T1_
	.p2align	8
	.type	_ZN2at6native29vectorized_elementwise_kernelILi2ENS0_11FillFunctorItEESt5arrayIPcLm1EEEEviT0_T1_,@function
_ZN2at6native29vectorized_elementwise_kernelILi2ENS0_11FillFunctorItEESt5arrayIPcLm1EEEEviT0_T1_: ; @_ZN2at6native29vectorized_elementwise_kernelILi2ENS0_11FillFunctorItEESt5arrayIPcLm1EEEEviT0_T1_
; %bb.0:
	s_load_dwordx4 s[8:11], s[4:5], 0x0
	s_lshl_b32 s2, s6, 11
	s_mov_b64 s[0:1], -1
	s_waitcnt lgkmcnt(0)
	s_sub_i32 s4, s8, s2
	s_cmpk_gt_i32 s4, 0x7ff
	s_cbranch_scc0 .LBB155_2
; %bb.1:
	s_ashr_i32 s3, s2, 31
	s_lshl_b64 s[0:1], s[2:3], 1
	s_add_u32 s0, s10, s0
	s_addc_u32 s1, s11, s1
	s_and_b32 s3, 0xffff, s9
	s_mul_i32 s3, s3, 0x10001
	v_lshlrev_b32_e32 v1, 2, v0
	v_mov_b32_e32 v2, s3
	global_store_dword v1, v2, s[0:1]
	global_store_dword v1, v2, s[0:1] offset:1024
	global_store_dword v1, v2, s[0:1] offset:2048
	;; [unrolled: 1-line block ×3, first 2 shown]
	s_mov_b64 s[0:1], 0
.LBB155_2:
	s_andn2_b64 vcc, exec, s[0:1]
	s_cbranch_vccnz .LBB155_12
; %bb.3:
	v_or_b32_e32 v5, 0x100, v0
	s_pack_ll_b32_b16 s0, s9, s9
	v_mov_b32_e32 v1, s9
	v_mov_b32_e32 v6, s0
	v_cmp_gt_i32_e64 s[0:1], s4, v5
	v_cndmask_b32_e64 v4, v1, v6, s[0:1]
	v_or_b32_e32 v2, 0x300, v0
	s_and_b32 s0, 0xffff, s9
	v_mov_b32_e32 v7, s0
	v_cmp_gt_i32_e64 s[0:1], s4, v2
	v_or_b32_e32 v2, 0x500, v0
	v_cndmask_b32_e64 v3, v7, v6, s[0:1]
	v_cmp_gt_i32_e64 s[0:1], s4, v2
	v_cndmask_b32_e64 v2, v1, v6, s[0:1]
	v_or_b32_e32 v1, 0x700, v0
	v_cmp_gt_i32_e64 s[0:1], s4, v1
	v_cmp_gt_i32_e32 vcc, s4, v0
	v_cndmask_b32_e64 v1, v7, v6, s[0:1]
	s_and_saveexec_b64 s[0:1], vcc
	s_cbranch_execnz .LBB155_13
; %bb.4:
	s_or_b64 exec, exec, s[0:1]
	v_cmp_gt_i32_e32 vcc, s4, v0
	s_and_saveexec_b64 s[0:1], vcc
	s_cbranch_execnz .LBB155_14
.LBB155_5:
	s_or_b64 exec, exec, s[0:1]
	v_cmp_gt_i32_e32 vcc, s4, v0
	s_and_saveexec_b64 s[0:1], vcc
	s_cbranch_execnz .LBB155_15
.LBB155_6:
	s_or_b64 exec, exec, s[0:1]
	v_cmp_gt_i32_e32 vcc, s4, v0
	s_and_saveexec_b64 s[0:1], vcc
	s_cbranch_execnz .LBB155_16
.LBB155_7:
	s_or_b64 exec, exec, s[0:1]
	v_cmp_gt_i32_e32 vcc, s4, v0
	s_and_saveexec_b64 s[0:1], vcc
	s_cbranch_execnz .LBB155_17
.LBB155_8:
	s_or_b64 exec, exec, s[0:1]
	v_cmp_gt_i32_e32 vcc, s4, v0
	s_and_saveexec_b64 s[0:1], vcc
	s_cbranch_execnz .LBB155_18
.LBB155_9:
	s_or_b64 exec, exec, s[0:1]
	v_cmp_gt_i32_e32 vcc, s4, v0
	s_and_saveexec_b64 s[0:1], vcc
	s_cbranch_execnz .LBB155_19
.LBB155_10:
	s_or_b64 exec, exec, s[0:1]
	v_cmp_gt_i32_e32 vcc, s4, v0
	s_and_saveexec_b64 s[0:1], vcc
	s_cbranch_execz .LBB155_12
.LBB155_11:
	v_add_u32_e32 v2, s2, v0
	v_mov_b32_e32 v3, 0
	v_lshlrev_b64 v[2:3], 1, v[2:3]
	v_mov_b32_e32 v0, s11
	v_add_co_u32_e32 v2, vcc, s10, v2
	v_addc_co_u32_e32 v3, vcc, v0, v3, vcc
	global_store_short_d16_hi v[2:3], v1, off
.LBB155_12:
	s_endpgm
.LBB155_13:
	v_or_b32_e32 v6, s2, v0
	v_mov_b32_e32 v7, 0
	v_lshlrev_b64 v[6:7], 1, v[6:7]
	v_mov_b32_e32 v0, s11
	v_add_co_u32_e32 v6, vcc, s10, v6
	v_addc_co_u32_e32 v7, vcc, v0, v7, vcc
	v_mov_b32_e32 v0, v5
	global_store_short v[6:7], v4, off
	s_or_b64 exec, exec, s[0:1]
	v_cmp_gt_i32_e32 vcc, s4, v0
	s_and_saveexec_b64 s[0:1], vcc
	s_cbranch_execz .LBB155_5
.LBB155_14:
	v_add_u32_e32 v6, s2, v0
	v_mov_b32_e32 v7, 0
	v_lshlrev_b64 v[6:7], 1, v[6:7]
	v_mov_b32_e32 v5, s11
	v_add_co_u32_e32 v6, vcc, s10, v6
	v_addc_co_u32_e32 v7, vcc, v5, v7, vcc
	v_add_u32_e32 v0, 0x100, v0
	global_store_short_d16_hi v[6:7], v4, off
	s_or_b64 exec, exec, s[0:1]
	v_cmp_gt_i32_e32 vcc, s4, v0
	s_and_saveexec_b64 s[0:1], vcc
	s_cbranch_execz .LBB155_6
.LBB155_15:
	v_add_u32_e32 v4, s2, v0
	v_mov_b32_e32 v5, 0
	v_lshlrev_b64 v[4:5], 1, v[4:5]
	v_mov_b32_e32 v6, s11
	v_add_co_u32_e32 v4, vcc, s10, v4
	v_addc_co_u32_e32 v5, vcc, v6, v5, vcc
	v_add_u32_e32 v0, 0x100, v0
	global_store_short v[4:5], v3, off
	s_or_b64 exec, exec, s[0:1]
	v_cmp_gt_i32_e32 vcc, s4, v0
	s_and_saveexec_b64 s[0:1], vcc
	s_cbranch_execz .LBB155_7
.LBB155_16:
	v_add_u32_e32 v4, s2, v0
	v_mov_b32_e32 v5, 0
	v_lshlrev_b64 v[4:5], 1, v[4:5]
	v_mov_b32_e32 v6, s11
	v_add_co_u32_e32 v4, vcc, s10, v4
	v_addc_co_u32_e32 v5, vcc, v6, v5, vcc
	v_add_u32_e32 v0, 0x100, v0
	global_store_short_d16_hi v[4:5], v3, off
	s_or_b64 exec, exec, s[0:1]
	v_cmp_gt_i32_e32 vcc, s4, v0
	s_and_saveexec_b64 s[0:1], vcc
	s_cbranch_execz .LBB155_8
.LBB155_17:
	v_add_u32_e32 v4, s2, v0
	v_mov_b32_e32 v5, 0
	v_lshlrev_b64 v[4:5], 1, v[4:5]
	v_mov_b32_e32 v3, s11
	v_add_co_u32_e32 v4, vcc, s10, v4
	v_addc_co_u32_e32 v5, vcc, v3, v5, vcc
	v_add_u32_e32 v0, 0x100, v0
	global_store_short v[4:5], v2, off
	s_or_b64 exec, exec, s[0:1]
	v_cmp_gt_i32_e32 vcc, s4, v0
	s_and_saveexec_b64 s[0:1], vcc
	s_cbranch_execz .LBB155_9
.LBB155_18:
	v_add_u32_e32 v4, s2, v0
	v_mov_b32_e32 v5, 0
	v_lshlrev_b64 v[4:5], 1, v[4:5]
	v_mov_b32_e32 v3, s11
	v_add_co_u32_e32 v4, vcc, s10, v4
	v_addc_co_u32_e32 v5, vcc, v3, v5, vcc
	v_add_u32_e32 v0, 0x100, v0
	global_store_short_d16_hi v[4:5], v2, off
	s_or_b64 exec, exec, s[0:1]
	v_cmp_gt_i32_e32 vcc, s4, v0
	s_and_saveexec_b64 s[0:1], vcc
	s_cbranch_execz .LBB155_10
.LBB155_19:
	v_add_u32_e32 v2, s2, v0
	v_mov_b32_e32 v3, 0
	v_lshlrev_b64 v[2:3], 1, v[2:3]
	v_mov_b32_e32 v4, s11
	v_add_co_u32_e32 v2, vcc, s10, v2
	v_addc_co_u32_e32 v3, vcc, v4, v3, vcc
	v_add_u32_e32 v0, 0x100, v0
	global_store_short v[2:3], v1, off
	s_or_b64 exec, exec, s[0:1]
	v_cmp_gt_i32_e32 vcc, s4, v0
	s_and_saveexec_b64 s[0:1], vcc
	s_cbranch_execnz .LBB155_11
	s_branch .LBB155_12
	.section	.rodata,"a",@progbits
	.p2align	6, 0x0
	.amdhsa_kernel _ZN2at6native29vectorized_elementwise_kernelILi2ENS0_11FillFunctorItEESt5arrayIPcLm1EEEEviT0_T1_
		.amdhsa_group_segment_fixed_size 0
		.amdhsa_private_segment_fixed_size 0
		.amdhsa_kernarg_size 16
		.amdhsa_user_sgpr_count 6
		.amdhsa_user_sgpr_private_segment_buffer 1
		.amdhsa_user_sgpr_dispatch_ptr 0
		.amdhsa_user_sgpr_queue_ptr 0
		.amdhsa_user_sgpr_kernarg_segment_ptr 1
		.amdhsa_user_sgpr_dispatch_id 0
		.amdhsa_user_sgpr_flat_scratch_init 0
		.amdhsa_user_sgpr_kernarg_preload_length 0
		.amdhsa_user_sgpr_kernarg_preload_offset 0
		.amdhsa_user_sgpr_private_segment_size 0
		.amdhsa_uses_dynamic_stack 0
		.amdhsa_system_sgpr_private_segment_wavefront_offset 0
		.amdhsa_system_sgpr_workgroup_id_x 1
		.amdhsa_system_sgpr_workgroup_id_y 0
		.amdhsa_system_sgpr_workgroup_id_z 0
		.amdhsa_system_sgpr_workgroup_info 0
		.amdhsa_system_vgpr_workitem_id 0
		.amdhsa_next_free_vgpr 8
		.amdhsa_next_free_sgpr 12
		.amdhsa_accum_offset 8
		.amdhsa_reserve_vcc 1
		.amdhsa_reserve_flat_scratch 0
		.amdhsa_float_round_mode_32 0
		.amdhsa_float_round_mode_16_64 0
		.amdhsa_float_denorm_mode_32 3
		.amdhsa_float_denorm_mode_16_64 3
		.amdhsa_dx10_clamp 1
		.amdhsa_ieee_mode 1
		.amdhsa_fp16_overflow 0
		.amdhsa_tg_split 0
		.amdhsa_exception_fp_ieee_invalid_op 0
		.amdhsa_exception_fp_denorm_src 0
		.amdhsa_exception_fp_ieee_div_zero 0
		.amdhsa_exception_fp_ieee_overflow 0
		.amdhsa_exception_fp_ieee_underflow 0
		.amdhsa_exception_fp_ieee_inexact 0
		.amdhsa_exception_int_div_zero 0
	.end_amdhsa_kernel
	.section	.text._ZN2at6native29vectorized_elementwise_kernelILi2ENS0_11FillFunctorItEESt5arrayIPcLm1EEEEviT0_T1_,"axG",@progbits,_ZN2at6native29vectorized_elementwise_kernelILi2ENS0_11FillFunctorItEESt5arrayIPcLm1EEEEviT0_T1_,comdat
.Lfunc_end155:
	.size	_ZN2at6native29vectorized_elementwise_kernelILi2ENS0_11FillFunctorItEESt5arrayIPcLm1EEEEviT0_T1_, .Lfunc_end155-_ZN2at6native29vectorized_elementwise_kernelILi2ENS0_11FillFunctorItEESt5arrayIPcLm1EEEEviT0_T1_
                                        ; -- End function
	.section	.AMDGPU.csdata,"",@progbits
; Kernel info:
; codeLenInByte = 820
; NumSgprs: 16
; NumVgprs: 8
; NumAgprs: 0
; TotalNumVgprs: 8
; ScratchSize: 0
; MemoryBound: 0
; FloatMode: 240
; IeeeMode: 1
; LDSByteSize: 0 bytes/workgroup (compile time only)
; SGPRBlocks: 1
; VGPRBlocks: 0
; NumSGPRsForWavesPerEU: 16
; NumVGPRsForWavesPerEU: 8
; AccumOffset: 8
; Occupancy: 8
; WaveLimiterHint : 1
; COMPUTE_PGM_RSRC2:SCRATCH_EN: 0
; COMPUTE_PGM_RSRC2:USER_SGPR: 6
; COMPUTE_PGM_RSRC2:TRAP_HANDLER: 0
; COMPUTE_PGM_RSRC2:TGID_X_EN: 1
; COMPUTE_PGM_RSRC2:TGID_Y_EN: 0
; COMPUTE_PGM_RSRC2:TGID_Z_EN: 0
; COMPUTE_PGM_RSRC2:TIDIG_COMP_CNT: 0
; COMPUTE_PGM_RSRC3_GFX90A:ACCUM_OFFSET: 1
; COMPUTE_PGM_RSRC3_GFX90A:TG_SPLIT: 0
	.section	.text._ZN2at6native27unrolled_elementwise_kernelINS0_11FillFunctorItEESt5arrayIPcLm1EELi4E23TrivialOffsetCalculatorILi0EjES7_ILi1EjENS0_6memory15LoadWithoutCastENSA_16StoreWithoutCastEEEviT_T0_T2_T3_T4_T5_,"axG",@progbits,_ZN2at6native27unrolled_elementwise_kernelINS0_11FillFunctorItEESt5arrayIPcLm1EELi4E23TrivialOffsetCalculatorILi0EjES7_ILi1EjENS0_6memory15LoadWithoutCastENSA_16StoreWithoutCastEEEviT_T0_T2_T3_T4_T5_,comdat
	.protected	_ZN2at6native27unrolled_elementwise_kernelINS0_11FillFunctorItEESt5arrayIPcLm1EELi4E23TrivialOffsetCalculatorILi0EjES7_ILi1EjENS0_6memory15LoadWithoutCastENSA_16StoreWithoutCastEEEviT_T0_T2_T3_T4_T5_ ; -- Begin function _ZN2at6native27unrolled_elementwise_kernelINS0_11FillFunctorItEESt5arrayIPcLm1EELi4E23TrivialOffsetCalculatorILi0EjES7_ILi1EjENS0_6memory15LoadWithoutCastENSA_16StoreWithoutCastEEEviT_T0_T2_T3_T4_T5_
	.globl	_ZN2at6native27unrolled_elementwise_kernelINS0_11FillFunctorItEESt5arrayIPcLm1EELi4E23TrivialOffsetCalculatorILi0EjES7_ILi1EjENS0_6memory15LoadWithoutCastENSA_16StoreWithoutCastEEEviT_T0_T2_T3_T4_T5_
	.p2align	8
	.type	_ZN2at6native27unrolled_elementwise_kernelINS0_11FillFunctorItEESt5arrayIPcLm1EELi4E23TrivialOffsetCalculatorILi0EjES7_ILi1EjENS0_6memory15LoadWithoutCastENSA_16StoreWithoutCastEEEviT_T0_T2_T3_T4_T5_,@function
_ZN2at6native27unrolled_elementwise_kernelINS0_11FillFunctorItEESt5arrayIPcLm1EELi4E23TrivialOffsetCalculatorILi0EjES7_ILi1EjENS0_6memory15LoadWithoutCastENSA_16StoreWithoutCastEEEviT_T0_T2_T3_T4_T5_: ; @_ZN2at6native27unrolled_elementwise_kernelINS0_11FillFunctorItEESt5arrayIPcLm1EELi4E23TrivialOffsetCalculatorILi0EjES7_ILi1EjENS0_6memory15LoadWithoutCastENSA_16StoreWithoutCastEEEviT_T0_T2_T3_T4_T5_
; %bb.0:
	s_load_dwordx4 s[8:11], s[4:5], 0x0
	s_lshl_b32 s2, s6, 10
	v_or_b32_e32 v3, 0x100, v0
	s_waitcnt lgkmcnt(0)
	s_sub_i32 s3, s8, s2
	s_pack_ll_b32_b16 s0, s9, s9
	v_mov_b32_e32 v1, s9
	v_mov_b32_e32 v4, s0
	v_cmp_gt_i32_e64 s[0:1], s3, v3
	v_cndmask_b32_e64 v2, v1, v4, s[0:1]
	s_and_b32 s0, 0xffff, s9
	v_or_b32_e32 v1, 0x300, v0
	v_mov_b32_e32 v5, s0
	v_cmp_gt_i32_e64 s[0:1], s3, v1
	v_cmp_gt_i32_e32 vcc, s3, v0
	v_cndmask_b32_e64 v1, v5, v4, s[0:1]
	s_and_saveexec_b64 s[0:1], vcc
	s_cbranch_execnz .LBB156_5
; %bb.1:
	s_or_b64 exec, exec, s[0:1]
	v_cmp_gt_i32_e32 vcc, s3, v0
	s_and_saveexec_b64 s[0:1], vcc
	s_cbranch_execnz .LBB156_6
.LBB156_2:
	s_or_b64 exec, exec, s[0:1]
	v_cmp_gt_i32_e32 vcc, s3, v0
	s_and_saveexec_b64 s[0:1], vcc
	s_cbranch_execnz .LBB156_7
.LBB156_3:
	s_or_b64 exec, exec, s[0:1]
	v_cmp_gt_i32_e32 vcc, s3, v0
	s_and_saveexec_b64 s[0:1], vcc
	s_cbranch_execnz .LBB156_8
.LBB156_4:
	s_endpgm
.LBB156_5:
	v_or_b32_e32 v4, s2, v0
	v_mov_b32_e32 v5, 0
	v_lshlrev_b64 v[4:5], 1, v[4:5]
	v_mov_b32_e32 v0, s11
	v_add_co_u32_e32 v4, vcc, s10, v4
	v_addc_co_u32_e32 v5, vcc, v0, v5, vcc
	v_mov_b32_e32 v0, v3
	global_store_short v[4:5], v2, off
	s_or_b64 exec, exec, s[0:1]
	v_cmp_gt_i32_e32 vcc, s3, v0
	s_and_saveexec_b64 s[0:1], vcc
	s_cbranch_execz .LBB156_2
.LBB156_6:
	v_add_u32_e32 v4, s2, v0
	v_mov_b32_e32 v5, 0
	v_lshlrev_b64 v[4:5], 1, v[4:5]
	v_add_u32_e32 v3, 0x100, v0
	v_mov_b32_e32 v0, s11
	v_add_co_u32_e32 v4, vcc, s10, v4
	v_addc_co_u32_e32 v5, vcc, v0, v5, vcc
	v_mov_b32_e32 v0, v3
	global_store_short_d16_hi v[4:5], v2, off
	s_or_b64 exec, exec, s[0:1]
	v_cmp_gt_i32_e32 vcc, s3, v0
	s_and_saveexec_b64 s[0:1], vcc
	s_cbranch_execz .LBB156_3
.LBB156_7:
	v_add_u32_e32 v2, s2, v0
	v_mov_b32_e32 v3, 0
	v_lshlrev_b64 v[2:3], 1, v[2:3]
	v_add_u32_e32 v4, 0x100, v0
	v_mov_b32_e32 v0, s11
	v_add_co_u32_e32 v2, vcc, s10, v2
	v_addc_co_u32_e32 v3, vcc, v0, v3, vcc
	v_mov_b32_e32 v0, v4
	global_store_short v[2:3], v1, off
	s_or_b64 exec, exec, s[0:1]
	v_cmp_gt_i32_e32 vcc, s3, v0
	s_and_saveexec_b64 s[0:1], vcc
	s_cbranch_execz .LBB156_4
.LBB156_8:
	v_add_u32_e32 v2, s2, v0
	v_mov_b32_e32 v3, 0
	v_lshlrev_b64 v[2:3], 1, v[2:3]
	v_mov_b32_e32 v0, s11
	v_add_co_u32_e32 v2, vcc, s10, v2
	v_addc_co_u32_e32 v3, vcc, v0, v3, vcc
	global_store_short_d16_hi v[2:3], v1, off
	s_endpgm
	.section	.rodata,"a",@progbits
	.p2align	6, 0x0
	.amdhsa_kernel _ZN2at6native27unrolled_elementwise_kernelINS0_11FillFunctorItEESt5arrayIPcLm1EELi4E23TrivialOffsetCalculatorILi0EjES7_ILi1EjENS0_6memory15LoadWithoutCastENSA_16StoreWithoutCastEEEviT_T0_T2_T3_T4_T5_
		.amdhsa_group_segment_fixed_size 0
		.amdhsa_private_segment_fixed_size 0
		.amdhsa_kernarg_size 20
		.amdhsa_user_sgpr_count 6
		.amdhsa_user_sgpr_private_segment_buffer 1
		.amdhsa_user_sgpr_dispatch_ptr 0
		.amdhsa_user_sgpr_queue_ptr 0
		.amdhsa_user_sgpr_kernarg_segment_ptr 1
		.amdhsa_user_sgpr_dispatch_id 0
		.amdhsa_user_sgpr_flat_scratch_init 0
		.amdhsa_user_sgpr_kernarg_preload_length 0
		.amdhsa_user_sgpr_kernarg_preload_offset 0
		.amdhsa_user_sgpr_private_segment_size 0
		.amdhsa_uses_dynamic_stack 0
		.amdhsa_system_sgpr_private_segment_wavefront_offset 0
		.amdhsa_system_sgpr_workgroup_id_x 1
		.amdhsa_system_sgpr_workgroup_id_y 0
		.amdhsa_system_sgpr_workgroup_id_z 0
		.amdhsa_system_sgpr_workgroup_info 0
		.amdhsa_system_vgpr_workitem_id 0
		.amdhsa_next_free_vgpr 6
		.amdhsa_next_free_sgpr 12
		.amdhsa_accum_offset 8
		.amdhsa_reserve_vcc 1
		.amdhsa_reserve_flat_scratch 0
		.amdhsa_float_round_mode_32 0
		.amdhsa_float_round_mode_16_64 0
		.amdhsa_float_denorm_mode_32 3
		.amdhsa_float_denorm_mode_16_64 3
		.amdhsa_dx10_clamp 1
		.amdhsa_ieee_mode 1
		.amdhsa_fp16_overflow 0
		.amdhsa_tg_split 0
		.amdhsa_exception_fp_ieee_invalid_op 0
		.amdhsa_exception_fp_denorm_src 0
		.amdhsa_exception_fp_ieee_div_zero 0
		.amdhsa_exception_fp_ieee_overflow 0
		.amdhsa_exception_fp_ieee_underflow 0
		.amdhsa_exception_fp_ieee_inexact 0
		.amdhsa_exception_int_div_zero 0
	.end_amdhsa_kernel
	.section	.text._ZN2at6native27unrolled_elementwise_kernelINS0_11FillFunctorItEESt5arrayIPcLm1EELi4E23TrivialOffsetCalculatorILi0EjES7_ILi1EjENS0_6memory15LoadWithoutCastENSA_16StoreWithoutCastEEEviT_T0_T2_T3_T4_T5_,"axG",@progbits,_ZN2at6native27unrolled_elementwise_kernelINS0_11FillFunctorItEESt5arrayIPcLm1EELi4E23TrivialOffsetCalculatorILi0EjES7_ILi1EjENS0_6memory15LoadWithoutCastENSA_16StoreWithoutCastEEEviT_T0_T2_T3_T4_T5_,comdat
.Lfunc_end156:
	.size	_ZN2at6native27unrolled_elementwise_kernelINS0_11FillFunctorItEESt5arrayIPcLm1EELi4E23TrivialOffsetCalculatorILi0EjES7_ILi1EjENS0_6memory15LoadWithoutCastENSA_16StoreWithoutCastEEEviT_T0_T2_T3_T4_T5_, .Lfunc_end156-_ZN2at6native27unrolled_elementwise_kernelINS0_11FillFunctorItEESt5arrayIPcLm1EELi4E23TrivialOffsetCalculatorILi0EjES7_ILi1EjENS0_6memory15LoadWithoutCastENSA_16StoreWithoutCastEEEviT_T0_T2_T3_T4_T5_
                                        ; -- End function
	.section	.AMDGPU.csdata,"",@progbits
; Kernel info:
; codeLenInByte = 380
; NumSgprs: 16
; NumVgprs: 6
; NumAgprs: 0
; TotalNumVgprs: 6
; ScratchSize: 0
; MemoryBound: 0
; FloatMode: 240
; IeeeMode: 1
; LDSByteSize: 0 bytes/workgroup (compile time only)
; SGPRBlocks: 1
; VGPRBlocks: 0
; NumSGPRsForWavesPerEU: 16
; NumVGPRsForWavesPerEU: 6
; AccumOffset: 8
; Occupancy: 8
; WaveLimiterHint : 0
; COMPUTE_PGM_RSRC2:SCRATCH_EN: 0
; COMPUTE_PGM_RSRC2:USER_SGPR: 6
; COMPUTE_PGM_RSRC2:TRAP_HANDLER: 0
; COMPUTE_PGM_RSRC2:TGID_X_EN: 1
; COMPUTE_PGM_RSRC2:TGID_Y_EN: 0
; COMPUTE_PGM_RSRC2:TGID_Z_EN: 0
; COMPUTE_PGM_RSRC2:TIDIG_COMP_CNT: 0
; COMPUTE_PGM_RSRC3_GFX90A:ACCUM_OFFSET: 1
; COMPUTE_PGM_RSRC3_GFX90A:TG_SPLIT: 0
	.section	.text._ZN2at6native32elementwise_kernel_manual_unrollILi128ELi8EZNS0_22gpu_kernel_impl_nocastINS0_11FillFunctorItEEEEvRNS_18TensorIteratorBaseERKT_EUlibE_EEviT1_,"axG",@progbits,_ZN2at6native32elementwise_kernel_manual_unrollILi128ELi8EZNS0_22gpu_kernel_impl_nocastINS0_11FillFunctorItEEEEvRNS_18TensorIteratorBaseERKT_EUlibE_EEviT1_,comdat
	.protected	_ZN2at6native32elementwise_kernel_manual_unrollILi128ELi8EZNS0_22gpu_kernel_impl_nocastINS0_11FillFunctorItEEEEvRNS_18TensorIteratorBaseERKT_EUlibE_EEviT1_ ; -- Begin function _ZN2at6native32elementwise_kernel_manual_unrollILi128ELi8EZNS0_22gpu_kernel_impl_nocastINS0_11FillFunctorItEEEEvRNS_18TensorIteratorBaseERKT_EUlibE_EEviT1_
	.globl	_ZN2at6native32elementwise_kernel_manual_unrollILi128ELi8EZNS0_22gpu_kernel_impl_nocastINS0_11FillFunctorItEEEEvRNS_18TensorIteratorBaseERKT_EUlibE_EEviT1_
	.p2align	8
	.type	_ZN2at6native32elementwise_kernel_manual_unrollILi128ELi8EZNS0_22gpu_kernel_impl_nocastINS0_11FillFunctorItEEEEvRNS_18TensorIteratorBaseERKT_EUlibE_EEviT1_,@function
_ZN2at6native32elementwise_kernel_manual_unrollILi128ELi8EZNS0_22gpu_kernel_impl_nocastINS0_11FillFunctorItEEEEvRNS_18TensorIteratorBaseERKT_EUlibE_EEviT1_: ; @_ZN2at6native32elementwise_kernel_manual_unrollILi128ELi8EZNS0_22gpu_kernel_impl_nocastINS0_11FillFunctorItEEEEvRNS_18TensorIteratorBaseERKT_EUlibE_EEviT1_
; %bb.0:
	s_load_dword s48, s[4:5], 0x0
	s_load_dword s33, s[4:5], 0x8
	s_or_b32 s4, s4, 8
	v_lshl_or_b32 v12, s6, 10, v0
	v_or_b32_e32 v16, 0x380, v12
	s_waitcnt lgkmcnt(0)
	v_cmp_le_i32_e32 vcc, s48, v16
	s_add_i32 s46, s33, -1
	s_cmp_gt_u32 s46, 1
	s_cselect_b64 s[6:7], -1, 0
	s_and_saveexec_b64 s[0:1], vcc
	s_xor_b64 s[24:25], exec, s[0:1]
	s_cbranch_execz .LBB157_7
; %bb.1:
	s_load_dwordx4 s[0:3], s[4:5], 0x4
	s_load_dwordx2 s[30:31], s[4:5], 0x14
	s_load_dwordx2 s[28:29], s[4:5], 0xc4
	;; [unrolled: 1-line block ×3, first 2 shown]
	s_load_dword s47, s[4:5], 0x110
	s_cmp_lg_u32 s33, 0
	s_cselect_b64 s[38:39], -1, 0
	s_add_u32 s36, s4, 0xc4
	s_addc_u32 s37, s5, 0
	s_min_u32 s49, s46, 15
	s_cmp_gt_u32 s33, 1
	s_cselect_b64 s[34:35], -1, 0
	v_cmp_gt_i32_e32 vcc, s48, v12
	s_and_saveexec_b64 s[40:41], vcc
	s_cbranch_execz .LBB157_14
; %bb.2:
	s_andn2_b64 vcc, exec, s[6:7]
	s_cbranch_vccnz .LBB157_21
; %bb.3:
	s_andn2_b64 vcc, exec, s[38:39]
	s_cbranch_vccnz .LBB157_121
; %bb.4:
	s_add_i32 s51, s49, 1
	s_mov_b32 s50, 0
	s_cmp_eq_u32 s46, 2
	v_mov_b32_e32 v0, 0
	s_cbranch_scc1 .LBB157_123
; %bb.5:
	s_and_b32 s50, s51, 28
	s_mov_b32 s52, 0
	v_mov_b32_e32 v0, 0
	s_mov_b64 s[42:43], s[4:5]
	s_mov_b64 s[44:45], s[36:37]
	v_mov_b32_e32 v2, v12
.LBB157_6:                              ; =>This Inner Loop Header: Depth=1
	s_load_dwordx8 s[8:15], s[42:43], 0x4
	s_load_dwordx4 s[16:19], s[42:43], 0x24
	s_load_dwordx4 s[20:23], s[44:45], 0x0
	s_add_u32 s42, s42, 48
	s_addc_u32 s43, s43, 0
	s_waitcnt lgkmcnt(0)
	v_mul_hi_u32 v1, s9, v2
	v_add_u32_e32 v1, v2, v1
	v_lshrrev_b32_e32 v1, s10, v1
	v_mul_lo_u32 v3, v1, s8
	v_mul_hi_u32 v4, s12, v1
	v_sub_u32_e32 v2, v2, v3
	v_add_u32_e32 v3, v1, v4
	v_lshrrev_b32_e32 v3, s13, v3
	v_mul_lo_u32 v4, v3, s11
	v_mul_hi_u32 v5, s15, v3
	v_sub_u32_e32 v1, v1, v4
	v_add_u32_e32 v4, v3, v5
	v_mul_lo_u32 v2, v2, s20
	v_mul_lo_u32 v1, v1, s21
	v_lshrrev_b32_e32 v4, s16, v4
	v_add3_u32 v0, v2, v0, v1
	v_mul_hi_u32 v2, s18, v4
	v_add_u32_e32 v2, v4, v2
	v_mul_lo_u32 v1, v4, s14
	v_lshrrev_b32_e32 v2, s19, v2
	s_add_i32 s52, s52, 4
	v_sub_u32_e32 v1, v3, v1
	v_mul_lo_u32 v3, v2, s17
	s_add_u32 s44, s44, 16
	v_sub_u32_e32 v3, v4, v3
	s_addc_u32 s45, s45, 0
	v_mul_lo_u32 v1, v1, s22
	v_mul_lo_u32 v3, v3, s23
	s_cmp_lg_u32 s50, s52
	v_add3_u32 v0, v1, v0, v3
	s_cbranch_scc1 .LBB157_6
	s_branch .LBB157_124
.LBB157_7:
	s_andn2_saveexec_b64 s[0:1], s[24:25]
	s_cbranch_execz .LBB157_213
.LBB157_8:
	v_cndmask_b32_e64 v0, 0, 1, s[6:7]
	v_cmp_ne_u32_e64 s[0:1], 1, v0
	s_andn2_b64 vcc, exec, s[6:7]
	s_cbranch_vccnz .LBB157_20
; %bb.9:
	s_mov_b32 s24, 0
	s_cmp_eq_u32 s33, 0
	v_mov_b32_e32 v0, 0
	s_cbranch_scc1 .LBB157_26
; %bb.10:
	s_min_u32 s25, s46, 15
	s_add_i32 s25, s25, 1
	s_cmp_eq_u32 s46, 2
	v_mov_b32_e32 v0, 0
	s_cbranch_scc1 .LBB157_23
; %bb.11:
	s_add_u32 s2, s4, 0xc4
	s_addc_u32 s3, s5, 0
	s_and_b32 s24, s25, 28
	s_mov_b32 s26, 0
	v_mov_b32_e32 v0, 0
	s_mov_b64 s[6:7], s[4:5]
	v_mov_b32_e32 v2, v12
.LBB157_12:                             ; =>This Inner Loop Header: Depth=1
	s_load_dwordx8 s[8:15], s[6:7], 0x4
	s_load_dwordx4 s[16:19], s[6:7], 0x24
	s_load_dwordx4 s[20:23], s[2:3], 0x0
	s_add_u32 s6, s6, 48
	s_addc_u32 s7, s7, 0
	s_waitcnt lgkmcnt(0)
	v_mul_hi_u32 v1, s9, v2
	v_add_u32_e32 v1, v2, v1
	v_lshrrev_b32_e32 v1, s10, v1
	v_mul_lo_u32 v3, v1, s8
	v_mul_hi_u32 v4, s12, v1
	v_sub_u32_e32 v2, v2, v3
	v_add_u32_e32 v3, v1, v4
	v_lshrrev_b32_e32 v3, s13, v3
	v_mul_lo_u32 v4, v3, s11
	v_mul_hi_u32 v5, s15, v3
	v_sub_u32_e32 v1, v1, v4
	v_add_u32_e32 v4, v3, v5
	v_mul_lo_u32 v2, v2, s20
	v_mul_lo_u32 v1, v1, s21
	v_lshrrev_b32_e32 v4, s16, v4
	v_add3_u32 v0, v2, v0, v1
	v_mul_hi_u32 v2, s18, v4
	v_add_u32_e32 v2, v4, v2
	v_mul_lo_u32 v1, v4, s14
	v_lshrrev_b32_e32 v2, s19, v2
	s_add_i32 s26, s26, 4
	v_sub_u32_e32 v1, v3, v1
	v_mul_lo_u32 v3, v2, s17
	s_add_u32 s2, s2, 16
	v_sub_u32_e32 v3, v4, v3
	s_addc_u32 s3, s3, 0
	v_mul_lo_u32 v1, v1, s22
	v_mul_lo_u32 v3, v3, s23
	s_cmp_lg_u32 s24, s26
	v_add3_u32 v0, v1, v0, v3
	s_cbranch_scc1 .LBB157_12
; %bb.13:
	s_and_b32 s8, s25, 3
	s_cmp_eq_u32 s8, 0
	s_cbranch_scc0 .LBB157_24
	s_branch .LBB157_26
.LBB157_14:
	s_or_b64 exec, exec, s[40:41]
	v_cmp_gt_i32_e32 vcc, s48, v12
	s_and_saveexec_b64 s[40:41], vcc
	s_cbranch_execz .LBB157_131
.LBB157_15:
	s_andn2_b64 vcc, exec, s[6:7]
	s_cbranch_vccnz .LBB157_22
; %bb.16:
	s_andn2_b64 vcc, exec, s[38:39]
	s_cbranch_vccnz .LBB157_122
; %bb.17:
	s_add_i32 s51, s49, 1
	s_mov_b32 s50, 0
	s_cmp_eq_u32 s46, 2
	v_mov_b32_e32 v0, 0
	s_cbranch_scc1 .LBB157_139
; %bb.18:
	s_and_b32 s50, s51, 28
	s_mov_b32 s52, 0
	v_mov_b32_e32 v0, 0
	s_mov_b64 s[42:43], s[4:5]
	s_mov_b64 s[44:45], s[36:37]
	v_mov_b32_e32 v2, v12
.LBB157_19:                             ; =>This Inner Loop Header: Depth=1
	s_load_dwordx8 s[8:15], s[42:43], 0x4
	s_load_dwordx4 s[16:19], s[42:43], 0x24
	s_load_dwordx4 s[20:23], s[44:45], 0x0
	s_add_u32 s42, s42, 48
	s_addc_u32 s43, s43, 0
	s_waitcnt lgkmcnt(0)
	v_mul_hi_u32 v1, s9, v2
	v_add_u32_e32 v1, v2, v1
	v_lshrrev_b32_e32 v1, s10, v1
	v_mul_lo_u32 v3, v1, s8
	v_mul_hi_u32 v4, s12, v1
	v_sub_u32_e32 v2, v2, v3
	v_add_u32_e32 v3, v1, v4
	v_lshrrev_b32_e32 v3, s13, v3
	v_mul_lo_u32 v4, v3, s11
	v_mul_hi_u32 v5, s15, v3
	v_sub_u32_e32 v1, v1, v4
	v_add_u32_e32 v4, v3, v5
	v_mul_lo_u32 v2, v2, s20
	v_mul_lo_u32 v1, v1, s21
	v_lshrrev_b32_e32 v4, s16, v4
	v_add3_u32 v0, v2, v0, v1
	v_mul_hi_u32 v2, s18, v4
	v_add_u32_e32 v2, v4, v2
	v_mul_lo_u32 v1, v4, s14
	v_lshrrev_b32_e32 v2, s19, v2
	s_add_i32 s52, s52, 4
	v_sub_u32_e32 v1, v3, v1
	v_mul_lo_u32 v3, v2, s17
	s_add_u32 s44, s44, 16
	v_sub_u32_e32 v3, v4, v3
	s_addc_u32 s45, s45, 0
	v_mul_lo_u32 v1, v1, s22
	v_mul_lo_u32 v3, v3, s23
	s_cmp_eq_u32 s50, s52
	v_add3_u32 v0, v1, v0, v3
	s_cbranch_scc0 .LBB157_19
	s_branch .LBB157_140
.LBB157_20:
                                        ; implicit-def: $vgpr0
	s_branch .LBB157_27
.LBB157_21:
                                        ; implicit-def: $vgpr0
	s_branch .LBB157_128
.LBB157_22:
                                        ; implicit-def: $vgpr0
	s_branch .LBB157_144
.LBB157_23:
	v_mov_b32_e32 v2, v12
	s_and_b32 s8, s25, 3
	s_cmp_eq_u32 s8, 0
	s_cbranch_scc1 .LBB157_26
.LBB157_24:
	s_lshl_b32 s2, s24, 2
	s_add_u32 s2, s2, s4
	s_addc_u32 s3, 0, s5
	s_add_u32 s2, s2, 0xc4
	s_addc_u32 s3, s3, 0
	s_mul_i32 s6, s24, 12
	s_add_u32 s6, s4, s6
	s_addc_u32 s7, 0, s5
.LBB157_25:                             ; =>This Inner Loop Header: Depth=1
	s_load_dwordx2 s[10:11], s[6:7], 0x4
	s_load_dword s9, s[6:7], 0xc
	s_load_dword s12, s[2:3], 0x0
	s_add_u32 s6, s6, 12
	s_addc_u32 s7, s7, 0
	s_waitcnt lgkmcnt(0)
	v_mul_hi_u32 v1, s11, v2
	v_add_u32_e32 v1, v2, v1
	v_lshrrev_b32_e32 v1, s9, v1
	s_add_u32 s2, s2, 4
	v_mul_lo_u32 v3, v1, s10
	s_addc_u32 s3, s3, 0
	s_add_i32 s8, s8, -1
	v_sub_u32_e32 v3, v2, v3
	s_cmp_lg_u32 s8, 0
	v_mov_b32_e32 v2, v1
	v_mad_u64_u32 v[0:1], s[10:11], v3, s12, v[0:1]
	s_cbranch_scc1 .LBB157_25
.LBB157_26:
	s_cbranch_execnz .LBB157_29
.LBB157_27:
	s_load_dwordx4 s[8:11], s[4:5], 0x4
	s_load_dword s2, s[4:5], 0xc4
	s_cmp_lt_u32 s33, 2
	s_waitcnt lgkmcnt(0)
	v_mul_hi_u32 v0, s9, v12
	v_add_u32_e32 v0, v12, v0
	v_lshrrev_b32_e32 v1, s10, v0
	v_mul_lo_u32 v0, v1, s8
	v_sub_u32_e32 v0, v12, v0
	v_mul_lo_u32 v0, v0, s2
	s_cbranch_scc1 .LBB157_29
; %bb.28:
	s_load_dwordx4 s[8:11], s[4:5], 0x10
	s_load_dword s2, s[4:5], 0xc8
	s_waitcnt lgkmcnt(0)
	v_mul_hi_u32 v2, s9, v1
	v_add_u32_e32 v2, v1, v2
	v_lshrrev_b32_e32 v2, s10, v2
	v_mul_lo_u32 v2, v2, s8
	v_sub_u32_e32 v1, v1, v2
	v_mad_u64_u32 v[0:1], s[2:3], v1, s2, v[0:1]
.LBB157_29:
	s_and_b64 vcc, exec, s[0:1]
	v_add_u32_e32 v1, 0x80, v12
	s_cbranch_vccnz .LBB157_35
; %bb.30:
	s_mov_b32 s24, 0
	s_cmp_eq_u32 s33, 0
	v_mov_b32_e32 v2, 0
	s_cbranch_scc1 .LBB157_39
; %bb.31:
	s_min_u32 s25, s46, 15
	s_add_i32 s25, s25, 1
	s_cmp_eq_u32 s46, 2
	v_mov_b32_e32 v2, 0
	s_cbranch_scc1 .LBB157_36
; %bb.32:
	s_add_u32 s2, s4, 0xc4
	s_addc_u32 s3, s5, 0
	s_and_b32 s24, s25, 28
	s_mov_b32 s26, 0
	v_mov_b32_e32 v2, 0
	s_mov_b64 s[6:7], s[4:5]
	v_mov_b32_e32 v4, v1
.LBB157_33:                             ; =>This Inner Loop Header: Depth=1
	s_load_dwordx8 s[8:15], s[6:7], 0x4
	s_load_dwordx4 s[16:19], s[6:7], 0x24
	s_load_dwordx4 s[20:23], s[2:3], 0x0
	s_add_u32 s6, s6, 48
	s_addc_u32 s7, s7, 0
	s_waitcnt lgkmcnt(0)
	v_mul_hi_u32 v3, s9, v4
	v_add_u32_e32 v3, v4, v3
	v_lshrrev_b32_e32 v3, s10, v3
	v_mul_lo_u32 v5, v3, s8
	v_mul_hi_u32 v6, s12, v3
	v_sub_u32_e32 v4, v4, v5
	v_add_u32_e32 v5, v3, v6
	v_lshrrev_b32_e32 v5, s13, v5
	v_mul_lo_u32 v6, v5, s11
	v_mul_hi_u32 v7, s15, v5
	v_sub_u32_e32 v3, v3, v6
	v_add_u32_e32 v6, v5, v7
	v_mul_lo_u32 v4, v4, s20
	v_mul_lo_u32 v3, v3, s21
	v_lshrrev_b32_e32 v6, s16, v6
	v_add3_u32 v2, v4, v2, v3
	v_mul_hi_u32 v4, s18, v6
	v_add_u32_e32 v4, v6, v4
	v_mul_lo_u32 v3, v6, s14
	v_lshrrev_b32_e32 v4, s19, v4
	s_add_i32 s26, s26, 4
	v_sub_u32_e32 v3, v5, v3
	v_mul_lo_u32 v5, v4, s17
	s_add_u32 s2, s2, 16
	v_sub_u32_e32 v5, v6, v5
	s_addc_u32 s3, s3, 0
	v_mul_lo_u32 v3, v3, s22
	v_mul_lo_u32 v5, v5, s23
	s_cmp_lg_u32 s24, s26
	v_add3_u32 v2, v3, v2, v5
	s_cbranch_scc1 .LBB157_33
; %bb.34:
	s_and_b32 s8, s25, 3
	s_cmp_eq_u32 s8, 0
	s_cbranch_scc0 .LBB157_37
	s_branch .LBB157_39
.LBB157_35:
                                        ; implicit-def: $vgpr2
	s_branch .LBB157_40
.LBB157_36:
	v_mov_b32_e32 v4, v1
	s_and_b32 s8, s25, 3
	s_cmp_eq_u32 s8, 0
	s_cbranch_scc1 .LBB157_39
.LBB157_37:
	s_lshl_b32 s2, s24, 2
	s_add_u32 s2, s2, s4
	s_addc_u32 s3, 0, s5
	s_add_u32 s2, s2, 0xc4
	s_addc_u32 s3, s3, 0
	s_mul_i32 s6, s24, 12
	s_add_u32 s6, s4, s6
	s_addc_u32 s7, 0, s5
.LBB157_38:                             ; =>This Inner Loop Header: Depth=1
	s_load_dwordx2 s[10:11], s[6:7], 0x4
	s_load_dword s9, s[6:7], 0xc
	s_load_dword s12, s[2:3], 0x0
	s_add_u32 s6, s6, 12
	s_addc_u32 s7, s7, 0
	s_waitcnt lgkmcnt(0)
	v_mul_hi_u32 v3, s11, v4
	v_add_u32_e32 v3, v4, v3
	v_lshrrev_b32_e32 v3, s9, v3
	s_add_u32 s2, s2, 4
	v_mul_lo_u32 v5, v3, s10
	s_addc_u32 s3, s3, 0
	s_add_i32 s8, s8, -1
	v_sub_u32_e32 v5, v4, v5
	s_cmp_lg_u32 s8, 0
	v_mov_b32_e32 v4, v3
	v_mad_u64_u32 v[2:3], s[10:11], v5, s12, v[2:3]
	s_cbranch_scc1 .LBB157_38
.LBB157_39:
	s_cbranch_execnz .LBB157_42
.LBB157_40:
	s_load_dwordx4 s[8:11], s[4:5], 0x4
	s_load_dword s2, s[4:5], 0xc4
	s_cmp_lt_u32 s33, 2
	s_waitcnt lgkmcnt(0)
	v_mul_hi_u32 v2, s9, v1
	v_add_u32_e32 v2, v1, v2
	v_lshrrev_b32_e32 v3, s10, v2
	v_mul_lo_u32 v2, v3, s8
	v_sub_u32_e32 v1, v1, v2
	v_mul_lo_u32 v2, v1, s2
	s_cbranch_scc1 .LBB157_42
; %bb.41:
	s_load_dwordx4 s[8:11], s[4:5], 0x10
	s_load_dword s2, s[4:5], 0xc8
	s_waitcnt lgkmcnt(0)
	v_mul_hi_u32 v1, s9, v3
	v_add_u32_e32 v1, v3, v1
	v_lshrrev_b32_e32 v1, s10, v1
	v_mul_lo_u32 v1, v1, s8
	v_sub_u32_e32 v1, v3, v1
	v_mad_u64_u32 v[2:3], s[2:3], v1, s2, v[2:3]
.LBB157_42:
	s_and_b64 vcc, exec, s[0:1]
	v_add_u32_e32 v1, 0x100, v12
	s_cbranch_vccnz .LBB157_48
; %bb.43:
	s_mov_b32 s24, 0
	s_cmp_eq_u32 s33, 0
	v_mov_b32_e32 v4, 0
	s_cbranch_scc1 .LBB157_52
; %bb.44:
	s_min_u32 s25, s46, 15
	s_add_i32 s25, s25, 1
	s_cmp_eq_u32 s46, 2
	v_mov_b32_e32 v4, 0
	s_cbranch_scc1 .LBB157_49
; %bb.45:
	s_add_u32 s2, s4, 0xc4
	s_addc_u32 s3, s5, 0
	s_and_b32 s24, s25, 28
	s_mov_b32 s26, 0
	v_mov_b32_e32 v4, 0
	s_mov_b64 s[6:7], s[4:5]
	v_mov_b32_e32 v3, v1
.LBB157_46:                             ; =>This Inner Loop Header: Depth=1
	s_load_dwordx8 s[8:15], s[6:7], 0x4
	s_load_dwordx4 s[16:19], s[6:7], 0x24
	s_load_dwordx4 s[20:23], s[2:3], 0x0
	s_add_u32 s6, s6, 48
	s_addc_u32 s7, s7, 0
	s_waitcnt lgkmcnt(0)
	v_mul_hi_u32 v5, s9, v3
	v_add_u32_e32 v5, v3, v5
	v_lshrrev_b32_e32 v5, s10, v5
	v_mul_lo_u32 v6, v5, s8
	v_mul_hi_u32 v7, s12, v5
	v_sub_u32_e32 v3, v3, v6
	v_add_u32_e32 v6, v5, v7
	v_lshrrev_b32_e32 v6, s13, v6
	v_mul_lo_u32 v7, v6, s11
	v_mul_hi_u32 v8, s15, v6
	v_sub_u32_e32 v5, v5, v7
	v_add_u32_e32 v7, v6, v8
	v_mul_lo_u32 v3, v3, s20
	v_mul_lo_u32 v5, v5, s21
	v_lshrrev_b32_e32 v7, s16, v7
	v_add3_u32 v4, v3, v4, v5
	v_mul_lo_u32 v3, v7, s14
	v_mul_hi_u32 v5, s18, v7
	v_sub_u32_e32 v3, v6, v3
	v_add_u32_e32 v5, v7, v5
	v_mul_lo_u32 v6, v3, s22
	v_lshrrev_b32_e32 v3, s19, v5
	s_add_i32 s26, s26, 4
	v_mul_lo_u32 v5, v3, s17
	s_add_u32 s2, s2, 16
	v_sub_u32_e32 v5, v7, v5
	s_addc_u32 s3, s3, 0
	v_mul_lo_u32 v5, v5, s23
	s_cmp_lg_u32 s24, s26
	v_add3_u32 v4, v6, v4, v5
	s_cbranch_scc1 .LBB157_46
; %bb.47:
	s_and_b32 s8, s25, 3
	s_cmp_eq_u32 s8, 0
	s_cbranch_scc0 .LBB157_50
	s_branch .LBB157_52
.LBB157_48:
                                        ; implicit-def: $vgpr4
	s_branch .LBB157_53
.LBB157_49:
	v_mov_b32_e32 v3, v1
	s_and_b32 s8, s25, 3
	s_cmp_eq_u32 s8, 0
	s_cbranch_scc1 .LBB157_52
.LBB157_50:
	s_lshl_b32 s2, s24, 2
	s_add_u32 s2, s2, s4
	s_addc_u32 s3, 0, s5
	s_add_u32 s2, s2, 0xc4
	s_addc_u32 s3, s3, 0
	s_mul_i32 s6, s24, 12
	s_add_u32 s6, s4, s6
	s_addc_u32 s7, 0, s5
.LBB157_51:                             ; =>This Inner Loop Header: Depth=1
	s_load_dwordx2 s[10:11], s[6:7], 0x4
	s_load_dword s9, s[6:7], 0xc
	s_load_dword s12, s[2:3], 0x0
	s_add_u32 s6, s6, 12
	s_addc_u32 s7, s7, 0
	s_waitcnt lgkmcnt(0)
	v_mul_hi_u32 v5, s11, v3
	v_add_u32_e32 v5, v3, v5
	v_lshrrev_b32_e32 v5, s9, v5
	s_add_u32 s2, s2, 4
	v_mul_lo_u32 v6, v5, s10
	s_addc_u32 s3, s3, 0
	s_add_i32 s8, s8, -1
	v_sub_u32_e32 v6, v3, v6
	s_cmp_lg_u32 s8, 0
	v_mov_b32_e32 v3, v5
	v_mad_u64_u32 v[4:5], s[10:11], v6, s12, v[4:5]
	s_cbranch_scc1 .LBB157_51
.LBB157_52:
	s_cbranch_execnz .LBB157_55
.LBB157_53:
	s_load_dwordx4 s[8:11], s[4:5], 0x4
	s_load_dword s2, s[4:5], 0xc4
	s_cmp_lt_u32 s33, 2
	s_waitcnt lgkmcnt(0)
	v_mul_hi_u32 v3, s9, v1
	v_add_u32_e32 v3, v1, v3
	v_lshrrev_b32_e32 v3, s10, v3
	v_mul_lo_u32 v4, v3, s8
	v_sub_u32_e32 v1, v1, v4
	v_mul_lo_u32 v4, v1, s2
	s_cbranch_scc1 .LBB157_55
; %bb.54:
	s_load_dwordx4 s[8:11], s[4:5], 0x10
	s_load_dword s2, s[4:5], 0xc8
	s_waitcnt lgkmcnt(0)
	v_mul_hi_u32 v1, s9, v3
	v_add_u32_e32 v1, v3, v1
	v_lshrrev_b32_e32 v1, s10, v1
	v_mul_lo_u32 v1, v1, s8
	v_sub_u32_e32 v1, v3, v1
	v_mad_u64_u32 v[4:5], s[2:3], v1, s2, v[4:5]
.LBB157_55:
	s_and_b64 vcc, exec, s[0:1]
	v_add_u32_e32 v1, 0x180, v12
	s_cbranch_vccnz .LBB157_61
; %bb.56:
	s_mov_b32 s24, 0
	s_cmp_eq_u32 s33, 0
	v_mov_b32_e32 v6, 0
	s_cbranch_scc1 .LBB157_65
; %bb.57:
	s_min_u32 s25, s46, 15
	s_add_i32 s25, s25, 1
	s_cmp_eq_u32 s46, 2
	v_mov_b32_e32 v6, 0
	s_cbranch_scc1 .LBB157_62
; %bb.58:
	s_add_u32 s2, s4, 0xc4
	s_addc_u32 s3, s5, 0
	s_and_b32 s24, s25, 28
	s_mov_b32 s26, 0
	v_mov_b32_e32 v6, 0
	s_mov_b64 s[6:7], s[4:5]
	v_mov_b32_e32 v3, v1
.LBB157_59:                             ; =>This Inner Loop Header: Depth=1
	s_load_dwordx8 s[8:15], s[6:7], 0x4
	s_load_dwordx4 s[16:19], s[6:7], 0x24
	s_load_dwordx4 s[20:23], s[2:3], 0x0
	s_add_u32 s6, s6, 48
	s_addc_u32 s7, s7, 0
	s_waitcnt lgkmcnt(0)
	v_mul_hi_u32 v5, s9, v3
	v_add_u32_e32 v5, v3, v5
	v_lshrrev_b32_e32 v5, s10, v5
	v_mul_lo_u32 v7, v5, s8
	v_mul_hi_u32 v8, s12, v5
	v_sub_u32_e32 v3, v3, v7
	v_add_u32_e32 v7, v5, v8
	v_lshrrev_b32_e32 v7, s13, v7
	v_mul_lo_u32 v8, v7, s11
	v_mul_hi_u32 v9, s15, v7
	v_sub_u32_e32 v5, v5, v8
	v_add_u32_e32 v8, v7, v9
	v_mul_lo_u32 v3, v3, s20
	v_mul_lo_u32 v5, v5, s21
	v_lshrrev_b32_e32 v8, s16, v8
	v_add3_u32 v5, v3, v6, v5
	v_mul_lo_u32 v3, v8, s14
	v_mul_hi_u32 v6, s18, v8
	v_sub_u32_e32 v3, v7, v3
	v_add_u32_e32 v6, v8, v6
	v_mul_lo_u32 v7, v3, s22
	v_lshrrev_b32_e32 v3, s19, v6
	s_add_i32 s26, s26, 4
	v_mul_lo_u32 v6, v3, s17
	s_add_u32 s2, s2, 16
	v_sub_u32_e32 v6, v8, v6
	s_addc_u32 s3, s3, 0
	v_mul_lo_u32 v6, v6, s23
	s_cmp_lg_u32 s24, s26
	v_add3_u32 v6, v7, v5, v6
	s_cbranch_scc1 .LBB157_59
; %bb.60:
	s_and_b32 s8, s25, 3
	s_cmp_eq_u32 s8, 0
	s_cbranch_scc0 .LBB157_63
	s_branch .LBB157_65
.LBB157_61:
                                        ; implicit-def: $vgpr6
	s_branch .LBB157_66
.LBB157_62:
	v_mov_b32_e32 v3, v1
	s_and_b32 s8, s25, 3
	s_cmp_eq_u32 s8, 0
	s_cbranch_scc1 .LBB157_65
.LBB157_63:
	s_lshl_b32 s2, s24, 2
	s_add_u32 s2, s2, s4
	s_addc_u32 s3, 0, s5
	s_add_u32 s2, s2, 0xc4
	s_addc_u32 s3, s3, 0
	s_mul_i32 s6, s24, 12
	s_add_u32 s6, s4, s6
	s_addc_u32 s7, 0, s5
.LBB157_64:                             ; =>This Inner Loop Header: Depth=1
	s_load_dwordx2 s[10:11], s[6:7], 0x4
	s_load_dword s9, s[6:7], 0xc
	s_load_dword s12, s[2:3], 0x0
	s_add_u32 s6, s6, 12
	s_addc_u32 s7, s7, 0
	s_waitcnt lgkmcnt(0)
	v_mul_hi_u32 v5, s11, v3
	v_add_u32_e32 v5, v3, v5
	v_lshrrev_b32_e32 v5, s9, v5
	s_add_u32 s2, s2, 4
	v_mul_lo_u32 v7, v5, s10
	s_addc_u32 s3, s3, 0
	s_add_i32 s8, s8, -1
	v_sub_u32_e32 v7, v3, v7
	s_cmp_lg_u32 s8, 0
	v_mov_b32_e32 v3, v5
	v_mad_u64_u32 v[6:7], s[10:11], v7, s12, v[6:7]
	s_cbranch_scc1 .LBB157_64
.LBB157_65:
	s_cbranch_execnz .LBB157_68
.LBB157_66:
	s_load_dwordx4 s[8:11], s[4:5], 0x4
	s_load_dword s2, s[4:5], 0xc4
	s_cmp_lt_u32 s33, 2
	s_waitcnt lgkmcnt(0)
	v_mul_hi_u32 v3, s9, v1
	v_add_u32_e32 v3, v1, v3
	v_lshrrev_b32_e32 v3, s10, v3
	v_mul_lo_u32 v5, v3, s8
	v_sub_u32_e32 v1, v1, v5
	v_mul_lo_u32 v6, v1, s2
	s_cbranch_scc1 .LBB157_68
; %bb.67:
	s_load_dwordx4 s[8:11], s[4:5], 0x10
	s_load_dword s2, s[4:5], 0xc8
	s_waitcnt lgkmcnt(0)
	v_mul_hi_u32 v1, s9, v3
	v_add_u32_e32 v1, v3, v1
	v_lshrrev_b32_e32 v1, s10, v1
	v_mul_lo_u32 v1, v1, s8
	v_sub_u32_e32 v1, v3, v1
	v_mad_u64_u32 v[6:7], s[2:3], v1, s2, v[6:7]
.LBB157_68:
	s_and_b64 vcc, exec, s[0:1]
	v_add_u32_e32 v1, 0x200, v12
	s_cbranch_vccnz .LBB157_74
; %bb.69:
	s_mov_b32 s24, 0
	s_cmp_eq_u32 s33, 0
	v_mov_b32_e32 v8, 0
	s_cbranch_scc1 .LBB157_78
; %bb.70:
	s_min_u32 s25, s46, 15
	s_add_i32 s25, s25, 1
	s_cmp_eq_u32 s46, 2
	v_mov_b32_e32 v8, 0
	s_cbranch_scc1 .LBB157_75
; %bb.71:
	s_add_u32 s2, s4, 0xc4
	s_addc_u32 s3, s5, 0
	s_and_b32 s24, s25, 28
	s_mov_b32 s26, 0
	v_mov_b32_e32 v8, 0
	s_mov_b64 s[6:7], s[4:5]
	v_mov_b32_e32 v3, v1
.LBB157_72:                             ; =>This Inner Loop Header: Depth=1
	s_load_dwordx8 s[8:15], s[6:7], 0x4
	s_load_dwordx4 s[16:19], s[6:7], 0x24
	s_load_dwordx4 s[20:23], s[2:3], 0x0
	s_add_u32 s6, s6, 48
	s_addc_u32 s7, s7, 0
	s_waitcnt lgkmcnt(0)
	v_mul_hi_u32 v5, s9, v3
	v_add_u32_e32 v5, v3, v5
	v_lshrrev_b32_e32 v5, s10, v5
	v_mul_lo_u32 v7, v5, s8
	v_mul_hi_u32 v9, s12, v5
	v_sub_u32_e32 v3, v3, v7
	v_add_u32_e32 v7, v5, v9
	v_lshrrev_b32_e32 v7, s13, v7
	v_mul_lo_u32 v9, v7, s11
	v_mul_hi_u32 v10, s15, v7
	v_sub_u32_e32 v5, v5, v9
	v_add_u32_e32 v9, v7, v10
	v_mul_lo_u32 v3, v3, s20
	v_mul_lo_u32 v5, v5, s21
	v_lshrrev_b32_e32 v9, s16, v9
	v_add3_u32 v5, v3, v8, v5
	v_mul_lo_u32 v3, v9, s14
	v_mul_hi_u32 v8, s18, v9
	v_sub_u32_e32 v3, v7, v3
	v_add_u32_e32 v7, v9, v8
	v_mul_lo_u32 v8, v3, s22
	v_lshrrev_b32_e32 v3, s19, v7
	s_add_i32 s26, s26, 4
	v_mul_lo_u32 v7, v3, s17
	s_add_u32 s2, s2, 16
	v_sub_u32_e32 v7, v9, v7
	s_addc_u32 s3, s3, 0
	v_mul_lo_u32 v7, v7, s23
	s_cmp_lg_u32 s24, s26
	v_add3_u32 v8, v8, v5, v7
	s_cbranch_scc1 .LBB157_72
; %bb.73:
	s_and_b32 s8, s25, 3
	s_cmp_eq_u32 s8, 0
	s_cbranch_scc0 .LBB157_76
	s_branch .LBB157_78
.LBB157_74:
                                        ; implicit-def: $vgpr8
	s_branch .LBB157_79
.LBB157_75:
	v_mov_b32_e32 v3, v1
	s_and_b32 s8, s25, 3
	s_cmp_eq_u32 s8, 0
	s_cbranch_scc1 .LBB157_78
.LBB157_76:
	s_lshl_b32 s2, s24, 2
	s_add_u32 s2, s2, s4
	s_addc_u32 s3, 0, s5
	s_add_u32 s2, s2, 0xc4
	s_addc_u32 s3, s3, 0
	s_mul_i32 s6, s24, 12
	s_add_u32 s6, s4, s6
	s_addc_u32 s7, 0, s5
.LBB157_77:                             ; =>This Inner Loop Header: Depth=1
	s_load_dwordx2 s[10:11], s[6:7], 0x4
	s_load_dword s9, s[6:7], 0xc
	s_load_dword s12, s[2:3], 0x0
	s_add_u32 s6, s6, 12
	s_addc_u32 s7, s7, 0
	s_waitcnt lgkmcnt(0)
	v_mul_hi_u32 v5, s11, v3
	v_add_u32_e32 v5, v3, v5
	v_lshrrev_b32_e32 v5, s9, v5
	s_add_u32 s2, s2, 4
	v_mul_lo_u32 v7, v5, s10
	s_addc_u32 s3, s3, 0
	s_add_i32 s8, s8, -1
	v_sub_u32_e32 v7, v3, v7
	s_cmp_lg_u32 s8, 0
	v_mov_b32_e32 v3, v5
	v_mad_u64_u32 v[8:9], s[10:11], v7, s12, v[8:9]
	s_cbranch_scc1 .LBB157_77
.LBB157_78:
	s_cbranch_execnz .LBB157_81
.LBB157_79:
	s_load_dwordx4 s[8:11], s[4:5], 0x4
	s_load_dword s2, s[4:5], 0xc4
	s_cmp_lt_u32 s33, 2
	s_waitcnt lgkmcnt(0)
	v_mul_hi_u32 v3, s9, v1
	v_add_u32_e32 v3, v1, v3
	v_lshrrev_b32_e32 v3, s10, v3
	v_mul_lo_u32 v5, v3, s8
	v_sub_u32_e32 v1, v1, v5
	v_mul_lo_u32 v8, v1, s2
	s_cbranch_scc1 .LBB157_81
; %bb.80:
	s_load_dwordx4 s[8:11], s[4:5], 0x10
	s_load_dword s2, s[4:5], 0xc8
	s_waitcnt lgkmcnt(0)
	v_mul_hi_u32 v1, s9, v3
	v_add_u32_e32 v1, v3, v1
	v_lshrrev_b32_e32 v1, s10, v1
	v_mul_lo_u32 v1, v1, s8
	v_sub_u32_e32 v1, v3, v1
	v_mad_u64_u32 v[8:9], s[2:3], v1, s2, v[8:9]
.LBB157_81:
	s_and_b64 vcc, exec, s[0:1]
	v_add_u32_e32 v1, 0x280, v12
	s_cbranch_vccnz .LBB157_87
; %bb.82:
	s_mov_b32 s24, 0
	s_cmp_eq_u32 s33, 0
	v_mov_b32_e32 v10, 0
	s_cbranch_scc1 .LBB157_91
; %bb.83:
	s_min_u32 s25, s46, 15
	s_add_i32 s25, s25, 1
	s_cmp_eq_u32 s46, 2
	v_mov_b32_e32 v10, 0
	s_cbranch_scc1 .LBB157_88
; %bb.84:
	s_add_u32 s2, s4, 0xc4
	s_addc_u32 s3, s5, 0
	s_and_b32 s24, s25, 28
	s_mov_b32 s26, 0
	v_mov_b32_e32 v10, 0
	s_mov_b64 s[6:7], s[4:5]
	v_mov_b32_e32 v3, v1
.LBB157_85:                             ; =>This Inner Loop Header: Depth=1
	s_load_dwordx8 s[8:15], s[6:7], 0x4
	s_load_dwordx4 s[16:19], s[6:7], 0x24
	s_load_dwordx4 s[20:23], s[2:3], 0x0
	s_add_u32 s6, s6, 48
	s_addc_u32 s7, s7, 0
	s_waitcnt lgkmcnt(0)
	v_mul_hi_u32 v5, s9, v3
	v_add_u32_e32 v5, v3, v5
	v_lshrrev_b32_e32 v5, s10, v5
	v_mul_lo_u32 v7, v5, s8
	v_mul_hi_u32 v9, s12, v5
	v_sub_u32_e32 v3, v3, v7
	v_add_u32_e32 v7, v5, v9
	v_lshrrev_b32_e32 v7, s13, v7
	v_mul_lo_u32 v9, v7, s11
	v_mul_hi_u32 v11, s15, v7
	v_sub_u32_e32 v5, v5, v9
	v_add_u32_e32 v9, v7, v11
	v_mul_lo_u32 v3, v3, s20
	v_mul_lo_u32 v5, v5, s21
	v_lshrrev_b32_e32 v9, s16, v9
	v_add3_u32 v5, v3, v10, v5
	v_mul_lo_u32 v3, v9, s14
	v_mul_hi_u32 v10, s18, v9
	v_sub_u32_e32 v3, v7, v3
	v_add_u32_e32 v7, v9, v10
	v_mul_lo_u32 v10, v3, s22
	v_lshrrev_b32_e32 v3, s19, v7
	s_add_i32 s26, s26, 4
	v_mul_lo_u32 v7, v3, s17
	s_add_u32 s2, s2, 16
	v_sub_u32_e32 v7, v9, v7
	s_addc_u32 s3, s3, 0
	v_mul_lo_u32 v7, v7, s23
	s_cmp_lg_u32 s24, s26
	v_add3_u32 v10, v10, v5, v7
	s_cbranch_scc1 .LBB157_85
; %bb.86:
	s_and_b32 s8, s25, 3
	s_cmp_eq_u32 s8, 0
	s_cbranch_scc0 .LBB157_89
	s_branch .LBB157_91
.LBB157_87:
                                        ; implicit-def: $vgpr10
	s_branch .LBB157_92
.LBB157_88:
	v_mov_b32_e32 v3, v1
	s_and_b32 s8, s25, 3
	s_cmp_eq_u32 s8, 0
	s_cbranch_scc1 .LBB157_91
.LBB157_89:
	s_lshl_b32 s2, s24, 2
	s_add_u32 s2, s2, s4
	s_addc_u32 s3, 0, s5
	s_add_u32 s2, s2, 0xc4
	s_addc_u32 s3, s3, 0
	s_mul_i32 s6, s24, 12
	s_add_u32 s6, s4, s6
	s_addc_u32 s7, 0, s5
.LBB157_90:                             ; =>This Inner Loop Header: Depth=1
	s_load_dwordx2 s[10:11], s[6:7], 0x4
	s_load_dword s9, s[6:7], 0xc
	s_load_dword s12, s[2:3], 0x0
	s_add_u32 s6, s6, 12
	s_addc_u32 s7, s7, 0
	s_waitcnt lgkmcnt(0)
	v_mul_hi_u32 v5, s11, v3
	v_add_u32_e32 v5, v3, v5
	v_lshrrev_b32_e32 v5, s9, v5
	s_add_u32 s2, s2, 4
	v_mul_lo_u32 v7, v5, s10
	s_addc_u32 s3, s3, 0
	s_add_i32 s8, s8, -1
	v_sub_u32_e32 v7, v3, v7
	s_cmp_lg_u32 s8, 0
	v_mov_b32_e32 v3, v5
	v_mad_u64_u32 v[10:11], s[10:11], v7, s12, v[10:11]
	s_cbranch_scc1 .LBB157_90
.LBB157_91:
	s_cbranch_execnz .LBB157_94
.LBB157_92:
	s_load_dwordx4 s[8:11], s[4:5], 0x4
	s_load_dword s2, s[4:5], 0xc4
	s_cmp_lt_u32 s33, 2
	s_waitcnt lgkmcnt(0)
	v_mul_hi_u32 v3, s9, v1
	v_add_u32_e32 v3, v1, v3
	v_lshrrev_b32_e32 v3, s10, v3
	v_mul_lo_u32 v5, v3, s8
	v_sub_u32_e32 v1, v1, v5
	v_mul_lo_u32 v10, v1, s2
	s_cbranch_scc1 .LBB157_94
; %bb.93:
	s_load_dwordx4 s[8:11], s[4:5], 0x10
	s_load_dword s2, s[4:5], 0xc8
	s_waitcnt lgkmcnt(0)
	v_mul_hi_u32 v1, s9, v3
	v_add_u32_e32 v1, v3, v1
	v_lshrrev_b32_e32 v1, s10, v1
	v_mul_lo_u32 v1, v1, s8
	v_sub_u32_e32 v1, v3, v1
	v_mad_u64_u32 v[10:11], s[2:3], v1, s2, v[10:11]
.LBB157_94:
	s_and_b64 vcc, exec, s[0:1]
	v_add_u32_e32 v1, 0x300, v12
	s_cbranch_vccnz .LBB157_100
; %bb.95:
	s_mov_b32 s24, 0
	s_cmp_eq_u32 s33, 0
	v_mov_b32_e32 v12, 0
	s_cbranch_scc1 .LBB157_104
; %bb.96:
	s_min_u32 s25, s46, 15
	s_add_i32 s25, s25, 1
	s_cmp_eq_u32 s46, 2
	v_mov_b32_e32 v12, 0
	s_cbranch_scc1 .LBB157_101
; %bb.97:
	s_add_u32 s2, s4, 0xc4
	s_addc_u32 s3, s5, 0
	s_and_b32 s24, s25, 28
	s_mov_b32 s26, 0
	v_mov_b32_e32 v12, 0
	s_mov_b64 s[6:7], s[4:5]
	v_mov_b32_e32 v3, v1
.LBB157_98:                             ; =>This Inner Loop Header: Depth=1
	s_load_dwordx8 s[8:15], s[6:7], 0x4
	s_load_dwordx4 s[16:19], s[6:7], 0x24
	s_load_dwordx4 s[20:23], s[2:3], 0x0
	s_add_u32 s6, s6, 48
	s_addc_u32 s7, s7, 0
	s_waitcnt lgkmcnt(0)
	v_mul_hi_u32 v5, s9, v3
	v_add_u32_e32 v5, v3, v5
	v_lshrrev_b32_e32 v5, s10, v5
	v_mul_lo_u32 v7, v5, s8
	v_mul_hi_u32 v9, s12, v5
	v_sub_u32_e32 v3, v3, v7
	v_add_u32_e32 v7, v5, v9
	v_lshrrev_b32_e32 v7, s13, v7
	v_mul_lo_u32 v9, v7, s11
	v_mul_hi_u32 v11, s15, v7
	v_sub_u32_e32 v5, v5, v9
	v_add_u32_e32 v9, v7, v11
	v_mul_lo_u32 v3, v3, s20
	v_mul_lo_u32 v5, v5, s21
	v_lshrrev_b32_e32 v9, s16, v9
	v_add3_u32 v5, v3, v12, v5
	v_mul_lo_u32 v3, v9, s14
	v_mul_hi_u32 v11, s18, v9
	v_sub_u32_e32 v3, v7, v3
	v_add_u32_e32 v7, v9, v11
	v_mul_lo_u32 v11, v3, s22
	v_lshrrev_b32_e32 v3, s19, v7
	s_add_i32 s26, s26, 4
	v_mul_lo_u32 v7, v3, s17
	s_add_u32 s2, s2, 16
	v_sub_u32_e32 v7, v9, v7
	s_addc_u32 s3, s3, 0
	v_mul_lo_u32 v7, v7, s23
	s_cmp_lg_u32 s24, s26
	v_add3_u32 v12, v11, v5, v7
	s_cbranch_scc1 .LBB157_98
; %bb.99:
	s_and_b32 s8, s25, 3
	s_cmp_eq_u32 s8, 0
	s_cbranch_scc0 .LBB157_102
	s_branch .LBB157_104
.LBB157_100:
                                        ; implicit-def: $vgpr12
	s_branch .LBB157_105
.LBB157_101:
	v_mov_b32_e32 v3, v1
	s_and_b32 s8, s25, 3
	s_cmp_eq_u32 s8, 0
	s_cbranch_scc1 .LBB157_104
.LBB157_102:
	s_lshl_b32 s2, s24, 2
	s_add_u32 s2, s2, s4
	s_addc_u32 s3, 0, s5
	s_add_u32 s2, s2, 0xc4
	s_addc_u32 s3, s3, 0
	s_mul_i32 s6, s24, 12
	s_add_u32 s6, s4, s6
	s_addc_u32 s7, 0, s5
.LBB157_103:                            ; =>This Inner Loop Header: Depth=1
	s_load_dwordx2 s[10:11], s[6:7], 0x4
	s_load_dword s9, s[6:7], 0xc
	s_load_dword s12, s[2:3], 0x0
	s_add_u32 s6, s6, 12
	s_addc_u32 s7, s7, 0
	s_waitcnt lgkmcnt(0)
	v_mul_hi_u32 v5, s11, v3
	v_add_u32_e32 v5, v3, v5
	v_lshrrev_b32_e32 v5, s9, v5
	s_add_u32 s2, s2, 4
	v_mul_lo_u32 v7, v5, s10
	s_addc_u32 s3, s3, 0
	s_add_i32 s8, s8, -1
	v_sub_u32_e32 v7, v3, v7
	s_cmp_lg_u32 s8, 0
	v_mov_b32_e32 v3, v5
	v_mad_u64_u32 v[12:13], s[10:11], v7, s12, v[12:13]
	s_cbranch_scc1 .LBB157_103
.LBB157_104:
	s_cbranch_execnz .LBB157_107
.LBB157_105:
	s_load_dwordx4 s[8:11], s[4:5], 0x4
	s_load_dword s2, s[4:5], 0xc4
	s_cmp_lt_u32 s33, 2
	s_waitcnt lgkmcnt(0)
	v_mul_hi_u32 v3, s9, v1
	v_add_u32_e32 v3, v1, v3
	v_lshrrev_b32_e32 v3, s10, v3
	v_mul_lo_u32 v5, v3, s8
	v_sub_u32_e32 v1, v1, v5
	v_mul_lo_u32 v12, v1, s2
	s_cbranch_scc1 .LBB157_107
; %bb.106:
	s_load_dwordx4 s[8:11], s[4:5], 0x10
	s_load_dword s2, s[4:5], 0xc8
	s_waitcnt lgkmcnt(0)
	v_mul_hi_u32 v1, s9, v3
	v_add_u32_e32 v1, v3, v1
	v_lshrrev_b32_e32 v1, s10, v1
	v_mul_lo_u32 v1, v1, s8
	v_sub_u32_e32 v1, v3, v1
	v_mad_u64_u32 v[12:13], s[2:3], v1, s2, v[12:13]
.LBB157_107:
	s_and_b64 vcc, exec, s[0:1]
	s_cbranch_vccnz .LBB157_113
; %bb.108:
	s_mov_b32 s22, 0
	s_cmp_eq_u32 s33, 0
	v_mov_b32_e32 v14, 0
	s_cbranch_scc1 .LBB157_117
; %bb.109:
	s_min_u32 s23, s46, 15
	s_add_i32 s23, s23, 1
	s_cmp_eq_u32 s46, 2
	v_mov_b32_e32 v14, 0
	s_cbranch_scc1 .LBB157_114
; %bb.110:
	s_add_u32 s6, s4, 0xc4
	s_addc_u32 s7, s5, 0
	s_and_b32 s22, s23, 28
	s_mov_b32 s24, 0
	v_mov_b32_e32 v14, 0
	s_mov_b64 s[20:21], s[4:5]
	v_mov_b32_e32 v1, v16
.LBB157_111:                            ; =>This Inner Loop Header: Depth=1
	s_load_dwordx8 s[8:15], s[20:21], 0x4
	s_load_dwordx4 s[0:3], s[20:21], 0x24
	s_load_dwordx4 s[16:19], s[6:7], 0x0
	s_add_u32 s20, s20, 48
	s_addc_u32 s21, s21, 0
	s_waitcnt lgkmcnt(0)
	v_mul_hi_u32 v3, s9, v1
	v_add_u32_e32 v3, v1, v3
	v_lshrrev_b32_e32 v3, s10, v3
	v_mul_lo_u32 v5, v3, s8
	v_mul_hi_u32 v7, s12, v3
	v_sub_u32_e32 v1, v1, v5
	v_add_u32_e32 v5, v3, v7
	v_lshrrev_b32_e32 v5, s13, v5
	v_mul_lo_u32 v7, v5, s11
	v_mul_hi_u32 v9, s15, v5
	v_sub_u32_e32 v3, v3, v7
	v_add_u32_e32 v7, v5, v9
	v_mul_lo_u32 v1, v1, s16
	v_mul_lo_u32 v3, v3, s17
	v_lshrrev_b32_e32 v7, s0, v7
	v_add3_u32 v3, v1, v14, v3
	v_mul_lo_u32 v1, v7, s14
	v_mul_hi_u32 v9, s2, v7
	v_sub_u32_e32 v1, v5, v1
	v_add_u32_e32 v5, v7, v9
	v_mul_lo_u32 v9, v1, s18
	v_lshrrev_b32_e32 v1, s3, v5
	s_add_i32 s24, s24, 4
	v_mul_lo_u32 v5, v1, s1
	s_add_u32 s6, s6, 16
	v_sub_u32_e32 v5, v7, v5
	s_addc_u32 s7, s7, 0
	v_mul_lo_u32 v5, v5, s19
	s_cmp_lg_u32 s22, s24
	v_add3_u32 v14, v9, v3, v5
	s_cbranch_scc1 .LBB157_111
; %bb.112:
	s_and_b32 s6, s23, 3
	s_cmp_eq_u32 s6, 0
	s_cbranch_scc0 .LBB157_115
	s_branch .LBB157_117
.LBB157_113:
                                        ; implicit-def: $vgpr14
	s_branch .LBB157_118
.LBB157_114:
	v_mov_b32_e32 v1, v16
	s_and_b32 s6, s23, 3
	s_cmp_eq_u32 s6, 0
	s_cbranch_scc1 .LBB157_117
.LBB157_115:
	s_lshl_b32 s0, s22, 2
	s_add_u32 s0, s0, s4
	s_addc_u32 s1, 0, s5
	s_add_u32 s0, s0, 0xc4
	s_addc_u32 s1, s1, 0
	s_mul_i32 s2, s22, 12
	s_add_u32 s2, s4, s2
	s_addc_u32 s3, 0, s5
.LBB157_116:                            ; =>This Inner Loop Header: Depth=1
	s_load_dwordx2 s[8:9], s[2:3], 0x4
	s_load_dword s7, s[2:3], 0xc
	s_load_dword s10, s[0:1], 0x0
	s_add_u32 s2, s2, 12
	s_addc_u32 s3, s3, 0
	s_waitcnt lgkmcnt(0)
	v_mul_hi_u32 v3, s9, v1
	v_add_u32_e32 v3, v1, v3
	v_lshrrev_b32_e32 v3, s7, v3
	s_add_u32 s0, s0, 4
	v_mul_lo_u32 v5, v3, s8
	s_addc_u32 s1, s1, 0
	s_add_i32 s6, s6, -1
	v_sub_u32_e32 v5, v1, v5
	s_cmp_lg_u32 s6, 0
	v_mov_b32_e32 v1, v3
	v_mad_u64_u32 v[14:15], s[8:9], v5, s10, v[14:15]
	s_cbranch_scc1 .LBB157_116
.LBB157_117:
	s_cbranch_execnz .LBB157_120
.LBB157_118:
	s_load_dwordx4 s[0:3], s[4:5], 0x4
	s_waitcnt lgkmcnt(0)
	s_load_dword s3, s[4:5], 0xc4
	s_cmp_lt_u32 s33, 2
	v_mul_hi_u32 v1, s1, v16
	v_add_u32_e32 v1, v16, v1
	v_lshrrev_b32_e32 v1, s2, v1
	v_mul_lo_u32 v3, v1, s0
	v_sub_u32_e32 v3, v16, v3
	s_waitcnt lgkmcnt(0)
	v_mul_lo_u32 v14, v3, s3
	s_cbranch_scc1 .LBB157_120
; %bb.119:
	s_load_dwordx4 s[0:3], s[4:5], 0x10
	s_waitcnt lgkmcnt(0)
	s_load_dword s3, s[4:5], 0xc8
	v_mul_hi_u32 v3, s1, v1
	v_add_u32_e32 v3, v1, v3
	v_lshrrev_b32_e32 v3, s2, v3
	v_mul_lo_u32 v3, v3, s0
	v_sub_u32_e32 v1, v1, v3
	s_waitcnt lgkmcnt(0)
	v_mad_u64_u32 v[14:15], s[0:1], v1, s3, v[14:15]
.LBB157_120:
	s_load_dword s2, s[4:5], 0x110
	s_load_dwordx2 s[0:1], s[4:5], 0x108
	s_waitcnt lgkmcnt(0)
	v_mov_b32_e32 v1, s2
	s_nop 0
	global_store_short v0, v1, s[0:1]
	global_store_short v2, v1, s[0:1]
	;; [unrolled: 1-line block ×8, first 2 shown]
	s_endpgm
.LBB157_121:
	v_mov_b32_e32 v0, 0
	s_branch .LBB157_127
.LBB157_122:
	v_mov_b32_e32 v0, 0
	s_branch .LBB157_143
.LBB157_123:
	v_mov_b32_e32 v2, v12
.LBB157_124:
	s_and_b32 s12, s51, 3
	s_cmp_eq_u32 s12, 0
	s_cbranch_scc1 .LBB157_127
; %bb.125:
	s_lshl_b32 s8, s50, 2
	s_add_u32 s8, s8, s4
	s_addc_u32 s9, s5, 0
	s_add_u32 s8, s8, 0xc4
	s_addc_u32 s9, s9, 0
	s_mul_i32 s10, s50, 12
	s_add_u32 s10, s4, s10
	s_addc_u32 s11, s5, 0
.LBB157_126:                            ; =>This Inner Loop Header: Depth=1
	s_load_dwordx2 s[14:15], s[10:11], 0x4
	s_load_dword s13, s[10:11], 0xc
	s_load_dword s16, s[8:9], 0x0
	s_add_u32 s10, s10, 12
	s_addc_u32 s11, s11, 0
	s_waitcnt lgkmcnt(0)
	v_mul_hi_u32 v1, s15, v2
	v_add_u32_e32 v1, v2, v1
	v_lshrrev_b32_e32 v1, s13, v1
	s_add_u32 s8, s8, 4
	v_mul_lo_u32 v3, v1, s14
	s_addc_u32 s9, s9, 0
	s_add_i32 s12, s12, -1
	v_sub_u32_e32 v3, v2, v3
	s_cmp_lg_u32 s12, 0
	v_mov_b32_e32 v2, v1
	v_mad_u64_u32 v[0:1], s[14:15], v3, s16, v[0:1]
	s_cbranch_scc1 .LBB157_126
.LBB157_127:
	s_cbranch_execnz .LBB157_130
.LBB157_128:
	s_waitcnt lgkmcnt(0)
	v_mul_hi_u32 v0, s1, v12
	v_add_u32_e32 v0, v12, v0
	v_lshrrev_b32_e32 v1, s2, v0
	v_mul_lo_u32 v0, v1, s0
	v_sub_u32_e32 v0, v12, v0
	s_andn2_b64 vcc, exec, s[34:35]
	v_mul_lo_u32 v0, v0, s28
	s_cbranch_vccnz .LBB157_130
; %bb.129:
	v_mul_hi_u32 v2, s30, v1
	v_add_u32_e32 v2, v1, v2
	v_lshrrev_b32_e32 v2, s31, v2
	v_mul_lo_u32 v2, v2, s3
	v_sub_u32_e32 v1, v1, v2
	v_mad_u64_u32 v[0:1], s[8:9], v1, s29, v[0:1]
.LBB157_130:
	s_waitcnt lgkmcnt(0)
	v_mov_b32_e32 v1, s47
	v_add_u32_e32 v12, 0x80, v12
	global_store_short v0, v1, s[26:27]
	s_or_b64 exec, exec, s[40:41]
	v_cmp_gt_i32_e32 vcc, s48, v12
	s_and_saveexec_b64 s[40:41], vcc
	s_cbranch_execnz .LBB157_15
.LBB157_131:
	s_or_b64 exec, exec, s[40:41]
	v_cmp_gt_i32_e32 vcc, s48, v12
	s_and_saveexec_b64 s[40:41], vcc
	s_cbranch_execz .LBB157_147
.LBB157_132:
	s_andn2_b64 vcc, exec, s[6:7]
	s_cbranch_vccnz .LBB157_137
; %bb.133:
	s_andn2_b64 vcc, exec, s[38:39]
	s_cbranch_vccnz .LBB157_138
; %bb.134:
	s_add_i32 s51, s49, 1
	s_mov_b32 s50, 0
	s_cmp_eq_u32 s46, 2
	v_mov_b32_e32 v0, 0
	s_cbranch_scc1 .LBB157_155
; %bb.135:
	s_and_b32 s50, s51, 28
	s_mov_b32 s52, 0
	v_mov_b32_e32 v0, 0
	s_mov_b64 s[42:43], s[4:5]
	s_mov_b64 s[44:45], s[36:37]
	v_mov_b32_e32 v2, v12
.LBB157_136:                            ; =>This Inner Loop Header: Depth=1
	s_load_dwordx8 s[8:15], s[42:43], 0x4
	s_load_dwordx4 s[16:19], s[42:43], 0x24
	s_load_dwordx4 s[20:23], s[44:45], 0x0
	s_add_u32 s42, s42, 48
	s_addc_u32 s43, s43, 0
	s_waitcnt lgkmcnt(0)
	v_mul_hi_u32 v1, s9, v2
	v_add_u32_e32 v1, v2, v1
	v_lshrrev_b32_e32 v1, s10, v1
	v_mul_lo_u32 v3, v1, s8
	v_mul_hi_u32 v4, s12, v1
	v_sub_u32_e32 v2, v2, v3
	v_add_u32_e32 v3, v1, v4
	v_lshrrev_b32_e32 v3, s13, v3
	v_mul_lo_u32 v4, v3, s11
	v_mul_hi_u32 v5, s15, v3
	v_sub_u32_e32 v1, v1, v4
	v_add_u32_e32 v4, v3, v5
	v_mul_lo_u32 v2, v2, s20
	v_mul_lo_u32 v1, v1, s21
	v_lshrrev_b32_e32 v4, s16, v4
	v_add3_u32 v0, v2, v0, v1
	v_mul_hi_u32 v2, s18, v4
	v_add_u32_e32 v2, v4, v2
	v_mul_lo_u32 v1, v4, s14
	v_lshrrev_b32_e32 v2, s19, v2
	s_add_i32 s52, s52, 4
	v_sub_u32_e32 v1, v3, v1
	v_mul_lo_u32 v3, v2, s17
	s_add_u32 s44, s44, 16
	v_sub_u32_e32 v3, v4, v3
	s_addc_u32 s45, s45, 0
	v_mul_lo_u32 v1, v1, s22
	v_mul_lo_u32 v3, v3, s23
	s_cmp_eq_u32 s50, s52
	v_add3_u32 v0, v1, v0, v3
	s_cbranch_scc0 .LBB157_136
	s_branch .LBB157_156
.LBB157_137:
                                        ; implicit-def: $vgpr0
	s_branch .LBB157_160
.LBB157_138:
	v_mov_b32_e32 v0, 0
	s_branch .LBB157_159
.LBB157_139:
	v_mov_b32_e32 v2, v12
.LBB157_140:
	s_and_b32 s12, s51, 3
	s_cmp_eq_u32 s12, 0
	s_cbranch_scc1 .LBB157_143
; %bb.141:
	s_lshl_b32 s8, s50, 2
	s_add_u32 s8, s8, s4
	s_addc_u32 s9, s5, 0
	s_add_u32 s8, s8, 0xc4
	s_addc_u32 s9, s9, 0
	s_mul_i32 s10, s50, 12
	s_add_u32 s10, s4, s10
	s_addc_u32 s11, s5, 0
.LBB157_142:                            ; =>This Inner Loop Header: Depth=1
	s_load_dwordx2 s[14:15], s[10:11], 0x4
	s_load_dword s13, s[10:11], 0xc
	s_load_dword s16, s[8:9], 0x0
	s_add_u32 s10, s10, 12
	s_addc_u32 s11, s11, 0
	s_waitcnt lgkmcnt(0)
	v_mul_hi_u32 v1, s15, v2
	v_add_u32_e32 v1, v2, v1
	v_lshrrev_b32_e32 v1, s13, v1
	s_add_u32 s8, s8, 4
	v_mul_lo_u32 v3, v1, s14
	s_addc_u32 s9, s9, 0
	s_add_i32 s12, s12, -1
	v_sub_u32_e32 v3, v2, v3
	s_cmp_lg_u32 s12, 0
	v_mov_b32_e32 v2, v1
	v_mad_u64_u32 v[0:1], s[14:15], v3, s16, v[0:1]
	s_cbranch_scc1 .LBB157_142
.LBB157_143:
	s_cbranch_execnz .LBB157_146
.LBB157_144:
	s_waitcnt lgkmcnt(0)
	v_mul_hi_u32 v0, s1, v12
	v_add_u32_e32 v0, v12, v0
	v_lshrrev_b32_e32 v1, s2, v0
	v_mul_lo_u32 v0, v1, s0
	v_sub_u32_e32 v0, v12, v0
	s_andn2_b64 vcc, exec, s[34:35]
	v_mul_lo_u32 v0, v0, s28
	s_cbranch_vccnz .LBB157_146
; %bb.145:
	v_mul_hi_u32 v2, s30, v1
	v_add_u32_e32 v2, v1, v2
	v_lshrrev_b32_e32 v2, s31, v2
	v_mul_lo_u32 v2, v2, s3
	v_sub_u32_e32 v1, v1, v2
	v_mad_u64_u32 v[0:1], s[8:9], v1, s29, v[0:1]
.LBB157_146:
	s_waitcnt lgkmcnt(0)
	v_mov_b32_e32 v1, s47
	v_add_u32_e32 v12, 0x80, v12
	global_store_short v0, v1, s[26:27]
	s_or_b64 exec, exec, s[40:41]
	v_cmp_gt_i32_e32 vcc, s48, v12
	s_and_saveexec_b64 s[40:41], vcc
	s_cbranch_execnz .LBB157_132
.LBB157_147:
	s_or_b64 exec, exec, s[40:41]
	v_cmp_gt_i32_e32 vcc, s48, v12
	s_and_saveexec_b64 s[40:41], vcc
	s_cbranch_execz .LBB157_163
.LBB157_148:
	s_andn2_b64 vcc, exec, s[6:7]
	s_cbranch_vccnz .LBB157_153
; %bb.149:
	s_andn2_b64 vcc, exec, s[38:39]
	s_cbranch_vccnz .LBB157_154
; %bb.150:
	s_add_i32 s51, s49, 1
	s_mov_b32 s50, 0
	s_cmp_eq_u32 s46, 2
	v_mov_b32_e32 v0, 0
	s_cbranch_scc1 .LBB157_171
; %bb.151:
	s_and_b32 s50, s51, 28
	s_mov_b32 s52, 0
	v_mov_b32_e32 v0, 0
	s_mov_b64 s[42:43], s[4:5]
	s_mov_b64 s[44:45], s[36:37]
	v_mov_b32_e32 v2, v12
.LBB157_152:                            ; =>This Inner Loop Header: Depth=1
	s_load_dwordx8 s[8:15], s[42:43], 0x4
	s_load_dwordx4 s[16:19], s[42:43], 0x24
	s_load_dwordx4 s[20:23], s[44:45], 0x0
	s_add_u32 s42, s42, 48
	s_addc_u32 s43, s43, 0
	s_waitcnt lgkmcnt(0)
	v_mul_hi_u32 v1, s9, v2
	v_add_u32_e32 v1, v2, v1
	v_lshrrev_b32_e32 v1, s10, v1
	v_mul_lo_u32 v3, v1, s8
	v_mul_hi_u32 v4, s12, v1
	v_sub_u32_e32 v2, v2, v3
	v_add_u32_e32 v3, v1, v4
	v_lshrrev_b32_e32 v3, s13, v3
	v_mul_lo_u32 v4, v3, s11
	v_mul_hi_u32 v5, s15, v3
	v_sub_u32_e32 v1, v1, v4
	v_add_u32_e32 v4, v3, v5
	v_mul_lo_u32 v2, v2, s20
	v_mul_lo_u32 v1, v1, s21
	v_lshrrev_b32_e32 v4, s16, v4
	v_add3_u32 v0, v2, v0, v1
	v_mul_hi_u32 v2, s18, v4
	v_add_u32_e32 v2, v4, v2
	v_mul_lo_u32 v1, v4, s14
	v_lshrrev_b32_e32 v2, s19, v2
	s_add_i32 s52, s52, 4
	v_sub_u32_e32 v1, v3, v1
	v_mul_lo_u32 v3, v2, s17
	s_add_u32 s44, s44, 16
	v_sub_u32_e32 v3, v4, v3
	s_addc_u32 s45, s45, 0
	v_mul_lo_u32 v1, v1, s22
	v_mul_lo_u32 v3, v3, s23
	s_cmp_eq_u32 s50, s52
	v_add3_u32 v0, v1, v0, v3
	s_cbranch_scc0 .LBB157_152
	s_branch .LBB157_172
.LBB157_153:
                                        ; implicit-def: $vgpr0
	s_branch .LBB157_176
.LBB157_154:
	v_mov_b32_e32 v0, 0
	s_branch .LBB157_175
.LBB157_155:
	v_mov_b32_e32 v2, v12
.LBB157_156:
	s_and_b32 s12, s51, 3
	s_cmp_eq_u32 s12, 0
	s_cbranch_scc1 .LBB157_159
; %bb.157:
	s_lshl_b32 s8, s50, 2
	s_add_u32 s8, s8, s4
	s_addc_u32 s9, s5, 0
	s_add_u32 s8, s8, 0xc4
	s_addc_u32 s9, s9, 0
	s_mul_i32 s10, s50, 12
	s_add_u32 s10, s4, s10
	s_addc_u32 s11, s5, 0
.LBB157_158:                            ; =>This Inner Loop Header: Depth=1
	s_load_dwordx2 s[14:15], s[10:11], 0x4
	s_load_dword s13, s[10:11], 0xc
	s_load_dword s16, s[8:9], 0x0
	s_add_u32 s10, s10, 12
	s_addc_u32 s11, s11, 0
	s_waitcnt lgkmcnt(0)
	v_mul_hi_u32 v1, s15, v2
	v_add_u32_e32 v1, v2, v1
	v_lshrrev_b32_e32 v1, s13, v1
	s_add_u32 s8, s8, 4
	v_mul_lo_u32 v3, v1, s14
	s_addc_u32 s9, s9, 0
	s_add_i32 s12, s12, -1
	v_sub_u32_e32 v3, v2, v3
	s_cmp_lg_u32 s12, 0
	v_mov_b32_e32 v2, v1
	v_mad_u64_u32 v[0:1], s[14:15], v3, s16, v[0:1]
	s_cbranch_scc1 .LBB157_158
.LBB157_159:
	s_cbranch_execnz .LBB157_162
.LBB157_160:
	s_waitcnt lgkmcnt(0)
	v_mul_hi_u32 v0, s1, v12
	v_add_u32_e32 v0, v12, v0
	v_lshrrev_b32_e32 v1, s2, v0
	v_mul_lo_u32 v0, v1, s0
	v_sub_u32_e32 v0, v12, v0
	s_andn2_b64 vcc, exec, s[34:35]
	v_mul_lo_u32 v0, v0, s28
	s_cbranch_vccnz .LBB157_162
; %bb.161:
	v_mul_hi_u32 v2, s30, v1
	v_add_u32_e32 v2, v1, v2
	v_lshrrev_b32_e32 v2, s31, v2
	v_mul_lo_u32 v2, v2, s3
	v_sub_u32_e32 v1, v1, v2
	v_mad_u64_u32 v[0:1], s[8:9], v1, s29, v[0:1]
.LBB157_162:
	s_waitcnt lgkmcnt(0)
	v_mov_b32_e32 v1, s47
	v_add_u32_e32 v12, 0x80, v12
	global_store_short v0, v1, s[26:27]
	s_or_b64 exec, exec, s[40:41]
	v_cmp_gt_i32_e32 vcc, s48, v12
	s_and_saveexec_b64 s[40:41], vcc
	s_cbranch_execnz .LBB157_148
.LBB157_163:
	s_or_b64 exec, exec, s[40:41]
	v_cmp_gt_i32_e32 vcc, s48, v12
	s_and_saveexec_b64 s[40:41], vcc
	s_cbranch_execz .LBB157_179
.LBB157_164:
	s_andn2_b64 vcc, exec, s[6:7]
	s_cbranch_vccnz .LBB157_169
; %bb.165:
	s_andn2_b64 vcc, exec, s[38:39]
	s_cbranch_vccnz .LBB157_170
; %bb.166:
	s_add_i32 s51, s49, 1
	s_mov_b32 s50, 0
	s_cmp_eq_u32 s46, 2
	v_mov_b32_e32 v0, 0
	s_cbranch_scc1 .LBB157_187
; %bb.167:
	s_and_b32 s50, s51, 28
	s_mov_b32 s52, 0
	v_mov_b32_e32 v0, 0
	s_mov_b64 s[42:43], s[4:5]
	s_mov_b64 s[44:45], s[36:37]
	v_mov_b32_e32 v2, v12
.LBB157_168:                            ; =>This Inner Loop Header: Depth=1
	s_load_dwordx8 s[8:15], s[42:43], 0x4
	s_load_dwordx4 s[16:19], s[42:43], 0x24
	s_load_dwordx4 s[20:23], s[44:45], 0x0
	s_add_u32 s42, s42, 48
	s_addc_u32 s43, s43, 0
	s_waitcnt lgkmcnt(0)
	v_mul_hi_u32 v1, s9, v2
	v_add_u32_e32 v1, v2, v1
	v_lshrrev_b32_e32 v1, s10, v1
	v_mul_lo_u32 v3, v1, s8
	v_mul_hi_u32 v4, s12, v1
	v_sub_u32_e32 v2, v2, v3
	v_add_u32_e32 v3, v1, v4
	v_lshrrev_b32_e32 v3, s13, v3
	v_mul_lo_u32 v4, v3, s11
	v_mul_hi_u32 v5, s15, v3
	v_sub_u32_e32 v1, v1, v4
	v_add_u32_e32 v4, v3, v5
	v_mul_lo_u32 v2, v2, s20
	v_mul_lo_u32 v1, v1, s21
	v_lshrrev_b32_e32 v4, s16, v4
	v_add3_u32 v0, v2, v0, v1
	v_mul_hi_u32 v2, s18, v4
	v_add_u32_e32 v2, v4, v2
	v_mul_lo_u32 v1, v4, s14
	v_lshrrev_b32_e32 v2, s19, v2
	s_add_i32 s52, s52, 4
	v_sub_u32_e32 v1, v3, v1
	v_mul_lo_u32 v3, v2, s17
	s_add_u32 s44, s44, 16
	v_sub_u32_e32 v3, v4, v3
	s_addc_u32 s45, s45, 0
	v_mul_lo_u32 v1, v1, s22
	v_mul_lo_u32 v3, v3, s23
	s_cmp_eq_u32 s50, s52
	v_add3_u32 v0, v1, v0, v3
	s_cbranch_scc0 .LBB157_168
	s_branch .LBB157_188
.LBB157_169:
                                        ; implicit-def: $vgpr0
	s_branch .LBB157_192
.LBB157_170:
	v_mov_b32_e32 v0, 0
	s_branch .LBB157_191
.LBB157_171:
	v_mov_b32_e32 v2, v12
.LBB157_172:
	s_and_b32 s12, s51, 3
	s_cmp_eq_u32 s12, 0
	s_cbranch_scc1 .LBB157_175
; %bb.173:
	s_lshl_b32 s8, s50, 2
	s_add_u32 s8, s8, s4
	s_addc_u32 s9, s5, 0
	s_add_u32 s8, s8, 0xc4
	s_addc_u32 s9, s9, 0
	s_mul_i32 s10, s50, 12
	s_add_u32 s10, s4, s10
	s_addc_u32 s11, s5, 0
.LBB157_174:                            ; =>This Inner Loop Header: Depth=1
	s_load_dwordx2 s[14:15], s[10:11], 0x4
	s_load_dword s13, s[10:11], 0xc
	s_load_dword s16, s[8:9], 0x0
	s_add_u32 s10, s10, 12
	s_addc_u32 s11, s11, 0
	s_waitcnt lgkmcnt(0)
	v_mul_hi_u32 v1, s15, v2
	v_add_u32_e32 v1, v2, v1
	v_lshrrev_b32_e32 v1, s13, v1
	s_add_u32 s8, s8, 4
	v_mul_lo_u32 v3, v1, s14
	s_addc_u32 s9, s9, 0
	s_add_i32 s12, s12, -1
	v_sub_u32_e32 v3, v2, v3
	s_cmp_lg_u32 s12, 0
	v_mov_b32_e32 v2, v1
	v_mad_u64_u32 v[0:1], s[14:15], v3, s16, v[0:1]
	s_cbranch_scc1 .LBB157_174
.LBB157_175:
	s_cbranch_execnz .LBB157_178
.LBB157_176:
	s_waitcnt lgkmcnt(0)
	v_mul_hi_u32 v0, s1, v12
	v_add_u32_e32 v0, v12, v0
	v_lshrrev_b32_e32 v1, s2, v0
	v_mul_lo_u32 v0, v1, s0
	v_sub_u32_e32 v0, v12, v0
	s_andn2_b64 vcc, exec, s[34:35]
	v_mul_lo_u32 v0, v0, s28
	s_cbranch_vccnz .LBB157_178
; %bb.177:
	v_mul_hi_u32 v2, s30, v1
	v_add_u32_e32 v2, v1, v2
	v_lshrrev_b32_e32 v2, s31, v2
	v_mul_lo_u32 v2, v2, s3
	v_sub_u32_e32 v1, v1, v2
	v_mad_u64_u32 v[0:1], s[8:9], v1, s29, v[0:1]
.LBB157_178:
	s_waitcnt lgkmcnt(0)
	v_mov_b32_e32 v1, s47
	v_add_u32_e32 v12, 0x80, v12
	global_store_short v0, v1, s[26:27]
	s_or_b64 exec, exec, s[40:41]
	v_cmp_gt_i32_e32 vcc, s48, v12
	s_and_saveexec_b64 s[40:41], vcc
	s_cbranch_execnz .LBB157_164
.LBB157_179:
	s_or_b64 exec, exec, s[40:41]
	v_cmp_gt_i32_e32 vcc, s48, v12
	s_and_saveexec_b64 s[40:41], vcc
	s_cbranch_execz .LBB157_195
.LBB157_180:
	s_andn2_b64 vcc, exec, s[6:7]
	s_cbranch_vccnz .LBB157_185
; %bb.181:
	s_andn2_b64 vcc, exec, s[38:39]
	s_cbranch_vccnz .LBB157_186
; %bb.182:
	s_add_i32 s51, s49, 1
	s_mov_b32 s50, 0
	s_cmp_eq_u32 s46, 2
	v_mov_b32_e32 v0, 0
	s_cbranch_scc1 .LBB157_203
; %bb.183:
	s_and_b32 s50, s51, 28
	s_mov_b32 s52, 0
	v_mov_b32_e32 v0, 0
	s_mov_b64 s[42:43], s[4:5]
	s_mov_b64 s[44:45], s[36:37]
	v_mov_b32_e32 v2, v12
.LBB157_184:                            ; =>This Inner Loop Header: Depth=1
	s_load_dwordx8 s[8:15], s[42:43], 0x4
	s_load_dwordx4 s[16:19], s[42:43], 0x24
	s_load_dwordx4 s[20:23], s[44:45], 0x0
	s_add_u32 s42, s42, 48
	s_addc_u32 s43, s43, 0
	s_waitcnt lgkmcnt(0)
	v_mul_hi_u32 v1, s9, v2
	v_add_u32_e32 v1, v2, v1
	v_lshrrev_b32_e32 v1, s10, v1
	v_mul_lo_u32 v3, v1, s8
	v_mul_hi_u32 v4, s12, v1
	v_sub_u32_e32 v2, v2, v3
	v_add_u32_e32 v3, v1, v4
	v_lshrrev_b32_e32 v3, s13, v3
	v_mul_lo_u32 v4, v3, s11
	v_mul_hi_u32 v5, s15, v3
	v_sub_u32_e32 v1, v1, v4
	v_add_u32_e32 v4, v3, v5
	v_mul_lo_u32 v2, v2, s20
	v_mul_lo_u32 v1, v1, s21
	v_lshrrev_b32_e32 v4, s16, v4
	v_add3_u32 v0, v2, v0, v1
	v_mul_hi_u32 v2, s18, v4
	v_add_u32_e32 v2, v4, v2
	v_mul_lo_u32 v1, v4, s14
	v_lshrrev_b32_e32 v2, s19, v2
	s_add_i32 s52, s52, 4
	v_sub_u32_e32 v1, v3, v1
	v_mul_lo_u32 v3, v2, s17
	s_add_u32 s44, s44, 16
	v_sub_u32_e32 v3, v4, v3
	s_addc_u32 s45, s45, 0
	v_mul_lo_u32 v1, v1, s22
	v_mul_lo_u32 v3, v3, s23
	s_cmp_eq_u32 s50, s52
	v_add3_u32 v0, v1, v0, v3
	s_cbranch_scc0 .LBB157_184
	s_branch .LBB157_204
.LBB157_185:
                                        ; implicit-def: $vgpr0
	s_branch .LBB157_208
.LBB157_186:
	v_mov_b32_e32 v0, 0
	s_branch .LBB157_207
.LBB157_187:
	v_mov_b32_e32 v2, v12
.LBB157_188:
	s_and_b32 s12, s51, 3
	s_cmp_eq_u32 s12, 0
	s_cbranch_scc1 .LBB157_191
; %bb.189:
	s_lshl_b32 s8, s50, 2
	s_add_u32 s8, s8, s4
	s_addc_u32 s9, s5, 0
	s_add_u32 s8, s8, 0xc4
	s_addc_u32 s9, s9, 0
	s_mul_i32 s10, s50, 12
	s_add_u32 s10, s4, s10
	s_addc_u32 s11, s5, 0
.LBB157_190:                            ; =>This Inner Loop Header: Depth=1
	s_load_dwordx2 s[14:15], s[10:11], 0x4
	s_load_dword s13, s[10:11], 0xc
	s_load_dword s16, s[8:9], 0x0
	s_add_u32 s10, s10, 12
	s_addc_u32 s11, s11, 0
	s_waitcnt lgkmcnt(0)
	v_mul_hi_u32 v1, s15, v2
	v_add_u32_e32 v1, v2, v1
	v_lshrrev_b32_e32 v1, s13, v1
	s_add_u32 s8, s8, 4
	v_mul_lo_u32 v3, v1, s14
	s_addc_u32 s9, s9, 0
	s_add_i32 s12, s12, -1
	v_sub_u32_e32 v3, v2, v3
	s_cmp_lg_u32 s12, 0
	v_mov_b32_e32 v2, v1
	v_mad_u64_u32 v[0:1], s[14:15], v3, s16, v[0:1]
	s_cbranch_scc1 .LBB157_190
.LBB157_191:
	s_cbranch_execnz .LBB157_194
.LBB157_192:
	s_waitcnt lgkmcnt(0)
	v_mul_hi_u32 v0, s1, v12
	v_add_u32_e32 v0, v12, v0
	v_lshrrev_b32_e32 v1, s2, v0
	v_mul_lo_u32 v0, v1, s0
	v_sub_u32_e32 v0, v12, v0
	s_andn2_b64 vcc, exec, s[34:35]
	v_mul_lo_u32 v0, v0, s28
	s_cbranch_vccnz .LBB157_194
; %bb.193:
	v_mul_hi_u32 v2, s30, v1
	v_add_u32_e32 v2, v1, v2
	v_lshrrev_b32_e32 v2, s31, v2
	v_mul_lo_u32 v2, v2, s3
	v_sub_u32_e32 v1, v1, v2
	v_mad_u64_u32 v[0:1], s[8:9], v1, s29, v[0:1]
.LBB157_194:
	s_waitcnt lgkmcnt(0)
	v_mov_b32_e32 v1, s47
	v_add_u32_e32 v12, 0x80, v12
	global_store_short v0, v1, s[26:27]
	s_or_b64 exec, exec, s[40:41]
	v_cmp_gt_i32_e32 vcc, s48, v12
	s_and_saveexec_b64 s[40:41], vcc
	s_cbranch_execnz .LBB157_180
.LBB157_195:
	s_or_b64 exec, exec, s[40:41]
	v_cmp_gt_i32_e32 vcc, s48, v12
	s_and_saveexec_b64 s[40:41], vcc
	s_cbranch_execz .LBB157_211
.LBB157_196:
	s_andn2_b64 vcc, exec, s[6:7]
	s_cbranch_vccnz .LBB157_201
; %bb.197:
	s_andn2_b64 vcc, exec, s[38:39]
	s_cbranch_vccnz .LBB157_202
; %bb.198:
	s_add_i32 s51, s49, 1
	s_mov_b32 s50, 0
	s_cmp_eq_u32 s46, 2
	v_mov_b32_e32 v0, 0
	s_cbranch_scc1 .LBB157_214
; %bb.199:
	s_and_b32 s50, s51, 28
	s_mov_b32 s52, 0
	v_mov_b32_e32 v0, 0
	s_mov_b64 s[42:43], s[4:5]
	s_mov_b64 s[44:45], s[36:37]
	v_mov_b32_e32 v2, v12
.LBB157_200:                            ; =>This Inner Loop Header: Depth=1
	s_load_dwordx8 s[8:15], s[42:43], 0x4
	s_load_dwordx4 s[16:19], s[42:43], 0x24
	s_load_dwordx4 s[20:23], s[44:45], 0x0
	s_add_u32 s42, s42, 48
	s_addc_u32 s43, s43, 0
	s_waitcnt lgkmcnt(0)
	v_mul_hi_u32 v1, s9, v2
	v_add_u32_e32 v1, v2, v1
	v_lshrrev_b32_e32 v1, s10, v1
	v_mul_lo_u32 v3, v1, s8
	v_mul_hi_u32 v4, s12, v1
	v_sub_u32_e32 v2, v2, v3
	v_add_u32_e32 v3, v1, v4
	v_lshrrev_b32_e32 v3, s13, v3
	v_mul_lo_u32 v4, v3, s11
	v_mul_hi_u32 v5, s15, v3
	v_sub_u32_e32 v1, v1, v4
	v_add_u32_e32 v4, v3, v5
	v_mul_lo_u32 v2, v2, s20
	v_mul_lo_u32 v1, v1, s21
	v_lshrrev_b32_e32 v4, s16, v4
	v_add3_u32 v0, v2, v0, v1
	v_mul_hi_u32 v2, s18, v4
	v_add_u32_e32 v2, v4, v2
	v_mul_lo_u32 v1, v4, s14
	v_lshrrev_b32_e32 v2, s19, v2
	s_add_i32 s52, s52, 4
	v_sub_u32_e32 v1, v3, v1
	v_mul_lo_u32 v3, v2, s17
	s_add_u32 s44, s44, 16
	v_sub_u32_e32 v3, v4, v3
	s_addc_u32 s45, s45, 0
	v_mul_lo_u32 v1, v1, s22
	v_mul_lo_u32 v3, v3, s23
	s_cmp_eq_u32 s50, s52
	v_add3_u32 v0, v1, v0, v3
	s_cbranch_scc0 .LBB157_200
	s_branch .LBB157_215
.LBB157_201:
                                        ; implicit-def: $vgpr0
	s_branch .LBB157_219
.LBB157_202:
	v_mov_b32_e32 v0, 0
	s_branch .LBB157_218
.LBB157_203:
	v_mov_b32_e32 v2, v12
.LBB157_204:
	s_and_b32 s12, s51, 3
	s_cmp_eq_u32 s12, 0
	s_cbranch_scc1 .LBB157_207
; %bb.205:
	s_lshl_b32 s8, s50, 2
	s_add_u32 s8, s8, s4
	s_addc_u32 s9, s5, 0
	s_add_u32 s8, s8, 0xc4
	s_addc_u32 s9, s9, 0
	s_mul_i32 s10, s50, 12
	s_add_u32 s10, s4, s10
	s_addc_u32 s11, s5, 0
.LBB157_206:                            ; =>This Inner Loop Header: Depth=1
	s_load_dwordx2 s[14:15], s[10:11], 0x4
	s_load_dword s13, s[10:11], 0xc
	s_load_dword s16, s[8:9], 0x0
	s_add_u32 s10, s10, 12
	s_addc_u32 s11, s11, 0
	s_waitcnt lgkmcnt(0)
	v_mul_hi_u32 v1, s15, v2
	v_add_u32_e32 v1, v2, v1
	v_lshrrev_b32_e32 v1, s13, v1
	s_add_u32 s8, s8, 4
	v_mul_lo_u32 v3, v1, s14
	s_addc_u32 s9, s9, 0
	s_add_i32 s12, s12, -1
	v_sub_u32_e32 v3, v2, v3
	s_cmp_lg_u32 s12, 0
	v_mov_b32_e32 v2, v1
	v_mad_u64_u32 v[0:1], s[14:15], v3, s16, v[0:1]
	s_cbranch_scc1 .LBB157_206
.LBB157_207:
	s_cbranch_execnz .LBB157_210
.LBB157_208:
	s_waitcnt lgkmcnt(0)
	v_mul_hi_u32 v0, s1, v12
	v_add_u32_e32 v0, v12, v0
	v_lshrrev_b32_e32 v1, s2, v0
	v_mul_lo_u32 v0, v1, s0
	v_sub_u32_e32 v0, v12, v0
	s_andn2_b64 vcc, exec, s[34:35]
	v_mul_lo_u32 v0, v0, s28
	s_cbranch_vccnz .LBB157_210
; %bb.209:
	v_mul_hi_u32 v2, s30, v1
	v_add_u32_e32 v2, v1, v2
	v_lshrrev_b32_e32 v2, s31, v2
	v_mul_lo_u32 v2, v2, s3
	v_sub_u32_e32 v1, v1, v2
	v_mad_u64_u32 v[0:1], s[8:9], v1, s29, v[0:1]
.LBB157_210:
	s_waitcnt lgkmcnt(0)
	v_mov_b32_e32 v1, s47
	v_add_u32_e32 v12, 0x80, v12
	global_store_short v0, v1, s[26:27]
	s_or_b64 exec, exec, s[40:41]
	v_cmp_gt_i32_e32 vcc, s48, v12
	s_and_saveexec_b64 s[40:41], vcc
	s_cbranch_execnz .LBB157_196
.LBB157_211:
	s_or_b64 exec, exec, s[40:41]
	v_cmp_gt_i32_e32 vcc, s48, v12
	s_and_saveexec_b64 s[40:41], vcc
	s_cbranch_execnz .LBB157_222
.LBB157_212:
	s_or_b64 exec, exec, s[40:41]
                                        ; implicit-def: $vgpr16
                                        ; implicit-def: $vgpr12
	s_waitcnt lgkmcnt(0)
	s_andn2_saveexec_b64 s[0:1], s[24:25]
	s_cbranch_execnz .LBB157_8
.LBB157_213:
	s_endpgm
.LBB157_214:
	v_mov_b32_e32 v2, v12
.LBB157_215:
	s_and_b32 s12, s51, 3
	s_cmp_eq_u32 s12, 0
	s_cbranch_scc1 .LBB157_218
; %bb.216:
	s_lshl_b32 s8, s50, 2
	s_add_u32 s8, s8, s4
	s_addc_u32 s9, s5, 0
	s_add_u32 s8, s8, 0xc4
	s_addc_u32 s9, s9, 0
	s_mul_i32 s10, s50, 12
	s_add_u32 s10, s4, s10
	s_addc_u32 s11, s5, 0
.LBB157_217:                            ; =>This Inner Loop Header: Depth=1
	s_load_dwordx2 s[14:15], s[10:11], 0x4
	s_load_dword s13, s[10:11], 0xc
	s_load_dword s16, s[8:9], 0x0
	s_add_u32 s10, s10, 12
	s_addc_u32 s11, s11, 0
	s_waitcnt lgkmcnt(0)
	v_mul_hi_u32 v1, s15, v2
	v_add_u32_e32 v1, v2, v1
	v_lshrrev_b32_e32 v1, s13, v1
	s_add_u32 s8, s8, 4
	v_mul_lo_u32 v3, v1, s14
	s_addc_u32 s9, s9, 0
	s_add_i32 s12, s12, -1
	v_sub_u32_e32 v3, v2, v3
	s_cmp_lg_u32 s12, 0
	v_mov_b32_e32 v2, v1
	v_mad_u64_u32 v[0:1], s[14:15], v3, s16, v[0:1]
	s_cbranch_scc1 .LBB157_217
.LBB157_218:
	s_cbranch_execnz .LBB157_221
.LBB157_219:
	s_waitcnt lgkmcnt(0)
	v_mul_hi_u32 v0, s1, v12
	v_add_u32_e32 v0, v12, v0
	v_lshrrev_b32_e32 v1, s2, v0
	v_mul_lo_u32 v0, v1, s0
	v_sub_u32_e32 v0, v12, v0
	s_andn2_b64 vcc, exec, s[34:35]
	v_mul_lo_u32 v0, v0, s28
	s_cbranch_vccnz .LBB157_221
; %bb.220:
	v_mul_hi_u32 v2, s30, v1
	v_add_u32_e32 v2, v1, v2
	v_lshrrev_b32_e32 v2, s31, v2
	v_mul_lo_u32 v2, v2, s3
	v_sub_u32_e32 v1, v1, v2
	v_mad_u64_u32 v[0:1], s[8:9], v1, s29, v[0:1]
.LBB157_221:
	s_waitcnt lgkmcnt(0)
	v_mov_b32_e32 v1, s47
	v_add_u32_e32 v12, 0x80, v12
	global_store_short v0, v1, s[26:27]
	s_or_b64 exec, exec, s[40:41]
	v_cmp_gt_i32_e32 vcc, s48, v12
	s_and_saveexec_b64 s[40:41], vcc
	s_cbranch_execz .LBB157_212
.LBB157_222:
	s_andn2_b64 vcc, exec, s[6:7]
	s_cbranch_vccnz .LBB157_227
; %bb.223:
	s_andn2_b64 vcc, exec, s[38:39]
	s_cbranch_vccnz .LBB157_228
; %bb.224:
	s_add_i32 s49, s49, 1
	s_mov_b32 s42, 0
	s_cmp_eq_u32 s46, 2
	v_mov_b32_e32 v0, 0
	s_cbranch_scc1 .LBB157_229
; %bb.225:
	s_and_b32 s42, s49, 28
	s_mov_b32 s43, 0
	v_mov_b32_e32 v0, 0
	s_mov_b64 s[38:39], s[4:5]
	v_mov_b32_e32 v2, v12
.LBB157_226:                            ; =>This Inner Loop Header: Depth=1
	s_load_dwordx8 s[8:15], s[38:39], 0x4
	s_load_dwordx4 s[16:19], s[38:39], 0x24
	s_load_dwordx4 s[20:23], s[36:37], 0x0
	s_add_u32 s38, s38, 48
	s_addc_u32 s39, s39, 0
	s_waitcnt lgkmcnt(0)
	v_mul_hi_u32 v1, s9, v2
	v_add_u32_e32 v1, v2, v1
	v_lshrrev_b32_e32 v1, s10, v1
	v_mul_lo_u32 v3, v1, s8
	v_mul_hi_u32 v4, s12, v1
	v_sub_u32_e32 v2, v2, v3
	v_add_u32_e32 v3, v1, v4
	v_lshrrev_b32_e32 v3, s13, v3
	v_mul_lo_u32 v4, v3, s11
	v_mul_hi_u32 v5, s15, v3
	v_sub_u32_e32 v1, v1, v4
	v_add_u32_e32 v4, v3, v5
	v_mul_lo_u32 v2, v2, s20
	v_mul_lo_u32 v1, v1, s21
	v_lshrrev_b32_e32 v4, s16, v4
	v_add3_u32 v0, v2, v0, v1
	v_mul_hi_u32 v2, s18, v4
	v_add_u32_e32 v2, v4, v2
	v_mul_lo_u32 v1, v4, s14
	v_lshrrev_b32_e32 v2, s19, v2
	s_add_i32 s43, s43, 4
	v_sub_u32_e32 v1, v3, v1
	v_mul_lo_u32 v3, v2, s17
	s_add_u32 s36, s36, 16
	v_sub_u32_e32 v3, v4, v3
	s_addc_u32 s37, s37, 0
	v_mul_lo_u32 v1, v1, s22
	v_mul_lo_u32 v3, v3, s23
	s_cmp_eq_u32 s42, s43
	v_add3_u32 v0, v1, v0, v3
	s_cbranch_scc0 .LBB157_226
	s_branch .LBB157_230
.LBB157_227:
                                        ; implicit-def: $vgpr0
	s_branch .LBB157_234
.LBB157_228:
	v_mov_b32_e32 v0, 0
	s_branch .LBB157_233
.LBB157_229:
	v_mov_b32_e32 v2, v12
.LBB157_230:
	s_and_b32 s12, s49, 3
	s_cmp_eq_u32 s12, 0
	s_cbranch_scc1 .LBB157_233
; %bb.231:
	s_lshl_b32 s8, s42, 2
	s_add_u32 s8, s8, s4
	s_addc_u32 s9, s5, 0
	s_add_u32 s8, s8, 0xc4
	s_addc_u32 s9, s9, 0
	s_mul_i32 s10, s42, 12
	s_add_u32 s10, s4, s10
	s_addc_u32 s11, s5, 0
.LBB157_232:                            ; =>This Inner Loop Header: Depth=1
	s_load_dwordx2 s[14:15], s[10:11], 0x4
	s_load_dword s13, s[10:11], 0xc
	s_load_dword s16, s[8:9], 0x0
	s_add_u32 s10, s10, 12
	s_addc_u32 s11, s11, 0
	s_waitcnt lgkmcnt(0)
	v_mul_hi_u32 v1, s15, v2
	v_add_u32_e32 v1, v2, v1
	v_lshrrev_b32_e32 v1, s13, v1
	s_add_u32 s8, s8, 4
	v_mul_lo_u32 v3, v1, s14
	s_addc_u32 s9, s9, 0
	s_add_i32 s12, s12, -1
	v_sub_u32_e32 v3, v2, v3
	s_cmp_lg_u32 s12, 0
	v_mov_b32_e32 v2, v1
	v_mad_u64_u32 v[0:1], s[14:15], v3, s16, v[0:1]
	s_cbranch_scc1 .LBB157_232
.LBB157_233:
	s_cbranch_execnz .LBB157_236
.LBB157_234:
	s_waitcnt lgkmcnt(0)
	v_mul_hi_u32 v0, s1, v12
	v_add_u32_e32 v0, v12, v0
	v_lshrrev_b32_e32 v1, s2, v0
	v_mul_lo_u32 v0, v1, s0
	v_sub_u32_e32 v0, v12, v0
	s_andn2_b64 vcc, exec, s[34:35]
	v_mul_lo_u32 v0, v0, s28
	s_cbranch_vccnz .LBB157_236
; %bb.235:
	v_mul_hi_u32 v2, s30, v1
	v_add_u32_e32 v2, v1, v2
	v_lshrrev_b32_e32 v2, s31, v2
	v_mul_lo_u32 v2, v2, s3
	v_sub_u32_e32 v1, v1, v2
	v_mad_u64_u32 v[0:1], s[0:1], v1, s29, v[0:1]
.LBB157_236:
	s_waitcnt lgkmcnt(0)
	v_mov_b32_e32 v1, s47
	global_store_short v0, v1, s[26:27]
	s_or_b64 exec, exec, s[40:41]
                                        ; implicit-def: $vgpr16
                                        ; implicit-def: $vgpr12
	s_andn2_saveexec_b64 s[0:1], s[24:25]
	s_cbranch_execz .LBB157_213
	s_branch .LBB157_8
	.section	.rodata,"a",@progbits
	.p2align	6, 0x0
	.amdhsa_kernel _ZN2at6native32elementwise_kernel_manual_unrollILi128ELi8EZNS0_22gpu_kernel_impl_nocastINS0_11FillFunctorItEEEEvRNS_18TensorIteratorBaseERKT_EUlibE_EEviT1_
		.amdhsa_group_segment_fixed_size 0
		.amdhsa_private_segment_fixed_size 0
		.amdhsa_kernarg_size 288
		.amdhsa_user_sgpr_count 6
		.amdhsa_user_sgpr_private_segment_buffer 1
		.amdhsa_user_sgpr_dispatch_ptr 0
		.amdhsa_user_sgpr_queue_ptr 0
		.amdhsa_user_sgpr_kernarg_segment_ptr 1
		.amdhsa_user_sgpr_dispatch_id 0
		.amdhsa_user_sgpr_flat_scratch_init 0
		.amdhsa_user_sgpr_kernarg_preload_length 0
		.amdhsa_user_sgpr_kernarg_preload_offset 0
		.amdhsa_user_sgpr_private_segment_size 0
		.amdhsa_uses_dynamic_stack 0
		.amdhsa_system_sgpr_private_segment_wavefront_offset 0
		.amdhsa_system_sgpr_workgroup_id_x 1
		.amdhsa_system_sgpr_workgroup_id_y 0
		.amdhsa_system_sgpr_workgroup_id_z 0
		.amdhsa_system_sgpr_workgroup_info 0
		.amdhsa_system_vgpr_workitem_id 0
		.amdhsa_next_free_vgpr 17
		.amdhsa_next_free_sgpr 53
		.amdhsa_accum_offset 20
		.amdhsa_reserve_vcc 1
		.amdhsa_reserve_flat_scratch 0
		.amdhsa_float_round_mode_32 0
		.amdhsa_float_round_mode_16_64 0
		.amdhsa_float_denorm_mode_32 3
		.amdhsa_float_denorm_mode_16_64 3
		.amdhsa_dx10_clamp 1
		.amdhsa_ieee_mode 1
		.amdhsa_fp16_overflow 0
		.amdhsa_tg_split 0
		.amdhsa_exception_fp_ieee_invalid_op 0
		.amdhsa_exception_fp_denorm_src 0
		.amdhsa_exception_fp_ieee_div_zero 0
		.amdhsa_exception_fp_ieee_overflow 0
		.amdhsa_exception_fp_ieee_underflow 0
		.amdhsa_exception_fp_ieee_inexact 0
		.amdhsa_exception_int_div_zero 0
	.end_amdhsa_kernel
	.section	.text._ZN2at6native32elementwise_kernel_manual_unrollILi128ELi8EZNS0_22gpu_kernel_impl_nocastINS0_11FillFunctorItEEEEvRNS_18TensorIteratorBaseERKT_EUlibE_EEviT1_,"axG",@progbits,_ZN2at6native32elementwise_kernel_manual_unrollILi128ELi8EZNS0_22gpu_kernel_impl_nocastINS0_11FillFunctorItEEEEvRNS_18TensorIteratorBaseERKT_EUlibE_EEviT1_,comdat
.Lfunc_end157:
	.size	_ZN2at6native32elementwise_kernel_manual_unrollILi128ELi8EZNS0_22gpu_kernel_impl_nocastINS0_11FillFunctorItEEEEvRNS_18TensorIteratorBaseERKT_EUlibE_EEviT1_, .Lfunc_end157-_ZN2at6native32elementwise_kernel_manual_unrollILi128ELi8EZNS0_22gpu_kernel_impl_nocastINS0_11FillFunctorItEEEEvRNS_18TensorIteratorBaseERKT_EUlibE_EEviT1_
                                        ; -- End function
	.section	.AMDGPU.csdata,"",@progbits
; Kernel info:
; codeLenInByte = 9664
; NumSgprs: 57
; NumVgprs: 17
; NumAgprs: 0
; TotalNumVgprs: 17
; ScratchSize: 0
; MemoryBound: 0
; FloatMode: 240
; IeeeMode: 1
; LDSByteSize: 0 bytes/workgroup (compile time only)
; SGPRBlocks: 7
; VGPRBlocks: 2
; NumSGPRsForWavesPerEU: 57
; NumVGPRsForWavesPerEU: 17
; AccumOffset: 20
; Occupancy: 8
; WaveLimiterHint : 1
; COMPUTE_PGM_RSRC2:SCRATCH_EN: 0
; COMPUTE_PGM_RSRC2:USER_SGPR: 6
; COMPUTE_PGM_RSRC2:TRAP_HANDLER: 0
; COMPUTE_PGM_RSRC2:TGID_X_EN: 1
; COMPUTE_PGM_RSRC2:TGID_Y_EN: 0
; COMPUTE_PGM_RSRC2:TGID_Z_EN: 0
; COMPUTE_PGM_RSRC2:TIDIG_COMP_CNT: 0
; COMPUTE_PGM_RSRC3_GFX90A:ACCUM_OFFSET: 4
; COMPUTE_PGM_RSRC3_GFX90A:TG_SPLIT: 0
	.section	.text._ZN2at6native32elementwise_kernel_manual_unrollILi128ELi4EZNS0_15gpu_kernel_implINS0_11FillFunctorItEEEEvRNS_18TensorIteratorBaseERKT_EUlibE_EEviT1_,"axG",@progbits,_ZN2at6native32elementwise_kernel_manual_unrollILi128ELi4EZNS0_15gpu_kernel_implINS0_11FillFunctorItEEEEvRNS_18TensorIteratorBaseERKT_EUlibE_EEviT1_,comdat
	.protected	_ZN2at6native32elementwise_kernel_manual_unrollILi128ELi4EZNS0_15gpu_kernel_implINS0_11FillFunctorItEEEEvRNS_18TensorIteratorBaseERKT_EUlibE_EEviT1_ ; -- Begin function _ZN2at6native32elementwise_kernel_manual_unrollILi128ELi4EZNS0_15gpu_kernel_implINS0_11FillFunctorItEEEEvRNS_18TensorIteratorBaseERKT_EUlibE_EEviT1_
	.globl	_ZN2at6native32elementwise_kernel_manual_unrollILi128ELi4EZNS0_15gpu_kernel_implINS0_11FillFunctorItEEEEvRNS_18TensorIteratorBaseERKT_EUlibE_EEviT1_
	.p2align	8
	.type	_ZN2at6native32elementwise_kernel_manual_unrollILi128ELi4EZNS0_15gpu_kernel_implINS0_11FillFunctorItEEEEvRNS_18TensorIteratorBaseERKT_EUlibE_EEviT1_,@function
_ZN2at6native32elementwise_kernel_manual_unrollILi128ELi4EZNS0_15gpu_kernel_implINS0_11FillFunctorItEEEEvRNS_18TensorIteratorBaseERKT_EUlibE_EEviT1_: ; @_ZN2at6native32elementwise_kernel_manual_unrollILi128ELi4EZNS0_15gpu_kernel_implINS0_11FillFunctorItEEEEvRNS_18TensorIteratorBaseERKT_EUlibE_EEviT1_
; %bb.0:
	s_load_dwordx4 s[20:23], s[4:5], 0x8
	s_load_dword s50, s[4:5], 0x0
	v_lshl_or_b32 v22, s6, 9, v0
	v_or_b32_e32 v0, 0x180, v22
	s_mov_b64 s[18:19], 0
	s_waitcnt lgkmcnt(0)
	s_lshr_b32 s33, s23, 16
	v_cmp_le_i32_e32 vcc, s50, v0
	s_mov_b64 s[0:1], 0
	s_and_saveexec_b64 s[2:3], vcc
	s_xor_b64 s[24:25], exec, s[2:3]
	s_cbranch_execz .LBB158_404
; %bb.1:
	s_and_b32 s26, 0xffff, s23
	v_cvt_f32_u32_e32 v4, s26
	s_movk_i32 s0, 0xff
	s_mov_b32 s2, 0x47800000
	v_mov_b32_e32 v3, 0x7e
	v_and_b32_e32 v1, 0x400000, v4
	v_lshrrev_b32_e32 v0, 23, v4
	v_cmp_ne_u32_e32 vcc, 0, v1
	v_and_b32_e32 v1, 0x3fffff, v4
	v_or_b32_e32 v1, v0, v1
	v_cmp_eq_u32_e64 s[16:17], s0, v0
	v_cmp_ne_u32_e64 s[0:1], 0, v1
	s_and_b64 s[0:1], vcc, s[0:1]
	v_cndmask_b32_e64 v1, 0, 1, s[0:1]
	s_mov_b32 s0, 0x43800000
	v_cmp_gt_u32_e64 s[14:15], s0, v4
	s_mov_b32 s0, 0x3bffffff
	v_add_f32_e32 v20, 0x46000000, v4
	v_add_u32_e32 v21, v0, v1
	v_cmp_lt_u32_e64 s[12:13], s0, v4
	v_bfe_u32 v0, v4, 20, 1
	v_readfirstlane_b32 s0, v20
	v_add_u32_e32 v0, v4, v0
	s_and_b32 s0, s0, 0xff
	v_cmp_gt_u32_e64 s[10:11], s2, v4
	s_mov_b32 s2, 0x37ffffff
	v_add_f32_e32 v17, 0x42800000, v4
	v_add_u32_e32 v1, 0x487ffff, v0
	s_cmp_lg_u32 s0, 0
	v_cmp_lt_u32_e64 s[8:9], s2, v4
	v_readfirstlane_b32 s2, v17
	v_lshrrev_b32_e32 v19, 20, v1
	s_cselect_b64 s[30:31], -1, 0
	v_bfe_u32 v1, v4, 21, 1
	s_and_b32 s2, s2, 0xff
	v_add_u32_e32 v1, v4, v1
	s_cmp_lg_u32 s2, 0
	s_mov_b32 s2, 0x43efffff
	v_add_u32_e32 v2, 0x88fffff, v1
	v_cmp_lt_u32_e64 s[4:5], s2, v4
	s_mov_b32 s2, 0x3c800000
	v_add_u32_e32 v0, 0x407ffff, v0
	v_lshrrev_b32_e32 v16, 21, v2
	v_cmp_gt_u32_e64 s[6:7], s2, v4
	v_lshrrev_b32_e32 v2, 20, v0
	v_and_b32_e32 v0, 0xff00000, v0
	s_mov_b32 s2, 0x7f00000
	v_cmp_ne_u32_e32 vcc, s2, v0
	v_add_u32_e32 v0, 0x80fffff, v1
	s_mov_b32 s34, 0x7f800000
	v_cndmask_b32_e32 v14, v3, v2, vcc
	v_lshrrev_b32_e32 v11, 21, v0
	v_mov_b32_e32 v0, 0x7f
	v_cmp_lt_u32_e32 vcc, s34, v4
	v_mov_b32_e32 v1, 0x7c
	v_cndmask_b32_e32 v18, v3, v0, vcc
	v_cndmask_b32_e32 v13, v1, v0, vcc
	v_bfe_u32 v0, v4, 16, 1
	v_add_u32_e32 v0, v4, v0
	s_mov_b32 s0, 0x477fffff
	s_mov_b32 s2, 0x38800000
	v_add_u32_e32 v0, 0x7fff, v0
	v_cmp_ne_u16_e64 s[34:35], s23, 0
	s_mov_b32 s27, 0
	v_cmp_lt_u32_e64 s[0:1], s0, v4
	s_cselect_b64 s[28:29], -1, 0
	v_add_f32_e32 v15, 0x46800000, v4
	v_cmp_gt_u32_e64 s[2:3], s2, v4
	v_add_f32_e32 v12, 0x43000000, v4
	v_lshrrev_b32_e32 v10, 16, v0
	v_cndmask_b32_e64 v9, 0, 1, s[34:35]
	v_cvt_f64_u32_e32 v[0:1], s26
	v_cvt_f16_u16_e32 v8, s23
	v_cmp_gt_i32_e32 vcc, s50, v22
	s_mov_b64 s[38:39], -1
	s_mov_b64 s[40:41], 0
	s_mov_b64 s[34:35], 0
	s_and_saveexec_b64 s[36:37], vcc
	s_cbranch_execz .LBB158_100
; %bb.2:
	v_mul_lo_u32 v2, v22, s22
	v_ashrrev_i32_e32 v3, 31, v2
	v_mov_b32_e32 v5, s21
	v_add_co_u32_e32 v6, vcc, s20, v2
	v_mov_b32_e32 v2, 11
	v_addc_co_u32_e32 v7, vcc, v5, v3, vcc
	v_cmp_lt_i16_sdwa s[34:35], s33, v2 src0_sel:BYTE_0 src1_sel:DWORD
	s_and_b64 vcc, exec, s[34:35]
	s_cbranch_vccnz .LBB158_9
; %bb.3:
	v_mov_b32_e32 v2, 25
	v_cmp_gt_i16_sdwa s[34:35], s33, v2 src0_sel:BYTE_0 src1_sel:DWORD
	s_and_b64 vcc, exec, s[34:35]
	s_cbranch_vccz .LBB158_12
; %bb.4:
	v_mov_b32_e32 v2, 28
	v_cmp_gt_i16_sdwa s[34:35], s33, v2 src0_sel:BYTE_0 src1_sel:DWORD
	s_and_b64 vcc, exec, s[34:35]
	s_cbranch_vccz .LBB158_13
	;; [unrolled: 5-line block ×4, first 2 shown]
; %bb.7:
	v_mov_b32_e32 v2, 46
	v_cmp_eq_u16_sdwa s[38:39], s33, v2 src0_sel:BYTE_0 src1_sel:DWORD
	s_mov_b64 s[42:43], 0
	s_mov_b64 s[34:35], -1
	s_and_b64 vcc, exec, s[38:39]
	s_mov_b64 s[38:39], 0
	s_cbranch_vccz .LBB158_16
; %bb.8:
	global_store_dword v[6:7], v10, off
	s_mov_b64 s[38:39], -1
	s_mov_b64 s[34:35], 0
	s_branch .LBB158_16
.LBB158_9:
	s_mov_b64 s[34:35], 0
	s_mov_b64 s[38:39], 0
	s_cbranch_execnz .LBB158_60
.LBB158_10:
	s_andn2_b64 vcc, exec, s[38:39]
	s_cbranch_vccnz .LBB158_98
.LBB158_11:
	v_add_u32_e32 v22, 0x80, v22
	s_mov_b64 s[38:39], -1
	s_branch .LBB158_99
.LBB158_12:
	s_mov_b64 s[34:35], 0
	s_mov_b64 s[38:39], 0
	s_cbranch_execnz .LBB158_38
	s_branch .LBB158_59
.LBB158_13:
	s_mov_b64 s[42:43], -1
	s_mov_b64 s[34:35], 0
	s_mov_b64 s[38:39], 0
	s_branch .LBB158_24
.LBB158_14:
	s_mov_b64 s[42:43], -1
	s_mov_b64 s[34:35], 0
	s_mov_b64 s[38:39], 0
	s_branch .LBB158_20
.LBB158_15:
	s_mov_b64 s[42:43], -1
	s_mov_b64 s[34:35], 0
	s_mov_b64 s[38:39], 0
.LBB158_16:
	s_and_b64 vcc, exec, s[42:43]
	s_cbranch_vccz .LBB158_19
; %bb.17:
	v_mov_b32_e32 v2, 44
	v_cmp_eq_u16_sdwa s[42:43], s33, v2 src0_sel:BYTE_0 src1_sel:DWORD
	s_mov_b64 s[34:35], -1
	s_and_b64 vcc, exec, s[42:43]
	s_cbranch_vccz .LBB158_19
; %bb.18:
	v_mov_b32_e32 v2, 0xff
	v_cndmask_b32_e64 v2, v21, v2, s[16:17]
	global_store_byte v[6:7], v2, off
	s_mov_b64 s[38:39], -1
	s_mov_b64 s[34:35], 0
.LBB158_19:
	s_mov_b64 s[42:43], 0
.LBB158_20:
	s_and_b64 vcc, exec, s[42:43]
	s_cbranch_vccz .LBB158_23
; %bb.21:
	v_mov_b32_e32 v2, 29
	v_cmp_eq_u16_sdwa s[42:43], s33, v2 src0_sel:BYTE_0 src1_sel:DWORD
	s_mov_b64 s[34:35], -1
	s_and_b64 vcc, exec, s[42:43]
	s_cbranch_vccz .LBB158_23
; %bb.22:
	v_pk_mov_b32 v[2:3], s[26:27], s[26:27] op_sel:[0,1]
	global_store_dwordx2 v[6:7], v[2:3], off
	s_mov_b64 s[38:39], -1
	s_mov_b64 s[34:35], 0
.LBB158_23:
	s_mov_b64 s[42:43], 0
.LBB158_24:
	s_and_b64 vcc, exec, s[42:43]
	s_cbranch_vccz .LBB158_37
; %bb.25:
	v_mov_b32_e32 v2, 27
	v_cmp_lt_i16_sdwa s[42:43], s33, v2 src0_sel:BYTE_0 src1_sel:DWORD
	s_mov_b64 s[38:39], -1
	s_and_b64 vcc, exec, s[42:43]
	s_cbranch_vccnz .LBB158_31
; %bb.26:
	v_cmp_gt_i16_sdwa s[42:43], s33, v2 src0_sel:BYTE_0 src1_sel:DWORD
	s_and_b64 vcc, exec, s[42:43]
	s_cbranch_vccz .LBB158_28
; %bb.27:
	v_mov_b32_e32 v2, s26
	s_mov_b64 s[38:39], 0
	global_store_dword v[6:7], v2, off
.LBB158_28:
	s_andn2_b64 vcc, exec, s[38:39]
	s_cbranch_vccnz .LBB158_30
; %bb.29:
	v_mov_b32_e32 v2, s23
	global_store_short v[6:7], v2, off
.LBB158_30:
	s_mov_b64 s[38:39], 0
.LBB158_31:
	s_andn2_b64 vcc, exec, s[38:39]
	s_cbranch_vccnz .LBB158_36
; %bb.32:
	s_andn2_b64 vcc, exec, s[14:15]
	v_mov_b32_e32 v2, 0x80
	s_cbranch_vccnz .LBB158_35
; %bb.33:
	s_or_b64 s[38:39], s[12:13], s[30:31]
	s_andn2_b64 vcc, exec, s[38:39]
	v_mov_b32_e32 v2, 0
	s_cbranch_vccnz .LBB158_35
; %bb.34:
	v_cndmask_b32_e64 v2, v20, v19, s[12:13]
.LBB158_35:
	global_store_byte v[6:7], v2, off
.LBB158_36:
	s_mov_b64 s[38:39], -1
.LBB158_37:
	s_branch .LBB158_59
.LBB158_38:
	v_mov_b32_e32 v2, 22
	v_cmp_gt_i16_sdwa s[44:45], s33, v2 src0_sel:BYTE_0 src1_sel:DWORD
	s_mov_b64 s[42:43], -1
	s_and_b64 vcc, exec, s[44:45]
	s_cbranch_vccz .LBB158_51
; %bb.39:
	v_mov_b32_e32 v2, 24
	v_cmp_lt_i16_sdwa s[42:43], s33, v2 src0_sel:BYTE_0 src1_sel:DWORD
	s_mov_b64 s[38:39], -1
	s_and_b64 vcc, exec, s[42:43]
	s_cbranch_vccnz .LBB158_48
; %bb.40:
	v_cmp_gt_i16_sdwa s[42:43], s33, v2 src0_sel:BYTE_0 src1_sel:DWORD
	s_and_b64 vcc, exec, s[42:43]
	s_cbranch_vccz .LBB158_45
; %bb.41:
	s_andn2_b64 vcc, exec, s[10:11]
	v_mov_b32_e32 v2, 0x80
	s_cbranch_vccnz .LBB158_44
; %bb.42:
	s_or_b64 s[38:39], s[8:9], s[28:29]
	s_andn2_b64 vcc, exec, s[38:39]
	v_mov_b32_e32 v2, 0
	s_cbranch_vccnz .LBB158_44
; %bb.43:
	v_cndmask_b32_e64 v2, v17, v16, s[8:9]
.LBB158_44:
	s_mov_b64 s[38:39], 0
	global_store_byte v[6:7], v2, off
.LBB158_45:
	s_and_b64 vcc, exec, s[38:39]
	s_cbranch_vccz .LBB158_47
; %bb.46:
	v_cndmask_b32_e64 v2, v14, v15, s[6:7]
	v_cndmask_b32_e64 v2, v2, v18, s[4:5]
	global_store_byte v[6:7], v2, off
.LBB158_47:
	s_mov_b64 s[38:39], 0
.LBB158_48:
	s_andn2_b64 vcc, exec, s[38:39]
	s_cbranch_vccnz .LBB158_50
; %bb.49:
	v_cndmask_b32_e64 v2, v11, v12, s[2:3]
	v_cndmask_b32_e64 v2, v2, v13, s[0:1]
	global_store_byte v[6:7], v2, off
.LBB158_50:
	s_mov_b64 s[42:43], 0
	s_mov_b64 s[38:39], -1
.LBB158_51:
	s_andn2_b64 vcc, exec, s[42:43]
	s_cbranch_vccnz .LBB158_59
; %bb.52:
	v_mov_b32_e32 v2, 14
	v_cmp_gt_i16_sdwa s[44:45], s33, v2 src0_sel:BYTE_0 src1_sel:DWORD
	s_mov_b64 s[42:43], -1
	s_and_b64 vcc, exec, s[44:45]
	s_cbranch_vccz .LBB158_56
; %bb.53:
	v_mov_b32_e32 v2, 15
	v_cmp_eq_u16_sdwa s[42:43], s33, v2 src0_sel:BYTE_0 src1_sel:DWORD
	s_mov_b64 s[34:35], -1
	s_and_b64 vcc, exec, s[42:43]
	s_cbranch_vccz .LBB158_55
; %bb.54:
	global_store_short v[6:7], v10, off
	s_mov_b64 s[38:39], -1
	s_mov_b64 s[34:35], 0
.LBB158_55:
	s_mov_b64 s[42:43], 0
.LBB158_56:
	s_and_b64 vcc, exec, s[42:43]
	s_cbranch_vccz .LBB158_59
; %bb.57:
	v_mov_b32_e32 v2, 11
	v_cmp_eq_u16_sdwa s[42:43], s33, v2 src0_sel:BYTE_0 src1_sel:DWORD
	s_mov_b64 s[34:35], -1
	s_and_b64 vcc, exec, s[42:43]
	s_cbranch_vccz .LBB158_59
; %bb.58:
	s_mov_b64 s[38:39], -1
	s_mov_b64 s[34:35], 0
	global_store_byte v[6:7], v9, off
.LBB158_59:
	s_branch .LBB158_10
.LBB158_60:
	v_mov_b32_e32 v2, 5
	v_cmp_lt_i16_sdwa s[42:43], s33, v2 src0_sel:BYTE_0 src1_sel:DWORD
	s_mov_b64 s[38:39], -1
	s_and_b64 vcc, exec, s[42:43]
	s_cbranch_vccnz .LBB158_81
; %bb.61:
	v_mov_b32_e32 v2, 8
	v_cmp_lt_i16_sdwa s[42:43], s33, v2 src0_sel:BYTE_0 src1_sel:DWORD
	s_and_b64 vcc, exec, s[42:43]
	s_cbranch_vccnz .LBB158_71
; %bb.62:
	v_mov_b32_e32 v2, 9
	v_cmp_lt_i16_sdwa s[42:43], s33, v2 src0_sel:BYTE_0 src1_sel:DWORD
	s_and_b64 vcc, exec, s[42:43]
	s_cbranch_vccnz .LBB158_68
; %bb.63:
	v_cmp_gt_i16_sdwa s[42:43], s33, v2 src0_sel:BYTE_0 src1_sel:DWORD
	s_and_b64 vcc, exec, s[42:43]
	s_cbranch_vccz .LBB158_65
; %bb.64:
	v_mov_b32_e32 v2, 0
	v_mov_b32_e32 v3, v2
	global_store_dwordx4 v[6:7], v[0:3], off
	s_mov_b64 s[38:39], 0
.LBB158_65:
	s_andn2_b64 vcc, exec, s[38:39]
	s_cbranch_vccnz .LBB158_67
; %bb.66:
	v_mov_b32_e32 v5, 0
	global_store_dwordx2 v[6:7], v[4:5], off
.LBB158_67:
	s_mov_b64 s[38:39], 0
.LBB158_68:
	s_andn2_b64 vcc, exec, s[38:39]
	s_cbranch_vccnz .LBB158_70
; %bb.69:
	global_store_dword v[6:7], v8, off
.LBB158_70:
	s_mov_b64 s[38:39], 0
.LBB158_71:
	s_andn2_b64 vcc, exec, s[38:39]
	s_cbranch_vccnz .LBB158_80
; %bb.72:
	v_mov_b32_e32 v2, 6
	v_cmp_lt_i16_sdwa s[42:43], s33, v2 src0_sel:BYTE_0 src1_sel:DWORD
	s_mov_b64 s[38:39], -1
	s_and_b64 vcc, exec, s[42:43]
	s_cbranch_vccnz .LBB158_78
; %bb.73:
	v_cmp_gt_i16_sdwa s[42:43], s33, v2 src0_sel:BYTE_0 src1_sel:DWORD
	s_and_b64 vcc, exec, s[42:43]
	s_cbranch_vccz .LBB158_75
; %bb.74:
	global_store_dwordx2 v[6:7], v[0:1], off
	s_mov_b64 s[38:39], 0
.LBB158_75:
	s_andn2_b64 vcc, exec, s[38:39]
	s_cbranch_vccnz .LBB158_77
; %bb.76:
	global_store_dword v[6:7], v4, off
.LBB158_77:
	s_mov_b64 s[38:39], 0
.LBB158_78:
	s_andn2_b64 vcc, exec, s[38:39]
	s_cbranch_vccnz .LBB158_80
; %bb.79:
	global_store_short v[6:7], v8, off
.LBB158_80:
	s_mov_b64 s[38:39], 0
.LBB158_81:
	s_andn2_b64 vcc, exec, s[38:39]
	s_cbranch_vccnz .LBB158_97
; %bb.82:
	v_mov_b32_e32 v2, 2
	v_cmp_lt_i16_sdwa s[42:43], s33, v2 src0_sel:BYTE_0 src1_sel:DWORD
	s_mov_b64 s[38:39], -1
	s_and_b64 vcc, exec, s[42:43]
	s_cbranch_vccnz .LBB158_92
; %bb.83:
	v_mov_b32_e32 v2, 3
	v_cmp_lt_i16_sdwa s[42:43], s33, v2 src0_sel:BYTE_0 src1_sel:DWORD
	s_and_b64 vcc, exec, s[42:43]
	s_cbranch_vccnz .LBB158_89
; %bb.84:
	v_cmp_gt_i16_sdwa s[42:43], s33, v2 src0_sel:BYTE_0 src1_sel:DWORD
	s_and_b64 vcc, exec, s[42:43]
	s_cbranch_vccz .LBB158_86
; %bb.85:
	v_pk_mov_b32 v[2:3], s[26:27], s[26:27] op_sel:[0,1]
	global_store_dwordx2 v[6:7], v[2:3], off
	s_mov_b64 s[38:39], 0
.LBB158_86:
	s_andn2_b64 vcc, exec, s[38:39]
	s_cbranch_vccnz .LBB158_88
; %bb.87:
	v_mov_b32_e32 v2, s26
	global_store_dword v[6:7], v2, off
.LBB158_88:
	s_mov_b64 s[38:39], 0
.LBB158_89:
	s_andn2_b64 vcc, exec, s[38:39]
	s_cbranch_vccnz .LBB158_91
; %bb.90:
	v_mov_b32_e32 v2, s23
	global_store_short v[6:7], v2, off
.LBB158_91:
	s_mov_b64 s[38:39], 0
.LBB158_92:
	s_andn2_b64 vcc, exec, s[38:39]
	s_cbranch_vccnz .LBB158_97
; %bb.93:
	v_mov_b32_e32 v2, 0
	v_cmp_gt_i16_sdwa s[42:43], s33, v2 src0_sel:BYTE_0 src1_sel:DWORD
	s_mov_b64 s[38:39], -1
	s_and_b64 vcc, exec, s[42:43]
	s_cbranch_vccz .LBB158_95
; %bb.94:
	v_mov_b32_e32 v2, s23
	global_store_byte v[6:7], v2, off
	s_mov_b64 s[38:39], 0
.LBB158_95:
	s_andn2_b64 vcc, exec, s[38:39]
	s_cbranch_vccnz .LBB158_97
; %bb.96:
	v_mov_b32_e32 v2, s23
	global_store_byte v[6:7], v2, off
.LBB158_97:
	s_branch .LBB158_11
.LBB158_98:
	s_mov_b64 s[38:39], 0
                                        ; implicit-def: $vgpr22
.LBB158_99:
	s_and_b64 s[34:35], s[34:35], exec
	s_orn2_b64 s[38:39], s[38:39], exec
.LBB158_100:
	s_or_b64 exec, exec, s[36:37]
	s_mov_b64 s[42:43], 0
                                        ; implicit-def: $vgpr23
                                        ; implicit-def: $vgpr6_vgpr7
	s_and_saveexec_b64 s[36:37], s[38:39]
	s_cbranch_execz .LBB158_109
; %bb.101:
	v_cmp_gt_i32_e32 vcc, s50, v22
	s_mov_b64 s[44:45], -1
	s_mov_b64 s[38:39], s[34:35]
	s_and_saveexec_b64 s[40:41], vcc
	s_cbranch_execz .LBB158_204
; %bb.102:
	v_mul_lo_u32 v2, v22, s22
	v_ashrrev_i32_e32 v3, 31, v2
	v_mov_b32_e32 v5, s21
	v_add_co_u32_e32 v6, vcc, s20, v2
	v_mov_b32_e32 v2, 11
	v_addc_co_u32_e32 v7, vcc, v5, v3, vcc
	v_cmp_lt_i16_sdwa s[38:39], s33, v2 src0_sel:BYTE_0 src1_sel:DWORD
	s_and_b64 vcc, exec, s[38:39]
	s_cbranch_vccnz .LBB158_112
; %bb.103:
	v_mov_b32_e32 v2, 25
	v_cmp_gt_i16_sdwa s[38:39], s33, v2 src0_sel:BYTE_0 src1_sel:DWORD
	s_and_b64 vcc, exec, s[38:39]
	s_cbranch_vccz .LBB158_115
; %bb.104:
	v_mov_b32_e32 v2, 28
	v_cmp_gt_i16_sdwa s[38:39], s33, v2 src0_sel:BYTE_0 src1_sel:DWORD
	s_and_b64 vcc, exec, s[38:39]
	s_cbranch_vccz .LBB158_116
	;; [unrolled: 5-line block ×4, first 2 shown]
; %bb.107:
	v_mov_b32_e32 v2, 46
	v_cmp_eq_u16_sdwa s[42:43], s33, v2 src0_sel:BYTE_0 src1_sel:DWORD
	s_mov_b64 s[44:45], 0
	s_mov_b64 s[38:39], -1
	s_and_b64 vcc, exec, s[42:43]
	s_mov_b64 s[42:43], 0
	s_cbranch_vccz .LBB158_119
; %bb.108:
	global_store_dword v[6:7], v10, off
	s_mov_b64 s[42:43], -1
	s_mov_b64 s[38:39], 0
	s_branch .LBB158_119
.LBB158_109:
	s_or_b64 exec, exec, s[36:37]
	s_mov_b64 s[0:1], 0
	s_and_saveexec_b64 s[2:3], s[34:35]
	s_cbranch_execnz .LBB158_364
.LBB158_110:
	s_or_b64 exec, exec, s[2:3]
	s_and_saveexec_b64 s[2:3], s[40:41]
	s_xor_b64 s[2:3], exec, s[2:3]
	s_cbranch_execz .LBB158_365
.LBB158_111:
	global_store_byte v[6:7], v9, off
	s_or_b64 exec, exec, s[2:3]
	s_and_saveexec_b64 s[2:3], s[42:43]
	s_xor_b64 s[2:3], exec, s[2:3]
	s_cbranch_execz .LBB158_403
	s_branch .LBB158_366
.LBB158_112:
	s_mov_b64 s[38:39], s[34:35]
	s_and_b64 vcc, exec, s[44:45]
	s_cbranch_vccnz .LBB158_164
.LBB158_113:
	s_andn2_b64 vcc, exec, s[42:43]
	s_cbranch_vccnz .LBB158_202
.LBB158_114:
	v_add_u32_e32 v22, 0x80, v22
	s_mov_b64 s[42:43], -1
	s_branch .LBB158_203
.LBB158_115:
	s_mov_b64 s[38:39], s[34:35]
	s_branch .LBB158_141
.LBB158_116:
	s_mov_b64 s[38:39], s[34:35]
	s_branch .LBB158_127
.LBB158_117:
	s_mov_b64 s[38:39], s[34:35]
	s_branch .LBB158_123
.LBB158_118:
	s_mov_b64 s[38:39], s[34:35]
.LBB158_119:
	s_and_b64 vcc, exec, s[44:45]
	s_cbranch_vccz .LBB158_122
; %bb.120:
	v_mov_b32_e32 v2, 44
	v_cmp_eq_u16_sdwa s[44:45], s33, v2 src0_sel:BYTE_0 src1_sel:DWORD
	s_mov_b64 s[38:39], -1
	s_and_b64 vcc, exec, s[44:45]
	s_cbranch_vccz .LBB158_122
; %bb.121:
	v_mov_b32_e32 v2, 0xff
	v_cndmask_b32_e64 v2, v21, v2, s[16:17]
	s_mov_b64 s[42:43], -1
	s_mov_b64 s[38:39], 0
	global_store_byte v[6:7], v2, off
.LBB158_122:
	s_mov_b64 s[44:45], 0
.LBB158_123:
	s_and_b64 vcc, exec, s[44:45]
	s_cbranch_vccz .LBB158_126
; %bb.124:
	v_mov_b32_e32 v2, 29
	v_cmp_eq_u16_sdwa s[44:45], s33, v2 src0_sel:BYTE_0 src1_sel:DWORD
	s_mov_b64 s[38:39], -1
	s_and_b64 vcc, exec, s[44:45]
	s_cbranch_vccz .LBB158_126
; %bb.125:
	v_pk_mov_b32 v[2:3], s[26:27], s[26:27] op_sel:[0,1]
	global_store_dwordx2 v[6:7], v[2:3], off
	s_mov_b64 s[42:43], -1
	s_mov_b64 s[38:39], 0
.LBB158_126:
	s_mov_b64 s[44:45], 0
.LBB158_127:
	s_and_b64 vcc, exec, s[44:45]
	s_cbranch_vccz .LBB158_140
; %bb.128:
	v_mov_b32_e32 v2, 27
	v_cmp_lt_i16_sdwa s[44:45], s33, v2 src0_sel:BYTE_0 src1_sel:DWORD
	s_mov_b64 s[42:43], -1
	s_and_b64 vcc, exec, s[44:45]
	s_cbranch_vccnz .LBB158_134
; %bb.129:
	v_cmp_gt_i16_sdwa s[44:45], s33, v2 src0_sel:BYTE_0 src1_sel:DWORD
	s_and_b64 vcc, exec, s[44:45]
	s_cbranch_vccz .LBB158_131
; %bb.130:
	v_mov_b32_e32 v2, s26
	s_mov_b64 s[42:43], 0
	global_store_dword v[6:7], v2, off
.LBB158_131:
	s_andn2_b64 vcc, exec, s[42:43]
	s_cbranch_vccnz .LBB158_133
; %bb.132:
	v_mov_b32_e32 v2, s23
	global_store_short v[6:7], v2, off
.LBB158_133:
	s_mov_b64 s[42:43], 0
.LBB158_134:
	s_andn2_b64 vcc, exec, s[42:43]
	s_cbranch_vccnz .LBB158_139
; %bb.135:
	s_andn2_b64 vcc, exec, s[14:15]
	v_mov_b32_e32 v2, 0x80
	s_cbranch_vccnz .LBB158_138
; %bb.136:
	s_or_b64 s[42:43], s[12:13], s[30:31]
	s_andn2_b64 vcc, exec, s[42:43]
	v_mov_b32_e32 v2, 0
	s_cbranch_vccnz .LBB158_138
; %bb.137:
	v_cndmask_b32_e64 v2, v20, v19, s[12:13]
.LBB158_138:
	global_store_byte v[6:7], v2, off
.LBB158_139:
	s_mov_b64 s[42:43], -1
.LBB158_140:
	s_mov_b64 s[44:45], 0
.LBB158_141:
	s_and_b64 vcc, exec, s[44:45]
	s_cbranch_vccz .LBB158_163
; %bb.142:
	v_mov_b32_e32 v2, 22
	v_cmp_gt_i16_sdwa s[46:47], s33, v2 src0_sel:BYTE_0 src1_sel:DWORD
	s_mov_b64 s[44:45], -1
	s_and_b64 vcc, exec, s[46:47]
	s_cbranch_vccz .LBB158_155
; %bb.143:
	v_mov_b32_e32 v2, 24
	v_cmp_lt_i16_sdwa s[44:45], s33, v2 src0_sel:BYTE_0 src1_sel:DWORD
	s_mov_b64 s[42:43], -1
	s_and_b64 vcc, exec, s[44:45]
	s_cbranch_vccnz .LBB158_152
; %bb.144:
	v_cmp_gt_i16_sdwa s[44:45], s33, v2 src0_sel:BYTE_0 src1_sel:DWORD
	s_and_b64 vcc, exec, s[44:45]
	s_cbranch_vccz .LBB158_149
; %bb.145:
	s_andn2_b64 vcc, exec, s[10:11]
	v_mov_b32_e32 v2, 0x80
	s_cbranch_vccnz .LBB158_148
; %bb.146:
	s_or_b64 s[42:43], s[8:9], s[28:29]
	s_andn2_b64 vcc, exec, s[42:43]
	v_mov_b32_e32 v2, 0
	s_cbranch_vccnz .LBB158_148
; %bb.147:
	v_cndmask_b32_e64 v2, v17, v16, s[8:9]
.LBB158_148:
	s_mov_b64 s[42:43], 0
	global_store_byte v[6:7], v2, off
.LBB158_149:
	s_and_b64 vcc, exec, s[42:43]
	s_cbranch_vccz .LBB158_151
; %bb.150:
	v_cndmask_b32_e64 v2, v14, v15, s[6:7]
	v_cndmask_b32_e64 v2, v2, v18, s[4:5]
	global_store_byte v[6:7], v2, off
.LBB158_151:
	s_mov_b64 s[42:43], 0
.LBB158_152:
	s_andn2_b64 vcc, exec, s[42:43]
	s_cbranch_vccnz .LBB158_154
; %bb.153:
	v_cndmask_b32_e64 v2, v11, v12, s[2:3]
	v_cndmask_b32_e64 v2, v2, v13, s[0:1]
	global_store_byte v[6:7], v2, off
.LBB158_154:
	s_mov_b64 s[44:45], 0
	s_mov_b64 s[42:43], -1
.LBB158_155:
	s_andn2_b64 vcc, exec, s[44:45]
	s_cbranch_vccnz .LBB158_163
; %bb.156:
	v_mov_b32_e32 v2, 14
	v_cmp_gt_i16_sdwa s[46:47], s33, v2 src0_sel:BYTE_0 src1_sel:DWORD
	s_mov_b64 s[44:45], -1
	s_and_b64 vcc, exec, s[46:47]
	s_cbranch_vccz .LBB158_160
; %bb.157:
	v_mov_b32_e32 v2, 15
	v_cmp_eq_u16_sdwa s[44:45], s33, v2 src0_sel:BYTE_0 src1_sel:DWORD
	s_mov_b64 s[38:39], -1
	s_and_b64 vcc, exec, s[44:45]
	s_cbranch_vccz .LBB158_159
; %bb.158:
	global_store_short v[6:7], v10, off
	s_mov_b64 s[42:43], -1
	s_mov_b64 s[38:39], 0
.LBB158_159:
	s_mov_b64 s[44:45], 0
.LBB158_160:
	s_and_b64 vcc, exec, s[44:45]
	s_cbranch_vccz .LBB158_163
; %bb.161:
	v_mov_b32_e32 v2, 11
	v_cmp_eq_u16_sdwa s[44:45], s33, v2 src0_sel:BYTE_0 src1_sel:DWORD
	s_mov_b64 s[38:39], -1
	s_and_b64 vcc, exec, s[44:45]
	s_cbranch_vccz .LBB158_163
; %bb.162:
	s_mov_b64 s[42:43], -1
	s_mov_b64 s[38:39], 0
	global_store_byte v[6:7], v9, off
.LBB158_163:
	s_branch .LBB158_113
.LBB158_164:
	v_mov_b32_e32 v2, 5
	v_cmp_lt_i16_sdwa s[44:45], s33, v2 src0_sel:BYTE_0 src1_sel:DWORD
	s_mov_b64 s[42:43], -1
	s_and_b64 vcc, exec, s[44:45]
	s_cbranch_vccnz .LBB158_185
; %bb.165:
	v_mov_b32_e32 v2, 8
	v_cmp_lt_i16_sdwa s[44:45], s33, v2 src0_sel:BYTE_0 src1_sel:DWORD
	s_and_b64 vcc, exec, s[44:45]
	s_cbranch_vccnz .LBB158_175
; %bb.166:
	v_mov_b32_e32 v2, 9
	v_cmp_lt_i16_sdwa s[44:45], s33, v2 src0_sel:BYTE_0 src1_sel:DWORD
	s_and_b64 vcc, exec, s[44:45]
	s_cbranch_vccnz .LBB158_172
; %bb.167:
	v_cmp_gt_i16_sdwa s[44:45], s33, v2 src0_sel:BYTE_0 src1_sel:DWORD
	s_and_b64 vcc, exec, s[44:45]
	s_cbranch_vccz .LBB158_169
; %bb.168:
	v_mov_b32_e32 v2, 0
	v_mov_b32_e32 v3, v2
	s_mov_b64 s[42:43], 0
	global_store_dwordx4 v[6:7], v[0:3], off
.LBB158_169:
	s_andn2_b64 vcc, exec, s[42:43]
	s_cbranch_vccnz .LBB158_171
; %bb.170:
	v_mov_b32_e32 v5, 0
	global_store_dwordx2 v[6:7], v[4:5], off
.LBB158_171:
	s_mov_b64 s[42:43], 0
.LBB158_172:
	s_andn2_b64 vcc, exec, s[42:43]
	s_cbranch_vccnz .LBB158_174
; %bb.173:
	global_store_dword v[6:7], v8, off
.LBB158_174:
	s_mov_b64 s[42:43], 0
.LBB158_175:
	s_andn2_b64 vcc, exec, s[42:43]
	s_cbranch_vccnz .LBB158_184
; %bb.176:
	v_mov_b32_e32 v2, 6
	v_cmp_lt_i16_sdwa s[44:45], s33, v2 src0_sel:BYTE_0 src1_sel:DWORD
	s_mov_b64 s[42:43], -1
	s_and_b64 vcc, exec, s[44:45]
	s_cbranch_vccnz .LBB158_182
; %bb.177:
	v_cmp_gt_i16_sdwa s[44:45], s33, v2 src0_sel:BYTE_0 src1_sel:DWORD
	s_and_b64 vcc, exec, s[44:45]
	s_cbranch_vccz .LBB158_179
; %bb.178:
	s_mov_b64 s[42:43], 0
	global_store_dwordx2 v[6:7], v[0:1], off
.LBB158_179:
	s_andn2_b64 vcc, exec, s[42:43]
	s_cbranch_vccnz .LBB158_181
; %bb.180:
	global_store_dword v[6:7], v4, off
.LBB158_181:
	s_mov_b64 s[42:43], 0
.LBB158_182:
	s_andn2_b64 vcc, exec, s[42:43]
	s_cbranch_vccnz .LBB158_184
; %bb.183:
	global_store_short v[6:7], v8, off
.LBB158_184:
	s_mov_b64 s[42:43], 0
.LBB158_185:
	s_andn2_b64 vcc, exec, s[42:43]
	s_cbranch_vccnz .LBB158_201
; %bb.186:
	v_mov_b32_e32 v2, 2
	v_cmp_lt_i16_sdwa s[44:45], s33, v2 src0_sel:BYTE_0 src1_sel:DWORD
	s_mov_b64 s[42:43], -1
	s_and_b64 vcc, exec, s[44:45]
	s_cbranch_vccnz .LBB158_196
; %bb.187:
	v_mov_b32_e32 v2, 3
	v_cmp_lt_i16_sdwa s[44:45], s33, v2 src0_sel:BYTE_0 src1_sel:DWORD
	s_and_b64 vcc, exec, s[44:45]
	s_cbranch_vccnz .LBB158_193
; %bb.188:
	v_cmp_gt_i16_sdwa s[44:45], s33, v2 src0_sel:BYTE_0 src1_sel:DWORD
	s_and_b64 vcc, exec, s[44:45]
	s_cbranch_vccz .LBB158_190
; %bb.189:
	v_pk_mov_b32 v[2:3], s[26:27], s[26:27] op_sel:[0,1]
	s_mov_b64 s[42:43], 0
	global_store_dwordx2 v[6:7], v[2:3], off
.LBB158_190:
	s_andn2_b64 vcc, exec, s[42:43]
	s_cbranch_vccnz .LBB158_192
; %bb.191:
	v_mov_b32_e32 v2, s26
	global_store_dword v[6:7], v2, off
.LBB158_192:
	s_mov_b64 s[42:43], 0
.LBB158_193:
	s_andn2_b64 vcc, exec, s[42:43]
	s_cbranch_vccnz .LBB158_195
; %bb.194:
	v_mov_b32_e32 v2, s23
	global_store_short v[6:7], v2, off
.LBB158_195:
	s_mov_b64 s[42:43], 0
.LBB158_196:
	s_andn2_b64 vcc, exec, s[42:43]
	s_cbranch_vccnz .LBB158_201
; %bb.197:
	v_mov_b32_e32 v2, 0
	v_cmp_gt_i16_sdwa s[44:45], s33, v2 src0_sel:BYTE_0 src1_sel:DWORD
	s_mov_b64 s[42:43], -1
	s_and_b64 vcc, exec, s[44:45]
	s_cbranch_vccz .LBB158_199
; %bb.198:
	v_mov_b32_e32 v2, s23
	s_mov_b64 s[42:43], 0
	global_store_byte v[6:7], v2, off
.LBB158_199:
	s_andn2_b64 vcc, exec, s[42:43]
	s_cbranch_vccnz .LBB158_201
; %bb.200:
	v_mov_b32_e32 v2, s23
	global_store_byte v[6:7], v2, off
.LBB158_201:
	s_branch .LBB158_114
.LBB158_202:
	s_mov_b64 s[42:43], 0
                                        ; implicit-def: $vgpr22
.LBB158_203:
	s_andn2_b64 s[44:45], s[34:35], exec
	s_and_b64 s[38:39], s[38:39], exec
	s_or_b64 s[38:39], s[44:45], s[38:39]
	s_orn2_b64 s[44:45], s[42:43], exec
.LBB158_204:
	s_or_b64 exec, exec, s[40:41]
	s_mov_b64 s[46:47], 0
	s_mov_b64 s[42:43], 0
                                        ; implicit-def: $vgpr23
                                        ; implicit-def: $vgpr6_vgpr7
	s_and_saveexec_b64 s[40:41], s[44:45]
	s_cbranch_execz .LBB158_363
; %bb.205:
	v_cmp_gt_i32_e32 vcc, s50, v22
	s_mov_b64 s[48:49], -1
	s_mov_b64 s[44:45], s[38:39]
	s_and_saveexec_b64 s[42:43], vcc
	s_cbranch_execz .LBB158_306
; %bb.206:
	v_mul_lo_u32 v2, v22, s22
	v_ashrrev_i32_e32 v3, 31, v2
	v_mov_b32_e32 v5, s21
	v_add_co_u32_e32 v6, vcc, s20, v2
	v_mov_b32_e32 v2, 11
	v_addc_co_u32_e32 v7, vcc, v5, v3, vcc
	v_cmp_lt_i16_sdwa s[44:45], s33, v2 src0_sel:BYTE_0 src1_sel:DWORD
	s_and_b64 vcc, exec, s[44:45]
	s_cbranch_vccnz .LBB158_213
; %bb.207:
	v_mov_b32_e32 v2, 25
	v_cmp_gt_i16_sdwa s[44:45], s33, v2 src0_sel:BYTE_0 src1_sel:DWORD
	s_and_b64 vcc, exec, s[44:45]
	s_cbranch_vccz .LBB158_214
; %bb.208:
	v_mov_b32_e32 v2, 28
	v_cmp_gt_i16_sdwa s[44:45], s33, v2 src0_sel:BYTE_0 src1_sel:DWORD
	s_and_b64 vcc, exec, s[44:45]
	s_cbranch_vccz .LBB158_215
	;; [unrolled: 5-line block ×4, first 2 shown]
; %bb.211:
	v_mov_b32_e32 v2, 46
	v_cmp_eq_u16_sdwa s[46:47], s33, v2 src0_sel:BYTE_0 src1_sel:DWORD
	s_mov_b64 s[48:49], 0
	s_mov_b64 s[44:45], -1
	s_and_b64 vcc, exec, s[46:47]
	s_mov_b64 s[46:47], 0
	s_cbranch_vccz .LBB158_218
; %bb.212:
	global_store_dword v[6:7], v10, off
	s_mov_b64 s[46:47], -1
	s_mov_b64 s[44:45], 0
	s_branch .LBB158_218
.LBB158_213:
	s_mov_b64 s[44:45], s[38:39]
	s_branch .LBB158_263
.LBB158_214:
	s_mov_b64 s[44:45], s[38:39]
	s_branch .LBB158_240
.LBB158_215:
	s_mov_b64 s[44:45], s[38:39]
	s_branch .LBB158_226
.LBB158_216:
	s_mov_b64 s[44:45], s[38:39]
	s_branch .LBB158_222
.LBB158_217:
	s_mov_b64 s[44:45], s[38:39]
.LBB158_218:
	s_and_b64 vcc, exec, s[48:49]
	s_cbranch_vccz .LBB158_221
; %bb.219:
	v_mov_b32_e32 v2, 44
	v_cmp_eq_u16_sdwa s[48:49], s33, v2 src0_sel:BYTE_0 src1_sel:DWORD
	s_mov_b64 s[44:45], -1
	s_and_b64 vcc, exec, s[48:49]
	s_cbranch_vccz .LBB158_221
; %bb.220:
	v_mov_b32_e32 v2, 0xff
	v_cndmask_b32_e64 v2, v21, v2, s[16:17]
	s_mov_b64 s[46:47], -1
	s_mov_b64 s[44:45], 0
	global_store_byte v[6:7], v2, off
.LBB158_221:
	s_mov_b64 s[48:49], 0
.LBB158_222:
	s_and_b64 vcc, exec, s[48:49]
	s_cbranch_vccz .LBB158_225
; %bb.223:
	v_mov_b32_e32 v2, 29
	v_cmp_eq_u16_sdwa s[48:49], s33, v2 src0_sel:BYTE_0 src1_sel:DWORD
	s_mov_b64 s[44:45], -1
	s_and_b64 vcc, exec, s[48:49]
	s_cbranch_vccz .LBB158_225
; %bb.224:
	v_pk_mov_b32 v[2:3], s[26:27], s[26:27] op_sel:[0,1]
	global_store_dwordx2 v[6:7], v[2:3], off
	s_mov_b64 s[46:47], -1
	s_mov_b64 s[44:45], 0
.LBB158_225:
	s_mov_b64 s[48:49], 0
.LBB158_226:
	s_and_b64 vcc, exec, s[48:49]
	s_cbranch_vccz .LBB158_239
; %bb.227:
	v_mov_b32_e32 v2, 27
	v_cmp_lt_i16_sdwa s[48:49], s33, v2 src0_sel:BYTE_0 src1_sel:DWORD
	s_mov_b64 s[46:47], -1
	s_and_b64 vcc, exec, s[48:49]
	s_cbranch_vccnz .LBB158_233
; %bb.228:
	v_cmp_gt_i16_sdwa s[48:49], s33, v2 src0_sel:BYTE_0 src1_sel:DWORD
	s_and_b64 vcc, exec, s[48:49]
	s_cbranch_vccz .LBB158_230
; %bb.229:
	v_mov_b32_e32 v2, s26
	s_mov_b64 s[46:47], 0
	global_store_dword v[6:7], v2, off
.LBB158_230:
	s_andn2_b64 vcc, exec, s[46:47]
	s_cbranch_vccnz .LBB158_232
; %bb.231:
	v_mov_b32_e32 v2, s23
	global_store_short v[6:7], v2, off
.LBB158_232:
	s_mov_b64 s[46:47], 0
.LBB158_233:
	s_andn2_b64 vcc, exec, s[46:47]
	s_cbranch_vccnz .LBB158_238
; %bb.234:
	s_andn2_b64 vcc, exec, s[14:15]
	v_mov_b32_e32 v2, 0x80
	s_cbranch_vccnz .LBB158_237
; %bb.235:
	s_or_b64 s[46:47], s[12:13], s[30:31]
	s_andn2_b64 vcc, exec, s[46:47]
	v_mov_b32_e32 v2, 0
	s_cbranch_vccnz .LBB158_237
; %bb.236:
	v_cndmask_b32_e64 v2, v20, v19, s[12:13]
.LBB158_237:
	global_store_byte v[6:7], v2, off
.LBB158_238:
	s_mov_b64 s[46:47], -1
.LBB158_239:
	s_mov_b64 s[48:49], 0
.LBB158_240:
	s_and_b64 vcc, exec, s[48:49]
	s_cbranch_vccz .LBB158_262
; %bb.241:
	v_mov_b32_e32 v2, 22
	v_cmp_gt_i16_sdwa s[52:53], s33, v2 src0_sel:BYTE_0 src1_sel:DWORD
	s_mov_b64 s[48:49], -1
	s_and_b64 vcc, exec, s[52:53]
	s_cbranch_vccz .LBB158_254
; %bb.242:
	v_mov_b32_e32 v2, 24
	v_cmp_lt_i16_sdwa s[48:49], s33, v2 src0_sel:BYTE_0 src1_sel:DWORD
	s_mov_b64 s[46:47], -1
	s_and_b64 vcc, exec, s[48:49]
	s_cbranch_vccnz .LBB158_251
; %bb.243:
	v_cmp_gt_i16_sdwa s[48:49], s33, v2 src0_sel:BYTE_0 src1_sel:DWORD
	s_and_b64 vcc, exec, s[48:49]
	s_cbranch_vccz .LBB158_248
; %bb.244:
	s_andn2_b64 vcc, exec, s[10:11]
	v_mov_b32_e32 v2, 0x80
	s_cbranch_vccnz .LBB158_247
; %bb.245:
	s_or_b64 s[46:47], s[8:9], s[28:29]
	s_andn2_b64 vcc, exec, s[46:47]
	v_mov_b32_e32 v2, 0
	s_cbranch_vccnz .LBB158_247
; %bb.246:
	v_cndmask_b32_e64 v2, v17, v16, s[8:9]
.LBB158_247:
	s_mov_b64 s[46:47], 0
	global_store_byte v[6:7], v2, off
.LBB158_248:
	s_and_b64 vcc, exec, s[46:47]
	s_cbranch_vccz .LBB158_250
; %bb.249:
	v_cndmask_b32_e64 v2, v14, v15, s[6:7]
	v_cndmask_b32_e64 v2, v2, v18, s[4:5]
	global_store_byte v[6:7], v2, off
.LBB158_250:
	s_mov_b64 s[46:47], 0
.LBB158_251:
	s_andn2_b64 vcc, exec, s[46:47]
	s_cbranch_vccnz .LBB158_253
; %bb.252:
	v_cndmask_b32_e64 v2, v11, v12, s[2:3]
	v_cndmask_b32_e64 v2, v2, v13, s[0:1]
	global_store_byte v[6:7], v2, off
.LBB158_253:
	s_mov_b64 s[48:49], 0
	s_mov_b64 s[46:47], -1
.LBB158_254:
	s_andn2_b64 vcc, exec, s[48:49]
	s_cbranch_vccnz .LBB158_262
; %bb.255:
	v_mov_b32_e32 v2, 14
	v_cmp_gt_i16_sdwa s[52:53], s33, v2 src0_sel:BYTE_0 src1_sel:DWORD
	s_mov_b64 s[48:49], -1
	s_and_b64 vcc, exec, s[52:53]
	s_cbranch_vccz .LBB158_259
; %bb.256:
	v_mov_b32_e32 v2, 15
	v_cmp_eq_u16_sdwa s[48:49], s33, v2 src0_sel:BYTE_0 src1_sel:DWORD
	s_mov_b64 s[44:45], -1
	s_and_b64 vcc, exec, s[48:49]
	s_cbranch_vccz .LBB158_258
; %bb.257:
	global_store_short v[6:7], v10, off
	s_mov_b64 s[46:47], -1
	s_mov_b64 s[44:45], 0
.LBB158_258:
	s_mov_b64 s[48:49], 0
.LBB158_259:
	s_and_b64 vcc, exec, s[48:49]
	s_cbranch_vccz .LBB158_262
; %bb.260:
	v_mov_b32_e32 v2, 11
	v_cmp_eq_u16_sdwa s[48:49], s33, v2 src0_sel:BYTE_0 src1_sel:DWORD
	s_mov_b64 s[44:45], -1
	s_and_b64 vcc, exec, s[48:49]
	s_cbranch_vccz .LBB158_262
; %bb.261:
	s_mov_b64 s[46:47], -1
	s_mov_b64 s[44:45], 0
	global_store_byte v[6:7], v9, off
.LBB158_262:
	s_mov_b64 s[48:49], 0
.LBB158_263:
	s_and_b64 vcc, exec, s[48:49]
	s_cbranch_vccz .LBB158_302
; %bb.264:
	v_mov_b32_e32 v2, 5
	v_cmp_lt_i16_sdwa s[48:49], s33, v2 src0_sel:BYTE_0 src1_sel:DWORD
	s_mov_b64 s[46:47], -1
	s_and_b64 vcc, exec, s[48:49]
	s_cbranch_vccnz .LBB158_285
; %bb.265:
	v_mov_b32_e32 v2, 8
	v_cmp_lt_i16_sdwa s[48:49], s33, v2 src0_sel:BYTE_0 src1_sel:DWORD
	s_and_b64 vcc, exec, s[48:49]
	s_cbranch_vccnz .LBB158_275
; %bb.266:
	v_mov_b32_e32 v2, 9
	v_cmp_lt_i16_sdwa s[48:49], s33, v2 src0_sel:BYTE_0 src1_sel:DWORD
	s_and_b64 vcc, exec, s[48:49]
	s_cbranch_vccnz .LBB158_272
; %bb.267:
	v_cmp_gt_i16_sdwa s[48:49], s33, v2 src0_sel:BYTE_0 src1_sel:DWORD
	s_and_b64 vcc, exec, s[48:49]
	s_cbranch_vccz .LBB158_269
; %bb.268:
	v_mov_b32_e32 v2, 0
	v_mov_b32_e32 v3, v2
	s_mov_b64 s[46:47], 0
	global_store_dwordx4 v[6:7], v[0:3], off
.LBB158_269:
	s_andn2_b64 vcc, exec, s[46:47]
	s_cbranch_vccnz .LBB158_271
; %bb.270:
	v_mov_b32_e32 v5, 0
	global_store_dwordx2 v[6:7], v[4:5], off
.LBB158_271:
	s_mov_b64 s[46:47], 0
.LBB158_272:
	s_andn2_b64 vcc, exec, s[46:47]
	s_cbranch_vccnz .LBB158_274
; %bb.273:
	global_store_dword v[6:7], v8, off
.LBB158_274:
	s_mov_b64 s[46:47], 0
.LBB158_275:
	s_andn2_b64 vcc, exec, s[46:47]
	s_cbranch_vccnz .LBB158_284
; %bb.276:
	v_mov_b32_e32 v2, 6
	v_cmp_lt_i16_sdwa s[48:49], s33, v2 src0_sel:BYTE_0 src1_sel:DWORD
	s_mov_b64 s[46:47], -1
	s_and_b64 vcc, exec, s[48:49]
	s_cbranch_vccnz .LBB158_282
; %bb.277:
	v_cmp_gt_i16_sdwa s[48:49], s33, v2 src0_sel:BYTE_0 src1_sel:DWORD
	s_and_b64 vcc, exec, s[48:49]
	s_cbranch_vccz .LBB158_279
; %bb.278:
	s_mov_b64 s[46:47], 0
	global_store_dwordx2 v[6:7], v[0:1], off
.LBB158_279:
	s_andn2_b64 vcc, exec, s[46:47]
	s_cbranch_vccnz .LBB158_281
; %bb.280:
	global_store_dword v[6:7], v4, off
.LBB158_281:
	s_mov_b64 s[46:47], 0
.LBB158_282:
	s_andn2_b64 vcc, exec, s[46:47]
	s_cbranch_vccnz .LBB158_284
; %bb.283:
	global_store_short v[6:7], v8, off
.LBB158_284:
	s_mov_b64 s[46:47], 0
.LBB158_285:
	s_andn2_b64 vcc, exec, s[46:47]
	s_cbranch_vccnz .LBB158_301
; %bb.286:
	v_mov_b32_e32 v2, 2
	v_cmp_lt_i16_sdwa s[48:49], s33, v2 src0_sel:BYTE_0 src1_sel:DWORD
	s_mov_b64 s[46:47], -1
	s_and_b64 vcc, exec, s[48:49]
	s_cbranch_vccnz .LBB158_296
; %bb.287:
	v_mov_b32_e32 v2, 3
	v_cmp_lt_i16_sdwa s[48:49], s33, v2 src0_sel:BYTE_0 src1_sel:DWORD
	s_and_b64 vcc, exec, s[48:49]
	s_cbranch_vccnz .LBB158_293
; %bb.288:
	v_cmp_gt_i16_sdwa s[48:49], s33, v2 src0_sel:BYTE_0 src1_sel:DWORD
	s_and_b64 vcc, exec, s[48:49]
	s_cbranch_vccz .LBB158_290
; %bb.289:
	v_pk_mov_b32 v[2:3], s[26:27], s[26:27] op_sel:[0,1]
	s_mov_b64 s[46:47], 0
	global_store_dwordx2 v[6:7], v[2:3], off
.LBB158_290:
	s_andn2_b64 vcc, exec, s[46:47]
	s_cbranch_vccnz .LBB158_292
; %bb.291:
	v_mov_b32_e32 v2, s26
	global_store_dword v[6:7], v2, off
.LBB158_292:
	s_mov_b64 s[46:47], 0
.LBB158_293:
	s_andn2_b64 vcc, exec, s[46:47]
	s_cbranch_vccnz .LBB158_295
; %bb.294:
	v_mov_b32_e32 v2, s23
	global_store_short v[6:7], v2, off
.LBB158_295:
	s_mov_b64 s[46:47], 0
.LBB158_296:
	s_andn2_b64 vcc, exec, s[46:47]
	s_cbranch_vccnz .LBB158_301
; %bb.297:
	v_mov_b32_e32 v2, 0
	v_cmp_gt_i16_sdwa s[48:49], s33, v2 src0_sel:BYTE_0 src1_sel:DWORD
	s_mov_b64 s[46:47], -1
	s_and_b64 vcc, exec, s[48:49]
	s_cbranch_vccz .LBB158_299
; %bb.298:
	v_mov_b32_e32 v2, s23
	s_mov_b64 s[46:47], 0
	global_store_byte v[6:7], v2, off
.LBB158_299:
	s_andn2_b64 vcc, exec, s[46:47]
	s_cbranch_vccnz .LBB158_301
; %bb.300:
	v_mov_b32_e32 v2, s23
	global_store_byte v[6:7], v2, off
.LBB158_301:
	s_mov_b64 s[46:47], -1
.LBB158_302:
	s_andn2_b64 vcc, exec, s[46:47]
	s_cbranch_vccnz .LBB158_304
; %bb.303:
	v_add_u32_e32 v22, 0x80, v22
	s_mov_b64 s[46:47], -1
	s_branch .LBB158_305
.LBB158_304:
	s_mov_b64 s[46:47], 0
                                        ; implicit-def: $vgpr22
.LBB158_305:
	s_andn2_b64 s[48:49], s[38:39], exec
	s_and_b64 s[44:45], s[44:45], exec
	s_or_b64 s[44:45], s[48:49], s[44:45]
	s_orn2_b64 s[48:49], s[46:47], exec
.LBB158_306:
	s_or_b64 exec, exec, s[42:43]
	s_mov_b64 s[46:47], 0
	s_mov_b64 s[52:53], 0
                                        ; implicit-def: $vgpr23
                                        ; implicit-def: $vgpr6_vgpr7
	s_and_saveexec_b64 s[42:43], s[48:49]
	s_cbranch_execz .LBB158_362
; %bb.307:
	v_cmp_gt_i32_e32 vcc, s50, v22
	s_mov_b64 s[50:51], 0
	s_mov_b64 s[48:49], s[44:45]
                                        ; implicit-def: $vgpr23
                                        ; implicit-def: $vgpr6_vgpr7
	s_and_saveexec_b64 s[46:47], vcc
	s_cbranch_execz .LBB158_361
; %bb.308:
	v_mul_lo_u32 v2, v22, s22
	v_ashrrev_i32_e32 v3, 31, v2
	v_mov_b32_e32 v5, s21
	v_add_co_u32_e32 v6, vcc, s20, v2
	v_mov_b32_e32 v2, 0xff
	v_addc_co_u32_e32 v7, vcc, v5, v3, vcc
	v_and_b32_e32 v23, s33, v2
	v_cmp_gt_i16_e32 vcc, 11, v23
	s_cbranch_vccnz .LBB158_358
; %bb.309:
	v_cmp_lt_i16_e32 vcc, 25, v23
	s_mov_b64 s[50:51], -1
	s_mov_b64 s[48:49], s[44:45]
	s_cbranch_vccz .LBB158_337
; %bb.310:
	v_cmp_lt_i16_e32 vcc, 28, v23
	s_mov_b64 s[48:49], s[44:45]
	s_cbranch_vccz .LBB158_324
; %bb.311:
	v_cmp_lt_i16_e32 vcc, 43, v23
	;; [unrolled: 4-line block ×3, first 2 shown]
	s_mov_b64 s[48:49], s[44:45]
	s_cbranch_vccz .LBB158_316
; %bb.313:
	v_cmp_eq_u16_e32 vcc, 46, v23
	s_mov_b64 s[48:49], -1
	s_cbranch_vccz .LBB158_315
; %bb.314:
	global_store_dword v[6:7], v10, off
	s_mov_b64 s[48:49], 0
.LBB158_315:
	s_mov_b64 s[50:51], 0
.LBB158_316:
	s_and_b64 vcc, exec, s[50:51]
	s_cbranch_vccz .LBB158_319
; %bb.317:
	v_cmp_eq_u16_e32 vcc, 44, v23
	s_mov_b64 s[48:49], -1
	s_cbranch_vccz .LBB158_319
; %bb.318:
	v_mov_b32_e32 v2, 0xff
	v_cndmask_b32_e64 v2, v21, v2, s[16:17]
	global_store_byte v[6:7], v2, off
	s_mov_b64 s[48:49], 0
.LBB158_319:
	s_mov_b64 s[50:51], 0
.LBB158_320:
	s_and_b64 vcc, exec, s[50:51]
	s_cbranch_vccz .LBB158_323
; %bb.321:
	v_cmp_eq_u16_e32 vcc, 29, v23
	s_mov_b64 s[48:49], -1
	s_cbranch_vccz .LBB158_323
; %bb.322:
	v_pk_mov_b32 v[2:3], s[26:27], s[26:27] op_sel:[0,1]
	global_store_dwordx2 v[6:7], v[2:3], off
	s_mov_b64 s[48:49], 0
.LBB158_323:
	s_mov_b64 s[50:51], 0
.LBB158_324:
	s_and_b64 vcc, exec, s[50:51]
	s_cbranch_vccz .LBB158_336
; %bb.325:
	v_cmp_gt_i16_e32 vcc, 27, v23
	s_mov_b64 s[16:17], -1
	s_cbranch_vccnz .LBB158_331
; %bb.326:
	v_cmp_lt_i16_e32 vcc, 27, v23
	s_cbranch_vccz .LBB158_328
; %bb.327:
	v_mov_b32_e32 v2, s26
	s_mov_b64 s[16:17], 0
	global_store_dword v[6:7], v2, off
.LBB158_328:
	s_andn2_b64 vcc, exec, s[16:17]
	s_cbranch_vccnz .LBB158_330
; %bb.329:
	v_mov_b32_e32 v2, s23
	global_store_short v[6:7], v2, off
.LBB158_330:
	s_mov_b64 s[16:17], 0
.LBB158_331:
	s_andn2_b64 vcc, exec, s[16:17]
	s_cbranch_vccnz .LBB158_336
; %bb.332:
	s_andn2_b64 vcc, exec, s[14:15]
	v_mov_b32_e32 v2, 0x80
	s_cbranch_vccnz .LBB158_335
; %bb.333:
	s_or_b64 s[14:15], s[12:13], s[30:31]
	s_andn2_b64 vcc, exec, s[14:15]
	v_mov_b32_e32 v2, 0
	s_cbranch_vccnz .LBB158_335
; %bb.334:
	v_cndmask_b32_e64 v2, v20, v19, s[12:13]
.LBB158_335:
	global_store_byte v[6:7], v2, off
.LBB158_336:
	s_mov_b64 s[50:51], 0
.LBB158_337:
	s_mov_b64 s[12:13], 0
	s_and_b64 vcc, exec, s[50:51]
	s_cbranch_vccz .LBB158_359
; %bb.338:
	v_cmp_lt_i16_e32 vcc, 22, v23
	s_mov_b64 s[14:15], -1
	s_cbranch_vccz .LBB158_351
; %bb.339:
	v_cmp_gt_i16_e32 vcc, 24, v23
	s_cbranch_vccnz .LBB158_348
; %bb.340:
	v_cmp_lt_i16_e32 vcc, 24, v23
	s_cbranch_vccz .LBB158_345
; %bb.341:
	s_andn2_b64 vcc, exec, s[10:11]
	v_mov_b32_e32 v2, 0x80
	s_cbranch_vccnz .LBB158_344
; %bb.342:
	s_or_b64 s[10:11], s[8:9], s[28:29]
	s_andn2_b64 vcc, exec, s[10:11]
	v_mov_b32_e32 v2, 0
	s_cbranch_vccnz .LBB158_344
; %bb.343:
	v_cndmask_b32_e64 v2, v17, v16, s[8:9]
.LBB158_344:
	s_mov_b64 s[14:15], 0
	global_store_byte v[6:7], v2, off
.LBB158_345:
	s_and_b64 vcc, exec, s[14:15]
	s_cbranch_vccz .LBB158_347
; %bb.346:
	v_cndmask_b32_e64 v2, v14, v15, s[6:7]
	v_cndmask_b32_e64 v2, v2, v18, s[4:5]
	global_store_byte v[6:7], v2, off
.LBB158_347:
	s_mov_b64 s[14:15], 0
.LBB158_348:
	s_andn2_b64 vcc, exec, s[14:15]
	s_cbranch_vccnz .LBB158_350
; %bb.349:
	v_cndmask_b32_e64 v2, v11, v12, s[2:3]
	v_cndmask_b32_e64 v2, v2, v13, s[0:1]
	global_store_byte v[6:7], v2, off
.LBB158_350:
	s_mov_b64 s[14:15], 0
.LBB158_351:
	s_andn2_b64 vcc, exec, s[14:15]
	s_mov_b64 s[0:1], 0
	s_cbranch_vccnz .LBB158_360
; %bb.352:
	v_cmp_lt_i16_e32 vcc, 14, v23
	s_mov_b64 s[2:3], -1
	s_cbranch_vccz .LBB158_356
; %bb.353:
	v_cmp_eq_u16_e32 vcc, 15, v23
	s_mov_b64 s[48:49], -1
	s_cbranch_vccz .LBB158_355
; %bb.354:
	global_store_short v[6:7], v10, off
	s_mov_b64 s[48:49], 0
.LBB158_355:
	s_mov_b64 s[2:3], 0
.LBB158_356:
	s_and_b64 vcc, exec, s[2:3]
	s_cbranch_vccz .LBB158_360
; %bb.357:
	v_cmp_ne_u16_e32 vcc, 11, v23
	s_andn2_b64 s[2:3], s[48:49], exec
	s_and_b64 s[4:5], vcc, exec
	s_mov_b64 s[0:1], -1
	s_or_b64 s[48:49], s[2:3], s[4:5]
	s_branch .LBB158_360
.LBB158_358:
	s_mov_b64 s[0:1], 0
	s_mov_b64 s[12:13], -1
	s_mov_b64 s[48:49], s[44:45]
	s_branch .LBB158_360
.LBB158_359:
	s_mov_b64 s[0:1], 0
.LBB158_360:
	s_and_b64 s[50:51], s[0:1], exec
	s_andn2_b64 s[0:1], s[44:45], exec
	s_and_b64 s[2:3], s[48:49], exec
	s_and_b64 s[52:53], s[12:13], exec
	s_or_b64 s[48:49], s[0:1], s[2:3]
.LBB158_361:
	s_or_b64 exec, exec, s[46:47]
	s_andn2_b64 s[0:1], s[44:45], exec
	s_and_b64 s[2:3], s[48:49], exec
	s_and_b64 s[52:53], s[52:53], exec
	;; [unrolled: 1-line block ×3, first 2 shown]
	s_or_b64 s[44:45], s[0:1], s[2:3]
.LBB158_362:
	s_or_b64 exec, exec, s[42:43]
	s_andn2_b64 s[0:1], s[38:39], exec
	s_and_b64 s[2:3], s[44:45], exec
	s_and_b64 s[42:43], s[52:53], exec
	;; [unrolled: 1-line block ×3, first 2 shown]
	s_or_b64 s[38:39], s[0:1], s[2:3]
.LBB158_363:
	s_or_b64 exec, exec, s[40:41]
	s_andn2_b64 s[0:1], s[34:35], exec
	s_and_b64 s[2:3], s[38:39], exec
	s_and_b64 s[42:43], s[42:43], exec
	;; [unrolled: 1-line block ×3, first 2 shown]
	s_or_b64 s[34:35], s[0:1], s[2:3]
	s_or_b64 exec, exec, s[36:37]
	s_mov_b64 s[0:1], 0
	s_and_saveexec_b64 s[2:3], s[34:35]
	s_cbranch_execz .LBB158_110
.LBB158_364:
	s_mov_b64 s[0:1], exec
	s_andn2_b64 s[40:41], s[40:41], exec
	s_trap 2
	s_or_b64 exec, exec, s[2:3]
	s_and_saveexec_b64 s[2:3], s[40:41]
	s_xor_b64 s[2:3], exec, s[2:3]
	s_cbranch_execnz .LBB158_111
.LBB158_365:
	s_or_b64 exec, exec, s[2:3]
	s_and_saveexec_b64 s[2:3], s[42:43]
	s_xor_b64 s[2:3], exec, s[2:3]
	s_cbranch_execz .LBB158_403
.LBB158_366:
	v_cmp_gt_i16_e32 vcc, 5, v23
	s_mov_b64 s[4:5], -1
	s_cbranch_vccnz .LBB158_387
; %bb.367:
	v_cmp_gt_i16_e32 vcc, 8, v23
	s_cbranch_vccnz .LBB158_377
; %bb.368:
	v_cmp_gt_i16_e32 vcc, 9, v23
	s_cbranch_vccnz .LBB158_374
; %bb.369:
	v_cmp_lt_i16_e32 vcc, 9, v23
	s_cbranch_vccz .LBB158_371
; %bb.370:
	v_mov_b32_e32 v2, 0
	v_mov_b32_e32 v3, v2
	s_mov_b64 s[4:5], 0
	global_store_dwordx4 v[6:7], v[0:3], off
.LBB158_371:
	s_andn2_b64 vcc, exec, s[4:5]
	s_cbranch_vccnz .LBB158_373
; %bb.372:
	v_mov_b32_e32 v5, 0
	global_store_dwordx2 v[6:7], v[4:5], off
.LBB158_373:
	s_mov_b64 s[4:5], 0
.LBB158_374:
	s_andn2_b64 vcc, exec, s[4:5]
	s_cbranch_vccnz .LBB158_376
; %bb.375:
	global_store_dword v[6:7], v8, off
.LBB158_376:
	s_mov_b64 s[4:5], 0
.LBB158_377:
	s_andn2_b64 vcc, exec, s[4:5]
	s_cbranch_vccnz .LBB158_386
; %bb.378:
	v_cmp_gt_i16_e32 vcc, 6, v23
	s_mov_b64 s[4:5], -1
	s_cbranch_vccnz .LBB158_384
; %bb.379:
	v_cmp_lt_i16_e32 vcc, 6, v23
	s_cbranch_vccz .LBB158_381
; %bb.380:
	s_mov_b64 s[4:5], 0
	global_store_dwordx2 v[6:7], v[0:1], off
.LBB158_381:
	s_andn2_b64 vcc, exec, s[4:5]
	s_cbranch_vccnz .LBB158_383
; %bb.382:
	global_store_dword v[6:7], v4, off
.LBB158_383:
	s_mov_b64 s[4:5], 0
.LBB158_384:
	s_andn2_b64 vcc, exec, s[4:5]
	s_cbranch_vccnz .LBB158_386
; %bb.385:
	global_store_short v[6:7], v8, off
.LBB158_386:
	s_mov_b64 s[4:5], 0
.LBB158_387:
	s_andn2_b64 vcc, exec, s[4:5]
	s_cbranch_vccnz .LBB158_403
; %bb.388:
	v_cmp_gt_i16_e32 vcc, 2, v23
	s_mov_b64 s[4:5], -1
	s_cbranch_vccnz .LBB158_398
; %bb.389:
	v_cmp_gt_i16_e32 vcc, 3, v23
	s_cbranch_vccnz .LBB158_395
; %bb.390:
	v_cmp_lt_i16_e32 vcc, 3, v23
	s_cbranch_vccz .LBB158_392
; %bb.391:
	v_pk_mov_b32 v[0:1], s[26:27], s[26:27] op_sel:[0,1]
	s_mov_b64 s[4:5], 0
	global_store_dwordx2 v[6:7], v[0:1], off
.LBB158_392:
	s_andn2_b64 vcc, exec, s[4:5]
	s_cbranch_vccnz .LBB158_394
; %bb.393:
	v_mov_b32_e32 v0, s26
	global_store_dword v[6:7], v0, off
.LBB158_394:
	s_mov_b64 s[4:5], 0
.LBB158_395:
	s_andn2_b64 vcc, exec, s[4:5]
	s_cbranch_vccnz .LBB158_397
; %bb.396:
	v_mov_b32_e32 v0, s23
	global_store_short v[6:7], v0, off
.LBB158_397:
	s_mov_b64 s[4:5], 0
.LBB158_398:
	s_andn2_b64 vcc, exec, s[4:5]
	s_cbranch_vccnz .LBB158_403
; %bb.399:
	v_cmp_lt_i16_e32 vcc, 0, v23
	s_mov_b64 s[4:5], -1
	s_cbranch_vccz .LBB158_401
; %bb.400:
	v_mov_b32_e32 v0, s23
	s_mov_b64 s[4:5], 0
	global_store_byte v[6:7], v0, off
.LBB158_401:
	s_andn2_b64 vcc, exec, s[4:5]
	s_cbranch_vccnz .LBB158_403
; %bb.402:
	v_mov_b32_e32 v0, s23
	global_store_byte v[6:7], v0, off
.LBB158_403:
	s_or_b64 exec, exec, s[2:3]
	s_and_b64 s[0:1], s[0:1], exec
                                        ; implicit-def: $vgpr22
.LBB158_404:
	s_or_saveexec_b64 s[2:3], s[24:25]
	s_mov_b64 s[6:7], 0
                                        ; implicit-def: $vgpr2
                                        ; implicit-def: $vgpr0_vgpr1
	s_xor_b64 exec, exec, s[2:3]
	s_cbranch_execz .LBB158_412
; %bb.405:
	v_mul_lo_u32 v2, s22, v22
	v_ashrrev_i32_e32 v1, 31, v2
	v_mov_b32_e32 v3, s21
	v_add_co_u32_e32 v0, vcc, s20, v2
	v_addc_co_u32_e32 v1, vcc, v3, v1, vcc
	v_mov_b32_e32 v3, 11
	v_cmp_lt_i16_sdwa s[4:5], s33, v3 src0_sel:BYTE_0 src1_sel:DWORD
	s_and_b64 vcc, exec, s[4:5]
	s_cbranch_vccnz .LBB158_415
; %bb.406:
	v_mov_b32_e32 v3, 25
	v_cmp_gt_i16_sdwa s[4:5], s33, v3 src0_sel:BYTE_0 src1_sel:DWORD
	s_mov_b64 s[10:11], -1
	s_and_b64 vcc, exec, s[4:5]
	s_mov_b64 s[8:9], 0
	s_mov_b64 s[4:5], 0
	s_cbranch_vccz .LBB158_447
; %bb.407:
	v_mov_b32_e32 v3, 28
	v_cmp_gt_i16_sdwa s[4:5], s33, v3 src0_sel:BYTE_0 src1_sel:DWORD
	s_and_b64 vcc, exec, s[4:5]
	s_cbranch_vccz .LBB158_417
; %bb.408:
	v_mov_b32_e32 v3, 43
	v_cmp_gt_i16_sdwa s[4:5], s33, v3 src0_sel:BYTE_0 src1_sel:DWORD
	s_and_b64 vcc, exec, s[4:5]
	;; [unrolled: 5-line block ×3, first 2 shown]
	s_cbranch_vccz .LBB158_419
; %bb.410:
	v_mov_b32_e32 v3, 46
	v_cmp_eq_u16_sdwa s[8:9], s33, v3 src0_sel:BYTE_0 src1_sel:DWORD
	s_mov_b64 s[4:5], -1
	s_mov_b64 s[10:11], 0
	s_and_b64 vcc, exec, s[8:9]
	s_mov_b64 s[8:9], 0
	s_cbranch_vccz .LBB158_420
; %bb.411:
	s_and_b32 s4, 0xffff, s23
	v_cvt_f32_u32_e32 v3, s4
	s_mov_b64 s[4:5], 0
	s_mov_b64 s[8:9], -1
	v_bfe_u32 v4, v3, 16, 1
	v_add_u32_e32 v3, v3, v4
	v_add_u32_e32 v3, 0x7fff, v3
	v_lshrrev_b32_e32 v3, 16, v3
	global_store_dword v[0:1], v3, off
	s_branch .LBB158_420
.LBB158_412:
	s_or_b64 exec, exec, s[2:3]
	s_and_saveexec_b64 s[2:3], s[0:1]
	s_cbranch_execz .LBB158_841
.LBB158_413:
	; divergent unreachable
	s_or_b64 exec, exec, s[2:3]
	s_and_saveexec_b64 s[0:1], s[18:19]
	s_xor_b64 s[0:1], exec, s[0:1]
	s_cbranch_execnz .LBB158_842
.LBB158_414:
	s_or_b64 exec, exec, s[0:1]
	s_and_saveexec_b64 s[0:1], s[6:7]
	s_cbranch_execnz .LBB158_843
	s_branch .LBB158_880
.LBB158_415:
	s_mov_b64 s[8:9], 0
	s_mov_b64 s[4:5], s[0:1]
	s_cbranch_execnz .LBB158_497
.LBB158_416:
	s_andn2_b64 vcc, exec, s[8:9]
	s_cbranch_vccz .LBB158_535
	s_branch .LBB158_839
.LBB158_417:
	s_mov_b64 s[4:5], 0
	s_and_b64 vcc, exec, s[10:11]
	s_cbranch_vccz .LBB158_446
	s_branch .LBB158_429
.LBB158_418:
	s_mov_b64 s[4:5], 0
	s_and_b64 vcc, exec, s[10:11]
	s_cbranch_vccnz .LBB158_426
	s_branch .LBB158_428
.LBB158_419:
	s_mov_b64 s[4:5], 0
.LBB158_420:
	s_and_b64 vcc, exec, s[10:11]
	s_cbranch_vccz .LBB158_425
; %bb.421:
	v_mov_b32_e32 v3, 44
	v_cmp_eq_u16_sdwa s[10:11], s33, v3 src0_sel:BYTE_0 src1_sel:DWORD
	s_mov_b64 s[4:5], -1
	s_and_b64 vcc, exec, s[10:11]
	s_cbranch_vccz .LBB158_425
; %bb.422:
	s_and_b32 s4, 0xffff, s23
	v_cvt_f32_u32_e32 v3, s4
	v_readfirstlane_b32 s5, v3
	s_lshr_b32 s4, s5, 23
	s_cmpk_eq_i32 s4, 0xff
	v_mov_b32_e32 v3, 0xff
	s_cbranch_scc1 .LBB158_424
; %bb.423:
	s_bitcmp1_b32 s5, 22
	s_cselect_b64 s[8:9], -1, 0
	s_and_b32 s5, s5, 0x3fffff
	s_or_b32 s5, s4, s5
	s_cmp_lg_u32 s5, 0
	s_cselect_b64 s[10:11], -1, 0
	s_and_b64 s[8:9], s[8:9], s[10:11]
	v_cndmask_b32_e64 v3, 0, 1, s[8:9]
	v_add_u32_e32 v3, s4, v3
.LBB158_424:
	s_mov_b64 s[4:5], 0
	s_mov_b64 s[8:9], -1
	global_store_byte v[0:1], v3, off
.LBB158_425:
	s_branch .LBB158_428
.LBB158_426:
	v_mov_b32_e32 v3, 29
	v_cmp_eq_u16_sdwa s[10:11], s33, v3 src0_sel:BYTE_0 src1_sel:DWORD
	s_mov_b64 s[4:5], -1
	s_and_b64 vcc, exec, s[10:11]
	s_cbranch_vccz .LBB158_428
; %bb.427:
	s_and_b32 s4, s23, 0xffff
	v_mov_b32_e32 v4, s4
	v_mov_b32_e32 v5, 0
	global_store_dwordx2 v[0:1], v[4:5], off
	s_mov_b64 s[4:5], 0
	s_mov_b64 s[8:9], -1
.LBB158_428:
	s_branch .LBB158_446
.LBB158_429:
	v_mov_b32_e32 v3, 27
	v_cmp_lt_i16_sdwa s[10:11], s33, v3 src0_sel:BYTE_0 src1_sel:DWORD
	s_mov_b64 s[8:9], -1
	s_and_b64 vcc, exec, s[10:11]
	s_cbranch_vccnz .LBB158_435
; %bb.430:
	v_cmp_gt_i16_sdwa s[10:11], s33, v3 src0_sel:BYTE_0 src1_sel:DWORD
	s_and_b64 vcc, exec, s[10:11]
	s_cbranch_vccz .LBB158_432
; %bb.431:
	s_and_b32 s8, 0xffff, s23
	v_mov_b32_e32 v3, s8
	s_mov_b64 s[8:9], 0
	global_store_dword v[0:1], v3, off
.LBB158_432:
	s_andn2_b64 vcc, exec, s[8:9]
	s_cbranch_vccnz .LBB158_434
; %bb.433:
	v_mov_b32_e32 v3, s23
	global_store_short v[0:1], v3, off
.LBB158_434:
	s_mov_b64 s[8:9], 0
.LBB158_435:
	s_andn2_b64 vcc, exec, s[8:9]
	s_cbranch_vccnz .LBB158_445
; %bb.436:
	s_and_b32 s8, 0xffff, s23
	v_cvt_f32_u32_e32 v3, s8
	s_mov_b32 s9, 0x437fffff
	v_mov_b32_e32 v5, 0x80
	v_cmp_lt_u32_e32 vcc, s9, v3
	v_readfirstlane_b32 s8, v3
	s_cbranch_vccnz .LBB158_444
; %bb.437:
	s_cmp_gt_u32 s8, 0x3bffffff
	s_cbranch_scc0 .LBB158_439
; %bb.438:
	s_bfe_u32 s9, s8, 0x10014
	s_add_i32 s8, s8, s9
	s_add_i32 s8, s8, 0x487ffff
	s_lshr_b32 s12, s8, 20
	s_mov_b64 s[10:11], 0
	s_mov_b64 s[8:9], -1
	s_branch .LBB158_440
.LBB158_439:
	s_mov_b64 s[10:11], -1
	s_mov_b64 s[8:9], 0
                                        ; implicit-def: $sgpr12
.LBB158_440:
	s_andn2_b64 vcc, exec, s[10:11]
	v_mov_b32_e32 v4, s12
                                        ; implicit-def: $sgpr10
	s_cbranch_vccnz .LBB158_442
; %bb.441:
	v_add_f32_e32 v3, 0x46000000, v3
	v_and_b32_e32 v4, 0xff, v3
	s_mov_b32 s10, 0
	v_cmp_ne_u32_e64 s[8:9], 0, v4
.LBB158_442:
	s_andn2_b64 vcc, exec, s[8:9]
	v_mov_b32_e32 v5, s10
	s_cbranch_vccnz .LBB158_444
; %bb.443:
	v_mov_b32_e32 v5, v4
.LBB158_444:
	global_store_byte v[0:1], v5, off
.LBB158_445:
	s_mov_b64 s[8:9], -1
.LBB158_446:
	s_mov_b64 s[10:11], 0
.LBB158_447:
	s_and_b64 vcc, exec, s[10:11]
	s_cbranch_vccz .LBB158_493
; %bb.448:
	v_mov_b32_e32 v3, 22
	v_cmp_gt_i16_sdwa s[10:11], s33, v3 src0_sel:BYTE_0 src1_sel:DWORD
	s_mov_b64 s[6:7], -1
	s_and_b64 vcc, exec, s[10:11]
	s_cbranch_vccz .LBB158_486
; %bb.449:
	v_mov_b32_e32 v3, 24
	v_cmp_lt_i16_sdwa s[8:9], s33, v3 src0_sel:BYTE_0 src1_sel:DWORD
	s_and_b64 vcc, exec, s[8:9]
	s_cbranch_vccnz .LBB158_473
; %bb.450:
	v_cmp_gt_i16_sdwa s[8:9], s33, v3 src0_sel:BYTE_0 src1_sel:DWORD
	s_and_b64 vcc, exec, s[8:9]
	s_cbranch_vccz .LBB158_460
; %bb.451:
	s_and_b32 s6, 0xffff, s23
	v_cvt_f32_u32_e32 v3, s6
	s_mov_b32 s7, 0x477fffff
	v_mov_b32_e32 v5, 0x80
	v_cmp_lt_u32_e32 vcc, s7, v3
	v_readfirstlane_b32 s6, v3
	s_cbranch_vccnz .LBB158_459
; %bb.452:
	s_cmp_gt_u32 s6, 0x37ffffff
	s_cbranch_scc0 .LBB158_454
; %bb.453:
	s_bfe_u32 s7, s6, 0x10015
	s_add_i32 s6, s6, s7
	s_add_i32 s6, s6, 0x88fffff
	s_lshr_b32 s10, s6, 21
	s_mov_b64 s[8:9], 0
	s_mov_b64 s[6:7], -1
	s_branch .LBB158_455
.LBB158_454:
	s_mov_b64 s[8:9], -1
	s_mov_b64 s[6:7], 0
                                        ; implicit-def: $sgpr10
.LBB158_455:
	s_andn2_b64 vcc, exec, s[8:9]
	v_mov_b32_e32 v4, s10
                                        ; implicit-def: $sgpr8
	s_cbranch_vccnz .LBB158_457
; %bb.456:
	v_add_f32_e32 v3, 0x42800000, v3
	v_and_b32_e32 v4, 0xff, v3
	s_mov_b32 s8, 0
	v_cmp_ne_u32_e64 s[6:7], 0, v4
.LBB158_457:
	s_andn2_b64 vcc, exec, s[6:7]
	v_mov_b32_e32 v5, s8
	s_cbranch_vccnz .LBB158_459
; %bb.458:
	v_mov_b32_e32 v5, v4
.LBB158_459:
	s_mov_b64 s[6:7], 0
	global_store_byte v[0:1], v5, off
.LBB158_460:
	s_and_b64 vcc, exec, s[6:7]
	s_cbranch_vccz .LBB158_472
; %bb.461:
	s_and_b32 s6, 0xffff, s23
	v_cvt_f32_u32_e32 v3, s6
	s_mov_b32 s6, 0x43f00000
	v_cmp_gt_u32_e32 vcc, s6, v3
	v_readfirstlane_b32 s8, v3
	s_cbranch_vccz .LBB158_464
; %bb.462:
	s_cmp_gt_u32 s8, 0x3c7fffff
	s_cbranch_scc0 .LBB158_465
; %bb.463:
	s_bfe_u32 s6, s8, 0x10014
	s_add_i32 s6, s8, s6
	s_add_i32 s6, s6, 0x407ffff
	s_lshr_b32 s7, s6, 20
	s_and_b32 s6, s6, 0xff00000
	s_cmp_lg_u32 s6, 0x7f00000
	s_cselect_b32 s9, s7, 0x7e
	s_mov_b64 s[6:7], 0
	s_branch .LBB158_466
.LBB158_464:
	s_mov_b64 s[6:7], -1
                                        ; implicit-def: $vgpr4
	s_branch .LBB158_469
.LBB158_465:
	s_mov_b64 s[6:7], -1
                                        ; implicit-def: $sgpr9
.LBB158_466:
	s_andn2_b64 vcc, exec, s[6:7]
	v_mov_b32_e32 v4, s9
	s_cbranch_vccnz .LBB158_468
; %bb.467:
	v_add_f32_e32 v4, 0x46800000, v3
.LBB158_468:
	s_mov_b64 s[6:7], 0
.LBB158_469:
	s_andn2_b64 vcc, exec, s[6:7]
	s_cbranch_vccnz .LBB158_471
; %bb.470:
	s_cmp_gt_u32 s8, 0x7f800000
	s_movk_i32 s6, 0x7f
	s_cselect_b32 s6, s6, 0x7e
	v_mov_b32_e32 v4, s6
.LBB158_471:
	global_store_byte v[0:1], v4, off
.LBB158_472:
	s_mov_b64 s[6:7], 0
.LBB158_473:
	s_andn2_b64 vcc, exec, s[6:7]
	s_cbranch_vccnz .LBB158_485
; %bb.474:
	s_and_b32 s6, 0xffff, s23
	v_cvt_f32_u32_e32 v3, s6
	s_mov_b32 s6, 0x47800000
	v_cmp_gt_u32_e32 vcc, s6, v3
	v_readfirstlane_b32 s8, v3
	s_cbranch_vccz .LBB158_477
; %bb.475:
	s_cmp_gt_u32 s8, 0x387fffff
	s_cbranch_scc0 .LBB158_478
; %bb.476:
	s_bfe_u32 s6, s8, 0x10015
	s_add_i32 s6, s8, s6
	s_add_i32 s6, s6, 0x80fffff
	s_lshr_b32 s9, s6, 21
	s_mov_b64 s[6:7], 0
	s_branch .LBB158_479
.LBB158_477:
	s_mov_b64 s[6:7], -1
                                        ; implicit-def: $vgpr4
	s_branch .LBB158_482
.LBB158_478:
	s_mov_b64 s[6:7], -1
                                        ; implicit-def: $sgpr9
.LBB158_479:
	s_andn2_b64 vcc, exec, s[6:7]
	v_mov_b32_e32 v4, s9
	s_cbranch_vccnz .LBB158_481
; %bb.480:
	v_add_f32_e32 v4, 0x43000000, v3
.LBB158_481:
	s_mov_b64 s[6:7], 0
.LBB158_482:
	s_andn2_b64 vcc, exec, s[6:7]
	s_cbranch_vccnz .LBB158_484
; %bb.483:
	s_cmp_gt_u32 s8, 0x7f800000
	s_movk_i32 s6, 0x7f
	s_cselect_b32 s6, s6, 0x7c
	v_mov_b32_e32 v4, s6
.LBB158_484:
	global_store_byte v[0:1], v4, off
.LBB158_485:
	s_mov_b64 s[6:7], 0
	s_mov_b64 s[8:9], -1
.LBB158_486:
	s_andn2_b64 vcc, exec, s[6:7]
	s_mov_b64 s[6:7], 0
	s_cbranch_vccnz .LBB158_493
; %bb.487:
	v_mov_b32_e32 v3, 14
	v_cmp_gt_i16_sdwa s[6:7], s33, v3 src0_sel:BYTE_0 src1_sel:DWORD
	s_mov_b64 s[10:11], -1
	s_and_b64 vcc, exec, s[6:7]
	s_cbranch_vccz .LBB158_491
; %bb.488:
	v_mov_b32_e32 v3, 15
	v_cmp_eq_u16_sdwa s[6:7], s33, v3 src0_sel:BYTE_0 src1_sel:DWORD
	s_mov_b64 s[4:5], -1
	s_and_b64 vcc, exec, s[6:7]
	s_cbranch_vccz .LBB158_490
; %bb.489:
	s_and_b32 s4, 0xffff, s23
	v_cvt_f32_u32_e32 v3, s4
	s_mov_b64 s[4:5], 0
	s_mov_b64 s[8:9], -1
	v_bfe_u32 v4, v3, 16, 1
	v_add_u32_e32 v3, v3, v4
	v_add_u32_e32 v3, 0x7fff, v3
	global_store_short_d16_hi v[0:1], v3, off
.LBB158_490:
	s_mov_b64 s[10:11], 0
.LBB158_491:
	s_mov_b64 s[6:7], 0
	s_and_b64 vcc, exec, s[10:11]
	s_cbranch_vccz .LBB158_493
; %bb.492:
	v_mov_b32_e32 v3, 11
	v_cmp_ne_u16_sdwa s[4:5], s33, v3 src0_sel:BYTE_0 src1_sel:DWORD
	s_mov_b64 s[6:7], -1
.LBB158_493:
	s_and_b64 vcc, exec, s[4:5]
	s_mov_b64 s[4:5], s[0:1]
	s_cbranch_vccnz .LBB158_546
; %bb.494:
	s_andn2_b64 vcc, exec, s[6:7]
	s_cbranch_vccnz .LBB158_496
.LBB158_495:
	v_cmp_ne_u16_e64 s[6:7], s23, 0
	v_cndmask_b32_e64 v3, 0, 1, s[6:7]
	s_mov_b64 s[8:9], -1
	global_store_byte v[0:1], v3, off
.LBB158_496:
	s_branch .LBB158_416
.LBB158_497:
	v_mov_b32_e32 v3, 5
	v_cmp_lt_i16_sdwa s[8:9], s33, v3 src0_sel:BYTE_0 src1_sel:DWORD
	s_mov_b64 s[6:7], -1
	s_and_b64 vcc, exec, s[8:9]
	s_cbranch_vccnz .LBB158_518
; %bb.498:
	v_mov_b32_e32 v3, 8
	v_cmp_lt_i16_sdwa s[8:9], s33, v3 src0_sel:BYTE_0 src1_sel:DWORD
	s_and_b64 vcc, exec, s[8:9]
	s_cbranch_vccnz .LBB158_508
; %bb.499:
	v_mov_b32_e32 v3, 9
	v_cmp_lt_i16_sdwa s[8:9], s33, v3 src0_sel:BYTE_0 src1_sel:DWORD
	s_and_b64 vcc, exec, s[8:9]
	s_cbranch_vccnz .LBB158_505
; %bb.500:
	v_cmp_gt_i16_sdwa s[8:9], s33, v3 src0_sel:BYTE_0 src1_sel:DWORD
	s_and_b64 vcc, exec, s[8:9]
	s_cbranch_vccz .LBB158_502
; %bb.501:
	s_and_b32 s6, 0xffff, s23
	v_mov_b32_e32 v6, 0
	v_cvt_f64_u32_e32 v[4:5], s6
	v_mov_b32_e32 v7, v6
	global_store_dwordx4 v[0:1], v[4:7], off
	s_mov_b64 s[6:7], 0
.LBB158_502:
	s_andn2_b64 vcc, exec, s[6:7]
	s_cbranch_vccnz .LBB158_504
; %bb.503:
	s_and_b32 s6, 0xffff, s23
	v_cvt_f32_u32_e32 v4, s6
	v_mov_b32_e32 v5, 0
	global_store_dwordx2 v[0:1], v[4:5], off
.LBB158_504:
	s_mov_b64 s[6:7], 0
.LBB158_505:
	s_andn2_b64 vcc, exec, s[6:7]
	s_cbranch_vccnz .LBB158_507
; %bb.506:
	v_cvt_f16_u16_e32 v3, s23
	global_store_dword v[0:1], v3, off
.LBB158_507:
	s_mov_b64 s[6:7], 0
.LBB158_508:
	s_andn2_b64 vcc, exec, s[6:7]
	s_cbranch_vccnz .LBB158_517
; %bb.509:
	v_mov_b32_e32 v3, 6
	v_cmp_lt_i16_sdwa s[8:9], s33, v3 src0_sel:BYTE_0 src1_sel:DWORD
	s_mov_b64 s[6:7], -1
	s_and_b64 vcc, exec, s[8:9]
	s_cbranch_vccnz .LBB158_515
; %bb.510:
	v_cmp_gt_i16_sdwa s[8:9], s33, v3 src0_sel:BYTE_0 src1_sel:DWORD
	s_and_b64 vcc, exec, s[8:9]
	s_cbranch_vccz .LBB158_512
; %bb.511:
	s_and_b32 s6, 0xffff, s23
	v_cvt_f64_u32_e32 v[4:5], s6
	global_store_dwordx2 v[0:1], v[4:5], off
	s_mov_b64 s[6:7], 0
.LBB158_512:
	s_andn2_b64 vcc, exec, s[6:7]
	s_cbranch_vccnz .LBB158_514
; %bb.513:
	s_and_b32 s6, 0xffff, s23
	v_cvt_f32_u32_e32 v3, s6
	global_store_dword v[0:1], v3, off
.LBB158_514:
	s_mov_b64 s[6:7], 0
.LBB158_515:
	s_andn2_b64 vcc, exec, s[6:7]
	s_cbranch_vccnz .LBB158_517
; %bb.516:
	v_cvt_f16_u16_e32 v3, s23
	global_store_short v[0:1], v3, off
.LBB158_517:
	s_mov_b64 s[6:7], 0
.LBB158_518:
	s_andn2_b64 vcc, exec, s[6:7]
	s_cbranch_vccnz .LBB158_534
; %bb.519:
	v_mov_b32_e32 v3, 2
	v_cmp_lt_i16_sdwa s[8:9], s33, v3 src0_sel:BYTE_0 src1_sel:DWORD
	s_mov_b64 s[6:7], -1
	s_and_b64 vcc, exec, s[8:9]
	s_cbranch_vccnz .LBB158_529
; %bb.520:
	v_mov_b32_e32 v3, 3
	v_cmp_lt_i16_sdwa s[8:9], s33, v3 src0_sel:BYTE_0 src1_sel:DWORD
	s_and_b64 vcc, exec, s[8:9]
	s_cbranch_vccnz .LBB158_526
; %bb.521:
	v_cmp_gt_i16_sdwa s[8:9], s33, v3 src0_sel:BYTE_0 src1_sel:DWORD
	s_and_b64 vcc, exec, s[8:9]
	s_cbranch_vccz .LBB158_523
; %bb.522:
	s_and_b32 s6, s23, 0xffff
	v_mov_b32_e32 v4, s6
	v_mov_b32_e32 v5, 0
	global_store_dwordx2 v[0:1], v[4:5], off
	s_mov_b64 s[6:7], 0
.LBB158_523:
	s_andn2_b64 vcc, exec, s[6:7]
	s_cbranch_vccnz .LBB158_525
; %bb.524:
	s_and_b32 s6, 0xffff, s23
	v_mov_b32_e32 v3, s6
	global_store_dword v[0:1], v3, off
.LBB158_525:
	s_mov_b64 s[6:7], 0
.LBB158_526:
	s_andn2_b64 vcc, exec, s[6:7]
	s_cbranch_vccnz .LBB158_528
; %bb.527:
	v_mov_b32_e32 v3, s23
	global_store_short v[0:1], v3, off
.LBB158_528:
	s_mov_b64 s[6:7], 0
.LBB158_529:
	s_andn2_b64 vcc, exec, s[6:7]
	s_cbranch_vccnz .LBB158_534
; %bb.530:
	v_mov_b32_e32 v3, 0
	v_cmp_gt_i16_sdwa s[8:9], s33, v3 src0_sel:BYTE_0 src1_sel:DWORD
	s_mov_b64 s[6:7], -1
	s_and_b64 vcc, exec, s[8:9]
	s_cbranch_vccz .LBB158_532
; %bb.531:
	v_mov_b32_e32 v3, s23
	global_store_byte v[0:1], v3, off
	s_mov_b64 s[6:7], 0
.LBB158_532:
	s_andn2_b64 vcc, exec, s[6:7]
	s_cbranch_vccnz .LBB158_534
; %bb.533:
	v_mov_b32_e32 v3, s23
	global_store_byte v[0:1], v3, off
.LBB158_534:
.LBB158_535:
	s_lshl_b32 s14, s22, 7
	v_add_u32_e32 v2, s14, v2
	v_ashrrev_i32_e32 v1, 31, v2
	v_mov_b32_e32 v3, s21
	v_add_co_u32_e32 v0, vcc, s20, v2
	v_addc_co_u32_e32 v1, vcc, v3, v1, vcc
	v_mov_b32_e32 v3, 11
	v_cmp_lt_i16_sdwa s[6:7], s33, v3 src0_sel:BYTE_0 src1_sel:DWORD
	s_and_b64 vcc, exec, s[6:7]
	s_cbranch_vccnz .LBB158_542
; %bb.536:
	v_mov_b32_e32 v3, 25
	v_cmp_gt_i16_sdwa s[6:7], s33, v3 src0_sel:BYTE_0 src1_sel:DWORD
	s_mov_b64 s[12:13], -1
	s_mov_b64 s[8:9], 0
	s_and_b64 vcc, exec, s[6:7]
	s_mov_b64 s[10:11], 0
	s_mov_b64 s[6:7], 0
	s_cbranch_vccz .LBB158_577
; %bb.537:
	v_mov_b32_e32 v3, 28
	v_cmp_gt_i16_sdwa s[6:7], s33, v3 src0_sel:BYTE_0 src1_sel:DWORD
	s_and_b64 vcc, exec, s[6:7]
	s_cbranch_vccz .LBB158_544
; %bb.538:
	v_mov_b32_e32 v3, 43
	v_cmp_gt_i16_sdwa s[6:7], s33, v3 src0_sel:BYTE_0 src1_sel:DWORD
	s_and_b64 vcc, exec, s[6:7]
	;; [unrolled: 5-line block ×3, first 2 shown]
	s_cbranch_vccz .LBB158_547
; %bb.540:
	v_mov_b32_e32 v3, 46
	v_cmp_eq_u16_sdwa s[10:11], s33, v3 src0_sel:BYTE_0 src1_sel:DWORD
	s_mov_b64 s[6:7], -1
	s_mov_b64 s[12:13], 0
	s_and_b64 vcc, exec, s[10:11]
	s_mov_b64 s[10:11], 0
	s_cbranch_vccz .LBB158_548
; %bb.541:
	s_and_b32 s6, 0xffff, s23
	v_cvt_f32_u32_e32 v3, s6
	s_mov_b64 s[6:7], 0
	s_mov_b64 s[10:11], -1
	v_bfe_u32 v4, v3, 16, 1
	v_add_u32_e32 v3, v3, v4
	v_add_u32_e32 v3, 0x7fff, v3
	v_lshrrev_b32_e32 v3, 16, v3
	global_store_dword v[0:1], v3, off
	s_branch .LBB158_548
.LBB158_542:
	s_mov_b64 s[10:11], 0
	s_cbranch_execnz .LBB158_627
.LBB158_543:
	s_andn2_b64 vcc, exec, s[10:11]
	s_cbranch_vccz .LBB158_665
	s_branch .LBB158_839
.LBB158_544:
	s_mov_b64 s[6:7], 0
	s_branch .LBB158_558
.LBB158_545:
	s_mov_b64 s[6:7], 0
	s_branch .LBB158_554
.LBB158_546:
	s_or_b64 s[4:5], s[0:1], exec
	s_trap 2
	s_cbranch_execz .LBB158_495
	s_branch .LBB158_496
.LBB158_547:
	s_mov_b64 s[6:7], 0
.LBB158_548:
	s_and_b64 vcc, exec, s[12:13]
	s_cbranch_vccz .LBB158_553
; %bb.549:
	v_mov_b32_e32 v3, 44
	v_cmp_eq_u16_sdwa s[12:13], s33, v3 src0_sel:BYTE_0 src1_sel:DWORD
	s_mov_b64 s[6:7], -1
	s_and_b64 vcc, exec, s[12:13]
	s_cbranch_vccz .LBB158_553
; %bb.550:
	s_and_b32 s6, 0xffff, s23
	v_cvt_f32_u32_e32 v3, s6
	v_readfirstlane_b32 s7, v3
	s_lshr_b32 s6, s7, 23
	s_cmpk_eq_i32 s6, 0xff
	v_mov_b32_e32 v3, 0xff
	s_cbranch_scc1 .LBB158_552
; %bb.551:
	s_bitcmp1_b32 s7, 22
	s_cselect_b64 s[10:11], -1, 0
	s_and_b32 s7, s7, 0x3fffff
	s_or_b32 s7, s6, s7
	s_cmp_lg_u32 s7, 0
	s_cselect_b64 s[12:13], -1, 0
	s_and_b64 s[10:11], s[10:11], s[12:13]
	v_cndmask_b32_e64 v3, 0, 1, s[10:11]
	v_add_u32_e32 v3, s6, v3
.LBB158_552:
	s_mov_b64 s[6:7], 0
	s_mov_b64 s[10:11], -1
	global_store_byte v[0:1], v3, off
.LBB158_553:
	s_mov_b64 s[12:13], 0
.LBB158_554:
	s_and_b64 vcc, exec, s[12:13]
	s_cbranch_vccz .LBB158_557
; %bb.555:
	v_mov_b32_e32 v3, 29
	v_cmp_eq_u16_sdwa s[12:13], s33, v3 src0_sel:BYTE_0 src1_sel:DWORD
	s_mov_b64 s[6:7], -1
	s_and_b64 vcc, exec, s[12:13]
	s_cbranch_vccz .LBB158_557
; %bb.556:
	s_and_b32 s6, s23, 0xffff
	v_mov_b32_e32 v4, s6
	v_mov_b32_e32 v5, 0
	global_store_dwordx2 v[0:1], v[4:5], off
	s_mov_b64 s[6:7], 0
	s_mov_b64 s[10:11], -1
.LBB158_557:
	s_mov_b64 s[12:13], 0
.LBB158_558:
	s_and_b64 vcc, exec, s[12:13]
	s_cbranch_vccz .LBB158_576
; %bb.559:
	v_mov_b32_e32 v3, 27
	v_cmp_lt_i16_sdwa s[12:13], s33, v3 src0_sel:BYTE_0 src1_sel:DWORD
	s_mov_b64 s[10:11], -1
	s_and_b64 vcc, exec, s[12:13]
	s_cbranch_vccnz .LBB158_565
; %bb.560:
	v_cmp_gt_i16_sdwa s[12:13], s33, v3 src0_sel:BYTE_0 src1_sel:DWORD
	s_and_b64 vcc, exec, s[12:13]
	s_cbranch_vccz .LBB158_562
; %bb.561:
	s_and_b32 s10, 0xffff, s23
	v_mov_b32_e32 v3, s10
	s_mov_b64 s[10:11], 0
	global_store_dword v[0:1], v3, off
.LBB158_562:
	s_andn2_b64 vcc, exec, s[10:11]
	s_cbranch_vccnz .LBB158_564
; %bb.563:
	v_mov_b32_e32 v3, s23
	global_store_short v[0:1], v3, off
.LBB158_564:
	s_mov_b64 s[10:11], 0
.LBB158_565:
	s_andn2_b64 vcc, exec, s[10:11]
	s_cbranch_vccnz .LBB158_575
; %bb.566:
	s_and_b32 s10, 0xffff, s23
	v_cvt_f32_u32_e32 v3, s10
	s_mov_b32 s11, 0x437fffff
	v_mov_b32_e32 v5, 0x80
	v_cmp_lt_u32_e32 vcc, s11, v3
	v_readfirstlane_b32 s10, v3
	s_cbranch_vccnz .LBB158_574
; %bb.567:
	s_cmp_gt_u32 s10, 0x3bffffff
	s_cbranch_scc0 .LBB158_569
; %bb.568:
	s_bfe_u32 s11, s10, 0x10014
	s_add_i32 s10, s10, s11
	s_add_i32 s10, s10, 0x487ffff
	s_lshr_b32 s15, s10, 20
	s_mov_b64 s[12:13], 0
	s_mov_b64 s[10:11], -1
	s_branch .LBB158_570
.LBB158_569:
	s_mov_b64 s[12:13], -1
	s_mov_b64 s[10:11], 0
                                        ; implicit-def: $sgpr15
.LBB158_570:
	s_andn2_b64 vcc, exec, s[12:13]
	v_mov_b32_e32 v4, s15
                                        ; implicit-def: $sgpr12
	s_cbranch_vccnz .LBB158_572
; %bb.571:
	v_add_f32_e32 v3, 0x46000000, v3
	v_and_b32_e32 v4, 0xff, v3
	s_mov_b32 s12, 0
	v_cmp_ne_u32_e64 s[10:11], 0, v4
.LBB158_572:
	s_andn2_b64 vcc, exec, s[10:11]
	v_mov_b32_e32 v5, s12
	s_cbranch_vccnz .LBB158_574
; %bb.573:
	v_mov_b32_e32 v5, v4
.LBB158_574:
	global_store_byte v[0:1], v5, off
.LBB158_575:
	s_mov_b64 s[10:11], -1
.LBB158_576:
	s_mov_b64 s[12:13], 0
.LBB158_577:
	s_and_b64 vcc, exec, s[12:13]
	s_cbranch_vccz .LBB158_623
; %bb.578:
	v_mov_b32_e32 v3, 22
	v_cmp_gt_i16_sdwa s[12:13], s33, v3 src0_sel:BYTE_0 src1_sel:DWORD
	s_mov_b64 s[8:9], -1
	s_and_b64 vcc, exec, s[12:13]
	s_cbranch_vccz .LBB158_616
; %bb.579:
	v_mov_b32_e32 v3, 24
	v_cmp_lt_i16_sdwa s[10:11], s33, v3 src0_sel:BYTE_0 src1_sel:DWORD
	s_and_b64 vcc, exec, s[10:11]
	s_cbranch_vccnz .LBB158_603
; %bb.580:
	v_cmp_gt_i16_sdwa s[10:11], s33, v3 src0_sel:BYTE_0 src1_sel:DWORD
	s_and_b64 vcc, exec, s[10:11]
	s_cbranch_vccz .LBB158_590
; %bb.581:
	s_and_b32 s8, 0xffff, s23
	v_cvt_f32_u32_e32 v3, s8
	s_mov_b32 s9, 0x477fffff
	v_mov_b32_e32 v5, 0x80
	v_cmp_lt_u32_e32 vcc, s9, v3
	v_readfirstlane_b32 s8, v3
	s_cbranch_vccnz .LBB158_589
; %bb.582:
	s_cmp_gt_u32 s8, 0x37ffffff
	s_cbranch_scc0 .LBB158_584
; %bb.583:
	s_bfe_u32 s9, s8, 0x10015
	s_add_i32 s8, s8, s9
	s_add_i32 s8, s8, 0x88fffff
	s_lshr_b32 s12, s8, 21
	s_mov_b64 s[10:11], 0
	s_mov_b64 s[8:9], -1
	s_branch .LBB158_585
.LBB158_584:
	s_mov_b64 s[10:11], -1
	s_mov_b64 s[8:9], 0
                                        ; implicit-def: $sgpr12
.LBB158_585:
	s_andn2_b64 vcc, exec, s[10:11]
	v_mov_b32_e32 v4, s12
                                        ; implicit-def: $sgpr10
	s_cbranch_vccnz .LBB158_587
; %bb.586:
	v_add_f32_e32 v3, 0x42800000, v3
	v_and_b32_e32 v4, 0xff, v3
	s_mov_b32 s10, 0
	v_cmp_ne_u32_e64 s[8:9], 0, v4
.LBB158_587:
	s_andn2_b64 vcc, exec, s[8:9]
	v_mov_b32_e32 v5, s10
	s_cbranch_vccnz .LBB158_589
; %bb.588:
	v_mov_b32_e32 v5, v4
.LBB158_589:
	s_mov_b64 s[8:9], 0
	global_store_byte v[0:1], v5, off
.LBB158_590:
	s_and_b64 vcc, exec, s[8:9]
	s_cbranch_vccz .LBB158_602
; %bb.591:
	s_and_b32 s8, 0xffff, s23
	v_cvt_f32_u32_e32 v3, s8
	s_mov_b32 s8, 0x43f00000
	v_cmp_gt_u32_e32 vcc, s8, v3
	v_readfirstlane_b32 s10, v3
	s_cbranch_vccz .LBB158_594
; %bb.592:
	s_cmp_gt_u32 s10, 0x3c7fffff
	s_cbranch_scc0 .LBB158_595
; %bb.593:
	s_bfe_u32 s8, s10, 0x10014
	s_add_i32 s8, s10, s8
	s_add_i32 s8, s8, 0x407ffff
	s_lshr_b32 s9, s8, 20
	s_and_b32 s8, s8, 0xff00000
	s_cmp_lg_u32 s8, 0x7f00000
	s_cselect_b32 s11, s9, 0x7e
	s_mov_b64 s[8:9], 0
	s_branch .LBB158_596
.LBB158_594:
	s_mov_b64 s[8:9], -1
                                        ; implicit-def: $vgpr4
	s_branch .LBB158_599
.LBB158_595:
	s_mov_b64 s[8:9], -1
                                        ; implicit-def: $sgpr11
.LBB158_596:
	s_andn2_b64 vcc, exec, s[8:9]
	v_mov_b32_e32 v4, s11
	s_cbranch_vccnz .LBB158_598
; %bb.597:
	v_add_f32_e32 v4, 0x46800000, v3
.LBB158_598:
	s_mov_b64 s[8:9], 0
.LBB158_599:
	s_andn2_b64 vcc, exec, s[8:9]
	s_cbranch_vccnz .LBB158_601
; %bb.600:
	s_cmp_gt_u32 s10, 0x7f800000
	s_movk_i32 s8, 0x7f
	s_cselect_b32 s8, s8, 0x7e
	v_mov_b32_e32 v4, s8
.LBB158_601:
	global_store_byte v[0:1], v4, off
.LBB158_602:
	s_mov_b64 s[8:9], 0
.LBB158_603:
	s_andn2_b64 vcc, exec, s[8:9]
	s_cbranch_vccnz .LBB158_615
; %bb.604:
	s_and_b32 s8, 0xffff, s23
	v_cvt_f32_u32_e32 v3, s8
	s_mov_b32 s8, 0x47800000
	v_cmp_gt_u32_e32 vcc, s8, v3
	v_readfirstlane_b32 s10, v3
	s_cbranch_vccz .LBB158_607
; %bb.605:
	s_cmp_gt_u32 s10, 0x387fffff
	s_cbranch_scc0 .LBB158_608
; %bb.606:
	s_bfe_u32 s8, s10, 0x10015
	s_add_i32 s8, s10, s8
	s_add_i32 s8, s8, 0x80fffff
	s_lshr_b32 s11, s8, 21
	s_mov_b64 s[8:9], 0
	s_branch .LBB158_609
.LBB158_607:
	s_mov_b64 s[8:9], -1
                                        ; implicit-def: $vgpr4
	s_branch .LBB158_612
.LBB158_608:
	s_mov_b64 s[8:9], -1
                                        ; implicit-def: $sgpr11
.LBB158_609:
	s_andn2_b64 vcc, exec, s[8:9]
	v_mov_b32_e32 v4, s11
	s_cbranch_vccnz .LBB158_611
; %bb.610:
	v_add_f32_e32 v4, 0x43000000, v3
.LBB158_611:
	s_mov_b64 s[8:9], 0
.LBB158_612:
	s_andn2_b64 vcc, exec, s[8:9]
	s_cbranch_vccnz .LBB158_614
; %bb.613:
	s_cmp_gt_u32 s10, 0x7f800000
	s_movk_i32 s8, 0x7f
	s_cselect_b32 s8, s8, 0x7c
	v_mov_b32_e32 v4, s8
.LBB158_614:
	global_store_byte v[0:1], v4, off
.LBB158_615:
	s_mov_b64 s[8:9], 0
	s_mov_b64 s[10:11], -1
.LBB158_616:
	s_andn2_b64 vcc, exec, s[8:9]
	s_mov_b64 s[8:9], 0
	s_cbranch_vccnz .LBB158_623
; %bb.617:
	v_mov_b32_e32 v3, 14
	v_cmp_gt_i16_sdwa s[8:9], s33, v3 src0_sel:BYTE_0 src1_sel:DWORD
	s_mov_b64 s[12:13], -1
	s_and_b64 vcc, exec, s[8:9]
	s_cbranch_vccz .LBB158_621
; %bb.618:
	v_mov_b32_e32 v3, 15
	v_cmp_eq_u16_sdwa s[8:9], s33, v3 src0_sel:BYTE_0 src1_sel:DWORD
	s_mov_b64 s[6:7], -1
	s_and_b64 vcc, exec, s[8:9]
	s_cbranch_vccz .LBB158_620
; %bb.619:
	s_and_b32 s6, 0xffff, s23
	v_cvt_f32_u32_e32 v3, s6
	s_mov_b64 s[6:7], 0
	s_mov_b64 s[10:11], -1
	v_bfe_u32 v4, v3, 16, 1
	v_add_u32_e32 v3, v3, v4
	v_add_u32_e32 v3, 0x7fff, v3
	global_store_short_d16_hi v[0:1], v3, off
.LBB158_620:
	s_mov_b64 s[12:13], 0
.LBB158_621:
	s_mov_b64 s[8:9], 0
	s_and_b64 vcc, exec, s[12:13]
	s_cbranch_vccz .LBB158_623
; %bb.622:
	v_mov_b32_e32 v3, 11
	v_cmp_ne_u16_sdwa s[6:7], s33, v3 src0_sel:BYTE_0 src1_sel:DWORD
	s_mov_b64 s[8:9], -1
.LBB158_623:
	s_and_b64 vcc, exec, s[6:7]
	s_cbranch_vccnz .LBB158_706
; %bb.624:
	s_andn2_b64 vcc, exec, s[8:9]
	s_cbranch_vccnz .LBB158_626
.LBB158_625:
	v_cmp_ne_u16_e64 s[6:7], s23, 0
	v_cndmask_b32_e64 v3, 0, 1, s[6:7]
	s_mov_b64 s[10:11], -1
	global_store_byte v[0:1], v3, off
.LBB158_626:
	s_branch .LBB158_543
.LBB158_627:
	v_mov_b32_e32 v3, 5
	v_cmp_lt_i16_sdwa s[8:9], s33, v3 src0_sel:BYTE_0 src1_sel:DWORD
	s_mov_b64 s[6:7], -1
	s_and_b64 vcc, exec, s[8:9]
	s_cbranch_vccnz .LBB158_648
; %bb.628:
	v_mov_b32_e32 v3, 8
	v_cmp_lt_i16_sdwa s[8:9], s33, v3 src0_sel:BYTE_0 src1_sel:DWORD
	s_and_b64 vcc, exec, s[8:9]
	s_cbranch_vccnz .LBB158_638
; %bb.629:
	v_mov_b32_e32 v3, 9
	v_cmp_lt_i16_sdwa s[8:9], s33, v3 src0_sel:BYTE_0 src1_sel:DWORD
	s_and_b64 vcc, exec, s[8:9]
	s_cbranch_vccnz .LBB158_635
; %bb.630:
	v_cmp_gt_i16_sdwa s[8:9], s33, v3 src0_sel:BYTE_0 src1_sel:DWORD
	s_and_b64 vcc, exec, s[8:9]
	s_cbranch_vccz .LBB158_632
; %bb.631:
	s_and_b32 s6, 0xffff, s23
	v_mov_b32_e32 v6, 0
	v_cvt_f64_u32_e32 v[4:5], s6
	v_mov_b32_e32 v7, v6
	global_store_dwordx4 v[0:1], v[4:7], off
	s_mov_b64 s[6:7], 0
.LBB158_632:
	s_andn2_b64 vcc, exec, s[6:7]
	s_cbranch_vccnz .LBB158_634
; %bb.633:
	s_and_b32 s6, 0xffff, s23
	v_cvt_f32_u32_e32 v4, s6
	v_mov_b32_e32 v5, 0
	global_store_dwordx2 v[0:1], v[4:5], off
.LBB158_634:
	s_mov_b64 s[6:7], 0
.LBB158_635:
	s_andn2_b64 vcc, exec, s[6:7]
	s_cbranch_vccnz .LBB158_637
; %bb.636:
	v_cvt_f16_u16_e32 v3, s23
	global_store_dword v[0:1], v3, off
.LBB158_637:
	s_mov_b64 s[6:7], 0
.LBB158_638:
	s_andn2_b64 vcc, exec, s[6:7]
	s_cbranch_vccnz .LBB158_647
; %bb.639:
	v_mov_b32_e32 v3, 6
	v_cmp_lt_i16_sdwa s[8:9], s33, v3 src0_sel:BYTE_0 src1_sel:DWORD
	s_mov_b64 s[6:7], -1
	s_and_b64 vcc, exec, s[8:9]
	s_cbranch_vccnz .LBB158_645
; %bb.640:
	v_cmp_gt_i16_sdwa s[8:9], s33, v3 src0_sel:BYTE_0 src1_sel:DWORD
	s_and_b64 vcc, exec, s[8:9]
	s_cbranch_vccz .LBB158_642
; %bb.641:
	s_and_b32 s6, 0xffff, s23
	v_cvt_f64_u32_e32 v[4:5], s6
	global_store_dwordx2 v[0:1], v[4:5], off
	s_mov_b64 s[6:7], 0
.LBB158_642:
	s_andn2_b64 vcc, exec, s[6:7]
	s_cbranch_vccnz .LBB158_644
; %bb.643:
	s_and_b32 s6, 0xffff, s23
	v_cvt_f32_u32_e32 v3, s6
	global_store_dword v[0:1], v3, off
.LBB158_644:
	s_mov_b64 s[6:7], 0
.LBB158_645:
	s_andn2_b64 vcc, exec, s[6:7]
	s_cbranch_vccnz .LBB158_647
; %bb.646:
	v_cvt_f16_u16_e32 v3, s23
	global_store_short v[0:1], v3, off
.LBB158_647:
	s_mov_b64 s[6:7], 0
.LBB158_648:
	s_andn2_b64 vcc, exec, s[6:7]
	s_cbranch_vccnz .LBB158_664
; %bb.649:
	v_mov_b32_e32 v3, 2
	v_cmp_lt_i16_sdwa s[8:9], s33, v3 src0_sel:BYTE_0 src1_sel:DWORD
	s_mov_b64 s[6:7], -1
	s_and_b64 vcc, exec, s[8:9]
	s_cbranch_vccnz .LBB158_659
; %bb.650:
	v_mov_b32_e32 v3, 3
	v_cmp_lt_i16_sdwa s[8:9], s33, v3 src0_sel:BYTE_0 src1_sel:DWORD
	s_and_b64 vcc, exec, s[8:9]
	s_cbranch_vccnz .LBB158_656
; %bb.651:
	v_cmp_gt_i16_sdwa s[8:9], s33, v3 src0_sel:BYTE_0 src1_sel:DWORD
	s_and_b64 vcc, exec, s[8:9]
	s_cbranch_vccz .LBB158_653
; %bb.652:
	s_and_b32 s6, s23, 0xffff
	v_mov_b32_e32 v4, s6
	v_mov_b32_e32 v5, 0
	global_store_dwordx2 v[0:1], v[4:5], off
	s_mov_b64 s[6:7], 0
.LBB158_653:
	s_andn2_b64 vcc, exec, s[6:7]
	s_cbranch_vccnz .LBB158_655
; %bb.654:
	s_and_b32 s6, 0xffff, s23
	v_mov_b32_e32 v3, s6
	global_store_dword v[0:1], v3, off
.LBB158_655:
	s_mov_b64 s[6:7], 0
.LBB158_656:
	s_andn2_b64 vcc, exec, s[6:7]
	s_cbranch_vccnz .LBB158_658
; %bb.657:
	v_mov_b32_e32 v3, s23
	global_store_short v[0:1], v3, off
.LBB158_658:
	s_mov_b64 s[6:7], 0
.LBB158_659:
	s_andn2_b64 vcc, exec, s[6:7]
	s_cbranch_vccnz .LBB158_664
; %bb.660:
	v_mov_b32_e32 v3, 0
	v_cmp_gt_i16_sdwa s[8:9], s33, v3 src0_sel:BYTE_0 src1_sel:DWORD
	s_mov_b64 s[6:7], -1
	s_and_b64 vcc, exec, s[8:9]
	s_cbranch_vccz .LBB158_662
; %bb.661:
	v_mov_b32_e32 v3, s23
	global_store_byte v[0:1], v3, off
	s_mov_b64 s[6:7], 0
.LBB158_662:
	s_andn2_b64 vcc, exec, s[6:7]
	s_cbranch_vccnz .LBB158_664
; %bb.663:
	v_mov_b32_e32 v3, s23
	global_store_byte v[0:1], v3, off
.LBB158_664:
.LBB158_665:
	v_add_u32_e32 v2, s14, v2
	v_ashrrev_i32_e32 v1, 31, v2
	v_mov_b32_e32 v3, s21
	v_add_co_u32_e32 v0, vcc, s20, v2
	v_addc_co_u32_e32 v1, vcc, v3, v1, vcc
	v_mov_b32_e32 v3, 11
	v_cmp_lt_i16_sdwa s[6:7], s33, v3 src0_sel:BYTE_0 src1_sel:DWORD
	s_and_b64 vcc, exec, s[6:7]
	s_cbranch_vccnz .LBB158_672
; %bb.666:
	v_mov_b32_e32 v3, 25
	v_cmp_gt_i16_sdwa s[6:7], s33, v3 src0_sel:BYTE_0 src1_sel:DWORD
	s_mov_b64 s[12:13], -1
	s_mov_b64 s[8:9], 0
	s_and_b64 vcc, exec, s[6:7]
	s_mov_b64 s[10:11], 0
	s_mov_b64 s[6:7], 0
	s_cbranch_vccz .LBB158_737
; %bb.667:
	v_mov_b32_e32 v3, 28
	v_cmp_gt_i16_sdwa s[6:7], s33, v3 src0_sel:BYTE_0 src1_sel:DWORD
	s_and_b64 vcc, exec, s[6:7]
	s_cbranch_vccz .LBB158_704
; %bb.668:
	v_mov_b32_e32 v3, 43
	v_cmp_gt_i16_sdwa s[6:7], s33, v3 src0_sel:BYTE_0 src1_sel:DWORD
	s_and_b64 vcc, exec, s[6:7]
	;; [unrolled: 5-line block ×3, first 2 shown]
	s_cbranch_vccz .LBB158_707
; %bb.670:
	v_mov_b32_e32 v3, 46
	v_cmp_eq_u16_sdwa s[10:11], s33, v3 src0_sel:BYTE_0 src1_sel:DWORD
	s_mov_b64 s[6:7], -1
	s_mov_b64 s[12:13], 0
	s_and_b64 vcc, exec, s[10:11]
	s_mov_b64 s[10:11], 0
	s_cbranch_vccz .LBB158_708
; %bb.671:
	s_and_b32 s6, 0xffff, s23
	v_cvt_f32_u32_e32 v3, s6
	s_mov_b64 s[6:7], 0
	s_mov_b64 s[10:11], -1
	v_bfe_u32 v4, v3, 16, 1
	v_add_u32_e32 v3, v3, v4
	v_add_u32_e32 v3, 0x7fff, v3
	v_lshrrev_b32_e32 v3, 16, v3
	global_store_dword v[0:1], v3, off
	s_branch .LBB158_708
.LBB158_672:
	s_mov_b64 s[10:11], 0
	s_cbranch_execnz .LBB158_801
.LBB158_673:
	s_andn2_b64 vcc, exec, s[10:11]
	s_cbranch_vccnz .LBB158_839
.LBB158_674:
	v_add_u32_e32 v0, s14, v2
	v_ashrrev_i32_e32 v1, 31, v0
	v_mov_b32_e32 v2, s21
	v_add_co_u32_e32 v0, vcc, s20, v0
	v_addc_co_u32_e32 v1, vcc, v2, v1, vcc
	v_mov_b32_e32 v2, 0xff
	v_and_b32_e32 v2, s33, v2
	v_cmp_gt_i16_e32 vcc, 11, v2
	s_cbranch_vccnz .LBB158_703
; %bb.675:
	v_cmp_lt_i16_e32 vcc, 25, v2
	s_mov_b64 s[10:11], -1
	s_mov_b64 s[8:9], 0
	s_mov_b64 s[6:7], 0
	s_cbranch_vccz .LBB158_751
; %bb.676:
	v_cmp_lt_i16_e32 vcc, 28, v2
	s_cbranch_vccz .LBB158_692
; %bb.677:
	v_cmp_lt_i16_e32 vcc, 43, v2
	;; [unrolled: 3-line block ×3, first 2 shown]
	s_cbranch_vccz .LBB158_682
; %bb.679:
	v_cmp_eq_u16_e32 vcc, 46, v2
	s_mov_b64 s[6:7], -1
	s_cbranch_vccz .LBB158_681
; %bb.680:
	s_and_b32 s6, 0xffff, s23
	v_cvt_f32_u32_e32 v3, s6
	s_mov_b64 s[6:7], 0
	v_bfe_u32 v4, v3, 16, 1
	v_add_u32_e32 v3, v3, v4
	v_add_u32_e32 v3, 0x7fff, v3
	v_lshrrev_b32_e32 v3, 16, v3
	global_store_dword v[0:1], v3, off
.LBB158_681:
	s_mov_b64 s[10:11], 0
.LBB158_682:
	s_and_b64 vcc, exec, s[10:11]
	s_cbranch_vccz .LBB158_687
; %bb.683:
	v_cmp_eq_u16_e32 vcc, 44, v2
	s_mov_b64 s[6:7], -1
	s_cbranch_vccz .LBB158_687
; %bb.684:
	s_and_b32 s6, 0xffff, s23
	v_cvt_f32_u32_e32 v3, s6
	v_readfirstlane_b32 s7, v3
	s_lshr_b32 s6, s7, 23
	s_cmpk_eq_i32 s6, 0xff
	v_mov_b32_e32 v3, 0xff
	s_cbranch_scc1 .LBB158_686
; %bb.685:
	s_bitcmp1_b32 s7, 22
	s_cselect_b64 s[10:11], -1, 0
	s_and_b32 s7, s7, 0x3fffff
	s_or_b32 s7, s6, s7
	s_cmp_lg_u32 s7, 0
	s_cselect_b64 s[12:13], -1, 0
	s_and_b64 s[10:11], s[10:11], s[12:13]
	v_cndmask_b32_e64 v3, 0, 1, s[10:11]
	v_add_u32_e32 v3, s6, v3
.LBB158_686:
	s_mov_b64 s[6:7], 0
	global_store_byte v[0:1], v3, off
.LBB158_687:
	s_mov_b64 s[10:11], 0
.LBB158_688:
	s_and_b64 vcc, exec, s[10:11]
	s_cbranch_vccz .LBB158_691
; %bb.689:
	v_cmp_eq_u16_e32 vcc, 29, v2
	s_mov_b64 s[6:7], -1
	s_cbranch_vccz .LBB158_691
; %bb.690:
	s_and_b32 s6, s23, 0xffff
	v_mov_b32_e32 v4, s6
	v_mov_b32_e32 v5, 0
	global_store_dwordx2 v[0:1], v[4:5], off
	s_mov_b64 s[6:7], 0
.LBB158_691:
	s_mov_b64 s[10:11], 0
.LBB158_692:
	s_and_b64 vcc, exec, s[10:11]
	s_cbranch_vccz .LBB158_750
; %bb.693:
	v_cmp_gt_i16_e32 vcc, 27, v2
	s_mov_b64 s[10:11], -1
	s_cbranch_vccnz .LBB158_699
; %bb.694:
	v_cmp_lt_i16_e32 vcc, 27, v2
	s_cbranch_vccz .LBB158_696
; %bb.695:
	s_and_b32 s10, 0xffff, s23
	v_mov_b32_e32 v3, s10
	global_store_dword v[0:1], v3, off
	s_mov_b64 s[10:11], 0
.LBB158_696:
	s_andn2_b64 vcc, exec, s[10:11]
	s_cbranch_vccnz .LBB158_698
; %bb.697:
	v_mov_b32_e32 v3, s23
	global_store_short v[0:1], v3, off
.LBB158_698:
	s_mov_b64 s[10:11], 0
.LBB158_699:
	s_andn2_b64 vcc, exec, s[10:11]
	s_cbranch_vccnz .LBB158_750
; %bb.700:
	s_and_b32 s10, 0xffff, s23
	v_cvt_f32_u32_e32 v3, s10
	s_mov_b32 s11, 0x437fffff
	v_mov_b32_e32 v5, 0x80
	v_cmp_lt_u32_e32 vcc, s11, v3
	v_readfirstlane_b32 s10, v3
	s_cbranch_vccnz .LBB158_749
; %bb.701:
	s_cmp_gt_u32 s10, 0x3bffffff
	s_cbranch_scc0 .LBB158_744
; %bb.702:
	s_bfe_u32 s11, s10, 0x10014
	s_add_i32 s10, s10, s11
	s_add_i32 s10, s10, 0x487ffff
	s_lshr_b32 s14, s10, 20
	s_mov_b64 s[12:13], 0
	s_mov_b64 s[10:11], -1
	s_branch .LBB158_745
.LBB158_703:
	s_mov_b64 s[8:9], 0
	s_mov_b64 s[6:7], -1
	s_branch .LBB158_840
.LBB158_704:
	s_mov_b64 s[6:7], 0
	s_branch .LBB158_718
.LBB158_705:
	s_mov_b64 s[6:7], 0
	s_branch .LBB158_714
.LBB158_706:
	s_trap 2
	s_or_b64 s[4:5], s[4:5], exec
	s_cbranch_execz .LBB158_625
	s_branch .LBB158_626
.LBB158_707:
	s_mov_b64 s[6:7], 0
.LBB158_708:
	s_and_b64 vcc, exec, s[12:13]
	s_cbranch_vccz .LBB158_713
; %bb.709:
	v_mov_b32_e32 v3, 44
	v_cmp_eq_u16_sdwa s[12:13], s33, v3 src0_sel:BYTE_0 src1_sel:DWORD
	s_mov_b64 s[6:7], -1
	s_and_b64 vcc, exec, s[12:13]
	s_cbranch_vccz .LBB158_713
; %bb.710:
	s_and_b32 s6, 0xffff, s23
	v_cvt_f32_u32_e32 v3, s6
	v_readfirstlane_b32 s7, v3
	s_lshr_b32 s6, s7, 23
	s_cmpk_eq_i32 s6, 0xff
	v_mov_b32_e32 v3, 0xff
	s_cbranch_scc1 .LBB158_712
; %bb.711:
	s_bitcmp1_b32 s7, 22
	s_cselect_b64 s[10:11], -1, 0
	s_and_b32 s7, s7, 0x3fffff
	s_or_b32 s7, s6, s7
	s_cmp_lg_u32 s7, 0
	s_cselect_b64 s[12:13], -1, 0
	s_and_b64 s[10:11], s[10:11], s[12:13]
	v_cndmask_b32_e64 v3, 0, 1, s[10:11]
	v_add_u32_e32 v3, s6, v3
.LBB158_712:
	s_mov_b64 s[6:7], 0
	s_mov_b64 s[10:11], -1
	global_store_byte v[0:1], v3, off
.LBB158_713:
	s_mov_b64 s[12:13], 0
.LBB158_714:
	s_and_b64 vcc, exec, s[12:13]
	s_cbranch_vccz .LBB158_717
; %bb.715:
	v_mov_b32_e32 v3, 29
	v_cmp_eq_u16_sdwa s[12:13], s33, v3 src0_sel:BYTE_0 src1_sel:DWORD
	s_mov_b64 s[6:7], -1
	s_and_b64 vcc, exec, s[12:13]
	s_cbranch_vccz .LBB158_717
; %bb.716:
	s_and_b32 s6, s23, 0xffff
	v_mov_b32_e32 v4, s6
	v_mov_b32_e32 v5, 0
	global_store_dwordx2 v[0:1], v[4:5], off
	s_mov_b64 s[6:7], 0
	s_mov_b64 s[10:11], -1
.LBB158_717:
	s_mov_b64 s[12:13], 0
.LBB158_718:
	s_and_b64 vcc, exec, s[12:13]
	s_cbranch_vccz .LBB158_736
; %bb.719:
	v_mov_b32_e32 v3, 27
	v_cmp_lt_i16_sdwa s[12:13], s33, v3 src0_sel:BYTE_0 src1_sel:DWORD
	s_mov_b64 s[10:11], -1
	s_and_b64 vcc, exec, s[12:13]
	s_cbranch_vccnz .LBB158_725
; %bb.720:
	v_cmp_gt_i16_sdwa s[12:13], s33, v3 src0_sel:BYTE_0 src1_sel:DWORD
	s_and_b64 vcc, exec, s[12:13]
	s_cbranch_vccz .LBB158_722
; %bb.721:
	s_and_b32 s10, 0xffff, s23
	v_mov_b32_e32 v3, s10
	s_mov_b64 s[10:11], 0
	global_store_dword v[0:1], v3, off
.LBB158_722:
	s_andn2_b64 vcc, exec, s[10:11]
	s_cbranch_vccnz .LBB158_724
; %bb.723:
	v_mov_b32_e32 v3, s23
	global_store_short v[0:1], v3, off
.LBB158_724:
	s_mov_b64 s[10:11], 0
.LBB158_725:
	s_andn2_b64 vcc, exec, s[10:11]
	s_cbranch_vccnz .LBB158_735
; %bb.726:
	s_and_b32 s10, 0xffff, s23
	v_cvt_f32_u32_e32 v3, s10
	s_mov_b32 s11, 0x437fffff
	v_mov_b32_e32 v5, 0x80
	v_cmp_lt_u32_e32 vcc, s11, v3
	v_readfirstlane_b32 s10, v3
	s_cbranch_vccnz .LBB158_734
; %bb.727:
	s_cmp_gt_u32 s10, 0x3bffffff
	s_cbranch_scc0 .LBB158_729
; %bb.728:
	s_bfe_u32 s11, s10, 0x10014
	s_add_i32 s10, s10, s11
	s_add_i32 s10, s10, 0x487ffff
	s_lshr_b32 s15, s10, 20
	s_mov_b64 s[12:13], 0
	s_mov_b64 s[10:11], -1
	s_branch .LBB158_730
.LBB158_729:
	s_mov_b64 s[12:13], -1
	s_mov_b64 s[10:11], 0
                                        ; implicit-def: $sgpr15
.LBB158_730:
	s_andn2_b64 vcc, exec, s[12:13]
	v_mov_b32_e32 v4, s15
                                        ; implicit-def: $sgpr12
	s_cbranch_vccnz .LBB158_732
; %bb.731:
	v_add_f32_e32 v3, 0x46000000, v3
	v_and_b32_e32 v4, 0xff, v3
	s_mov_b32 s12, 0
	v_cmp_ne_u32_e64 s[10:11], 0, v4
.LBB158_732:
	s_andn2_b64 vcc, exec, s[10:11]
	v_mov_b32_e32 v5, s12
	s_cbranch_vccnz .LBB158_734
; %bb.733:
	v_mov_b32_e32 v5, v4
.LBB158_734:
	global_store_byte v[0:1], v5, off
.LBB158_735:
	s_mov_b64 s[10:11], -1
.LBB158_736:
	s_mov_b64 s[12:13], 0
.LBB158_737:
	s_and_b64 vcc, exec, s[12:13]
	s_cbranch_vccz .LBB158_797
; %bb.738:
	v_mov_b32_e32 v3, 22
	v_cmp_gt_i16_sdwa s[12:13], s33, v3 src0_sel:BYTE_0 src1_sel:DWORD
	s_mov_b64 s[8:9], -1
	s_and_b64 vcc, exec, s[12:13]
	s_cbranch_vccz .LBB158_790
; %bb.739:
	v_mov_b32_e32 v3, 24
	v_cmp_lt_i16_sdwa s[10:11], s33, v3 src0_sel:BYTE_0 src1_sel:DWORD
	s_and_b64 vcc, exec, s[10:11]
	s_cbranch_vccnz .LBB158_777
; %bb.740:
	v_cmp_gt_i16_sdwa s[10:11], s33, v3 src0_sel:BYTE_0 src1_sel:DWORD
	s_and_b64 vcc, exec, s[10:11]
	s_cbranch_vccz .LBB158_764
; %bb.741:
	s_and_b32 s8, 0xffff, s23
	v_cvt_f32_u32_e32 v3, s8
	s_mov_b32 s9, 0x477fffff
	v_mov_b32_e32 v5, 0x80
	v_cmp_lt_u32_e32 vcc, s9, v3
	v_readfirstlane_b32 s8, v3
	s_cbranch_vccnz .LBB158_763
; %bb.742:
	s_cmp_gt_u32 s8, 0x37ffffff
	s_cbranch_scc0 .LBB158_758
; %bb.743:
	s_bfe_u32 s9, s8, 0x10015
	s_add_i32 s8, s8, s9
	s_add_i32 s8, s8, 0x88fffff
	s_lshr_b32 s12, s8, 21
	s_mov_b64 s[10:11], 0
	s_mov_b64 s[8:9], -1
	s_branch .LBB158_759
.LBB158_744:
	s_mov_b64 s[12:13], -1
	s_mov_b64 s[10:11], 0
                                        ; implicit-def: $sgpr14
.LBB158_745:
	s_andn2_b64 vcc, exec, s[12:13]
	v_mov_b32_e32 v4, s14
                                        ; implicit-def: $sgpr12
	s_cbranch_vccnz .LBB158_747
; %bb.746:
	v_add_f32_e32 v3, 0x46000000, v3
	v_and_b32_e32 v4, 0xff, v3
	s_mov_b32 s12, 0
	v_cmp_ne_u32_e64 s[10:11], 0, v4
.LBB158_747:
	s_andn2_b64 vcc, exec, s[10:11]
	v_mov_b32_e32 v5, s12
	s_cbranch_vccnz .LBB158_749
; %bb.748:
	v_mov_b32_e32 v5, v4
.LBB158_749:
	global_store_byte v[0:1], v5, off
.LBB158_750:
	s_mov_b64 s[10:11], 0
.LBB158_751:
	s_and_b64 vcc, exec, s[10:11]
	s_cbranch_vccz .LBB158_921
; %bb.752:
	v_cmp_lt_i16_e32 vcc, 22, v2
	s_mov_b64 s[8:9], -1
	s_cbranch_vccz .LBB158_914
; %bb.753:
	v_cmp_gt_i16_e32 vcc, 24, v2
	s_cbranch_vccnz .LBB158_901
; %bb.754:
	v_cmp_lt_i16_e32 vcc, 24, v2
	s_cbranch_vccz .LBB158_888
; %bb.755:
	s_and_b32 s8, 0xffff, s23
	v_cvt_f32_u32_e32 v3, s8
	s_mov_b32 s9, 0x477fffff
	v_mov_b32_e32 v5, 0x80
	v_cmp_lt_u32_e32 vcc, s9, v3
	v_readfirstlane_b32 s8, v3
	s_cbranch_vccnz .LBB158_887
; %bb.756:
	s_cmp_gt_u32 s8, 0x37ffffff
	s_cbranch_scc0 .LBB158_882
; %bb.757:
	s_bfe_u32 s9, s8, 0x10015
	s_add_i32 s8, s8, s9
	s_add_i32 s8, s8, 0x88fffff
	s_lshr_b32 s12, s8, 21
	s_mov_b64 s[10:11], 0
	s_mov_b64 s[8:9], -1
	s_branch .LBB158_883
.LBB158_758:
	s_mov_b64 s[10:11], -1
	s_mov_b64 s[8:9], 0
                                        ; implicit-def: $sgpr12
.LBB158_759:
	s_andn2_b64 vcc, exec, s[10:11]
	v_mov_b32_e32 v4, s12
                                        ; implicit-def: $sgpr10
	s_cbranch_vccnz .LBB158_761
; %bb.760:
	v_add_f32_e32 v3, 0x42800000, v3
	v_and_b32_e32 v4, 0xff, v3
	s_mov_b32 s10, 0
	v_cmp_ne_u32_e64 s[8:9], 0, v4
.LBB158_761:
	s_andn2_b64 vcc, exec, s[8:9]
	v_mov_b32_e32 v5, s10
	s_cbranch_vccnz .LBB158_763
; %bb.762:
	v_mov_b32_e32 v5, v4
.LBB158_763:
	s_mov_b64 s[8:9], 0
	global_store_byte v[0:1], v5, off
.LBB158_764:
	s_and_b64 vcc, exec, s[8:9]
	s_cbranch_vccz .LBB158_776
; %bb.765:
	s_and_b32 s8, 0xffff, s23
	v_cvt_f32_u32_e32 v3, s8
	s_mov_b32 s8, 0x43f00000
	v_cmp_gt_u32_e32 vcc, s8, v3
	v_readfirstlane_b32 s10, v3
	s_cbranch_vccz .LBB158_768
; %bb.766:
	s_cmp_gt_u32 s10, 0x3c7fffff
	s_cbranch_scc0 .LBB158_769
; %bb.767:
	s_bfe_u32 s8, s10, 0x10014
	s_add_i32 s8, s10, s8
	s_add_i32 s8, s8, 0x407ffff
	s_lshr_b32 s9, s8, 20
	s_and_b32 s8, s8, 0xff00000
	s_cmp_lg_u32 s8, 0x7f00000
	s_cselect_b32 s11, s9, 0x7e
	s_mov_b64 s[8:9], 0
	s_branch .LBB158_770
.LBB158_768:
	s_mov_b64 s[8:9], -1
                                        ; implicit-def: $vgpr4
	s_branch .LBB158_773
.LBB158_769:
	s_mov_b64 s[8:9], -1
                                        ; implicit-def: $sgpr11
.LBB158_770:
	s_andn2_b64 vcc, exec, s[8:9]
	v_mov_b32_e32 v4, s11
	s_cbranch_vccnz .LBB158_772
; %bb.771:
	v_add_f32_e32 v4, 0x46800000, v3
.LBB158_772:
	s_mov_b64 s[8:9], 0
.LBB158_773:
	s_andn2_b64 vcc, exec, s[8:9]
	s_cbranch_vccnz .LBB158_775
; %bb.774:
	s_cmp_gt_u32 s10, 0x7f800000
	s_movk_i32 s8, 0x7f
	s_cselect_b32 s8, s8, 0x7e
	v_mov_b32_e32 v4, s8
.LBB158_775:
	global_store_byte v[0:1], v4, off
.LBB158_776:
	s_mov_b64 s[8:9], 0
.LBB158_777:
	s_andn2_b64 vcc, exec, s[8:9]
	s_cbranch_vccnz .LBB158_789
; %bb.778:
	s_and_b32 s8, 0xffff, s23
	v_cvt_f32_u32_e32 v3, s8
	s_mov_b32 s8, 0x47800000
	v_cmp_gt_u32_e32 vcc, s8, v3
	v_readfirstlane_b32 s10, v3
	s_cbranch_vccz .LBB158_781
; %bb.779:
	s_cmp_gt_u32 s10, 0x387fffff
	s_cbranch_scc0 .LBB158_782
; %bb.780:
	s_bfe_u32 s8, s10, 0x10015
	s_add_i32 s8, s10, s8
	s_add_i32 s8, s8, 0x80fffff
	s_lshr_b32 s11, s8, 21
	s_mov_b64 s[8:9], 0
	s_branch .LBB158_783
.LBB158_781:
	s_mov_b64 s[8:9], -1
                                        ; implicit-def: $vgpr4
	s_branch .LBB158_786
.LBB158_782:
	s_mov_b64 s[8:9], -1
                                        ; implicit-def: $sgpr11
.LBB158_783:
	s_andn2_b64 vcc, exec, s[8:9]
	v_mov_b32_e32 v4, s11
	s_cbranch_vccnz .LBB158_785
; %bb.784:
	v_add_f32_e32 v4, 0x43000000, v3
.LBB158_785:
	s_mov_b64 s[8:9], 0
.LBB158_786:
	s_andn2_b64 vcc, exec, s[8:9]
	s_cbranch_vccnz .LBB158_788
; %bb.787:
	s_cmp_gt_u32 s10, 0x7f800000
	s_movk_i32 s8, 0x7f
	s_cselect_b32 s8, s8, 0x7c
	v_mov_b32_e32 v4, s8
.LBB158_788:
	global_store_byte v[0:1], v4, off
.LBB158_789:
	s_mov_b64 s[8:9], 0
	s_mov_b64 s[10:11], -1
.LBB158_790:
	s_andn2_b64 vcc, exec, s[8:9]
	s_mov_b64 s[8:9], 0
	s_cbranch_vccnz .LBB158_797
; %bb.791:
	v_mov_b32_e32 v3, 14
	v_cmp_gt_i16_sdwa s[8:9], s33, v3 src0_sel:BYTE_0 src1_sel:DWORD
	s_mov_b64 s[12:13], -1
	s_and_b64 vcc, exec, s[8:9]
	s_cbranch_vccz .LBB158_795
; %bb.792:
	v_mov_b32_e32 v3, 15
	v_cmp_eq_u16_sdwa s[8:9], s33, v3 src0_sel:BYTE_0 src1_sel:DWORD
	s_mov_b64 s[6:7], -1
	s_and_b64 vcc, exec, s[8:9]
	s_cbranch_vccz .LBB158_794
; %bb.793:
	s_and_b32 s6, 0xffff, s23
	v_cvt_f32_u32_e32 v3, s6
	s_mov_b64 s[6:7], 0
	s_mov_b64 s[10:11], -1
	v_bfe_u32 v4, v3, 16, 1
	v_add_u32_e32 v3, v3, v4
	v_add_u32_e32 v3, 0x7fff, v3
	global_store_short_d16_hi v[0:1], v3, off
.LBB158_794:
	s_mov_b64 s[12:13], 0
.LBB158_795:
	s_mov_b64 s[8:9], 0
	s_and_b64 vcc, exec, s[12:13]
	s_cbranch_vccz .LBB158_797
; %bb.796:
	v_mov_b32_e32 v3, 11
	v_cmp_ne_u16_sdwa s[6:7], s33, v3 src0_sel:BYTE_0 src1_sel:DWORD
	s_mov_b64 s[8:9], -1
.LBB158_797:
	s_and_b64 vcc, exec, s[6:7]
	s_cbranch_vccnz .LBB158_881
; %bb.798:
	s_andn2_b64 vcc, exec, s[8:9]
	s_cbranch_vccnz .LBB158_800
.LBB158_799:
	v_cmp_ne_u16_e64 s[6:7], s23, 0
	v_cndmask_b32_e64 v3, 0, 1, s[6:7]
	s_mov_b64 s[10:11], -1
	global_store_byte v[0:1], v3, off
.LBB158_800:
	s_branch .LBB158_673
.LBB158_801:
	v_mov_b32_e32 v3, 5
	v_cmp_lt_i16_sdwa s[8:9], s33, v3 src0_sel:BYTE_0 src1_sel:DWORD
	s_mov_b64 s[6:7], -1
	s_and_b64 vcc, exec, s[8:9]
	s_cbranch_vccnz .LBB158_822
; %bb.802:
	v_mov_b32_e32 v3, 8
	v_cmp_lt_i16_sdwa s[8:9], s33, v3 src0_sel:BYTE_0 src1_sel:DWORD
	s_and_b64 vcc, exec, s[8:9]
	s_cbranch_vccnz .LBB158_812
; %bb.803:
	v_mov_b32_e32 v3, 9
	v_cmp_lt_i16_sdwa s[8:9], s33, v3 src0_sel:BYTE_0 src1_sel:DWORD
	s_and_b64 vcc, exec, s[8:9]
	s_cbranch_vccnz .LBB158_809
; %bb.804:
	v_cmp_gt_i16_sdwa s[8:9], s33, v3 src0_sel:BYTE_0 src1_sel:DWORD
	s_and_b64 vcc, exec, s[8:9]
	s_cbranch_vccz .LBB158_806
; %bb.805:
	s_and_b32 s6, 0xffff, s23
	v_mov_b32_e32 v6, 0
	v_cvt_f64_u32_e32 v[4:5], s6
	v_mov_b32_e32 v7, v6
	global_store_dwordx4 v[0:1], v[4:7], off
	s_mov_b64 s[6:7], 0
.LBB158_806:
	s_andn2_b64 vcc, exec, s[6:7]
	s_cbranch_vccnz .LBB158_808
; %bb.807:
	s_and_b32 s6, 0xffff, s23
	v_cvt_f32_u32_e32 v4, s6
	v_mov_b32_e32 v5, 0
	global_store_dwordx2 v[0:1], v[4:5], off
.LBB158_808:
	s_mov_b64 s[6:7], 0
.LBB158_809:
	s_andn2_b64 vcc, exec, s[6:7]
	s_cbranch_vccnz .LBB158_811
; %bb.810:
	v_cvt_f16_u16_e32 v3, s23
	global_store_dword v[0:1], v3, off
.LBB158_811:
	s_mov_b64 s[6:7], 0
.LBB158_812:
	s_andn2_b64 vcc, exec, s[6:7]
	s_cbranch_vccnz .LBB158_821
; %bb.813:
	v_mov_b32_e32 v3, 6
	v_cmp_lt_i16_sdwa s[8:9], s33, v3 src0_sel:BYTE_0 src1_sel:DWORD
	s_mov_b64 s[6:7], -1
	s_and_b64 vcc, exec, s[8:9]
	s_cbranch_vccnz .LBB158_819
; %bb.814:
	v_cmp_gt_i16_sdwa s[8:9], s33, v3 src0_sel:BYTE_0 src1_sel:DWORD
	s_and_b64 vcc, exec, s[8:9]
	s_cbranch_vccz .LBB158_816
; %bb.815:
	s_and_b32 s6, 0xffff, s23
	v_cvt_f64_u32_e32 v[4:5], s6
	global_store_dwordx2 v[0:1], v[4:5], off
	s_mov_b64 s[6:7], 0
.LBB158_816:
	s_andn2_b64 vcc, exec, s[6:7]
	s_cbranch_vccnz .LBB158_818
; %bb.817:
	s_and_b32 s6, 0xffff, s23
	v_cvt_f32_u32_e32 v3, s6
	global_store_dword v[0:1], v3, off
.LBB158_818:
	s_mov_b64 s[6:7], 0
.LBB158_819:
	s_andn2_b64 vcc, exec, s[6:7]
	s_cbranch_vccnz .LBB158_821
; %bb.820:
	v_cvt_f16_u16_e32 v3, s23
	global_store_short v[0:1], v3, off
.LBB158_821:
	s_mov_b64 s[6:7], 0
.LBB158_822:
	s_andn2_b64 vcc, exec, s[6:7]
	s_cbranch_vccnz .LBB158_838
; %bb.823:
	v_mov_b32_e32 v3, 2
	v_cmp_lt_i16_sdwa s[8:9], s33, v3 src0_sel:BYTE_0 src1_sel:DWORD
	s_mov_b64 s[6:7], -1
	s_and_b64 vcc, exec, s[8:9]
	s_cbranch_vccnz .LBB158_833
; %bb.824:
	v_mov_b32_e32 v3, 3
	v_cmp_lt_i16_sdwa s[8:9], s33, v3 src0_sel:BYTE_0 src1_sel:DWORD
	s_and_b64 vcc, exec, s[8:9]
	s_cbranch_vccnz .LBB158_830
; %bb.825:
	v_cmp_gt_i16_sdwa s[8:9], s33, v3 src0_sel:BYTE_0 src1_sel:DWORD
	s_and_b64 vcc, exec, s[8:9]
	s_cbranch_vccz .LBB158_827
; %bb.826:
	s_and_b32 s6, s23, 0xffff
	v_mov_b32_e32 v4, s6
	v_mov_b32_e32 v5, 0
	global_store_dwordx2 v[0:1], v[4:5], off
	s_mov_b64 s[6:7], 0
.LBB158_827:
	s_andn2_b64 vcc, exec, s[6:7]
	s_cbranch_vccnz .LBB158_829
; %bb.828:
	s_and_b32 s6, 0xffff, s23
	v_mov_b32_e32 v3, s6
	global_store_dword v[0:1], v3, off
.LBB158_829:
	s_mov_b64 s[6:7], 0
.LBB158_830:
	s_andn2_b64 vcc, exec, s[6:7]
	s_cbranch_vccnz .LBB158_832
; %bb.831:
	v_mov_b32_e32 v3, s23
	global_store_short v[0:1], v3, off
.LBB158_832:
	s_mov_b64 s[6:7], 0
.LBB158_833:
	s_andn2_b64 vcc, exec, s[6:7]
	s_cbranch_vccnz .LBB158_838
; %bb.834:
	v_mov_b32_e32 v3, 0
	v_cmp_gt_i16_sdwa s[8:9], s33, v3 src0_sel:BYTE_0 src1_sel:DWORD
	s_mov_b64 s[6:7], -1
	s_and_b64 vcc, exec, s[8:9]
	s_cbranch_vccz .LBB158_836
; %bb.835:
	v_mov_b32_e32 v3, s23
	global_store_byte v[0:1], v3, off
	s_mov_b64 s[6:7], 0
.LBB158_836:
	s_andn2_b64 vcc, exec, s[6:7]
	s_cbranch_vccnz .LBB158_838
; %bb.837:
	v_mov_b32_e32 v3, s23
	global_store_byte v[0:1], v3, off
.LBB158_838:
	s_branch .LBB158_674
.LBB158_839:
	s_mov_b64 s[6:7], 0
	s_mov_b64 s[8:9], 0
                                        ; implicit-def: $vgpr2
                                        ; implicit-def: $vgpr0_vgpr1
.LBB158_840:
	s_andn2_b64 s[0:1], s[0:1], exec
	s_and_b64 s[4:5], s[4:5], exec
	s_and_b64 s[6:7], s[6:7], exec
	;; [unrolled: 1-line block ×3, first 2 shown]
	s_or_b64 s[0:1], s[0:1], s[4:5]
	s_or_b64 exec, exec, s[2:3]
	s_and_saveexec_b64 s[2:3], s[0:1]
	s_cbranch_execnz .LBB158_413
.LBB158_841:
	s_or_b64 exec, exec, s[2:3]
	s_and_saveexec_b64 s[0:1], s[18:19]
	s_xor_b64 s[0:1], exec, s[0:1]
	s_cbranch_execz .LBB158_414
.LBB158_842:
	v_cmp_ne_u16_e64 s[2:3], s23, 0
	v_cndmask_b32_e64 v3, 0, 1, s[2:3]
	global_store_byte v[0:1], v3, off
	s_or_b64 exec, exec, s[0:1]
	s_and_saveexec_b64 s[0:1], s[6:7]
	s_cbranch_execz .LBB158_880
.LBB158_843:
	v_cmp_gt_i16_e32 vcc, 5, v2
	s_mov_b64 s[0:1], -1
	s_cbranch_vccnz .LBB158_864
; %bb.844:
	v_cmp_gt_i16_e32 vcc, 8, v2
	s_cbranch_vccnz .LBB158_854
; %bb.845:
	v_cmp_gt_i16_e32 vcc, 9, v2
	s_cbranch_vccnz .LBB158_851
; %bb.846:
	v_cmp_lt_i16_e32 vcc, 9, v2
	s_cbranch_vccz .LBB158_848
; %bb.847:
	s_and_b32 s0, 0xffff, s23
	v_mov_b32_e32 v6, 0
	v_cvt_f64_u32_e32 v[4:5], s0
	v_mov_b32_e32 v7, v6
	global_store_dwordx4 v[0:1], v[4:7], off
	s_mov_b64 s[0:1], 0
.LBB158_848:
	s_andn2_b64 vcc, exec, s[0:1]
	s_cbranch_vccnz .LBB158_850
; %bb.849:
	s_and_b32 s0, 0xffff, s23
	v_cvt_f32_u32_e32 v4, s0
	v_mov_b32_e32 v5, 0
	global_store_dwordx2 v[0:1], v[4:5], off
.LBB158_850:
	s_mov_b64 s[0:1], 0
.LBB158_851:
	s_andn2_b64 vcc, exec, s[0:1]
	s_cbranch_vccnz .LBB158_853
; %bb.852:
	v_cvt_f16_u16_e32 v3, s23
	global_store_dword v[0:1], v3, off
.LBB158_853:
	s_mov_b64 s[0:1], 0
.LBB158_854:
	s_andn2_b64 vcc, exec, s[0:1]
	s_cbranch_vccnz .LBB158_863
; %bb.855:
	v_cmp_gt_i16_e32 vcc, 6, v2
	s_mov_b64 s[0:1], -1
	s_cbranch_vccnz .LBB158_861
; %bb.856:
	v_cmp_lt_i16_e32 vcc, 6, v2
	s_cbranch_vccz .LBB158_858
; %bb.857:
	s_and_b32 s0, 0xffff, s23
	v_cvt_f64_u32_e32 v[4:5], s0
	global_store_dwordx2 v[0:1], v[4:5], off
	s_mov_b64 s[0:1], 0
.LBB158_858:
	s_andn2_b64 vcc, exec, s[0:1]
	s_cbranch_vccnz .LBB158_860
; %bb.859:
	s_and_b32 s0, 0xffff, s23
	v_cvt_f32_u32_e32 v3, s0
	global_store_dword v[0:1], v3, off
.LBB158_860:
	s_mov_b64 s[0:1], 0
.LBB158_861:
	s_andn2_b64 vcc, exec, s[0:1]
	s_cbranch_vccnz .LBB158_863
; %bb.862:
	v_cvt_f16_u16_e32 v3, s23
	global_store_short v[0:1], v3, off
.LBB158_863:
	s_mov_b64 s[0:1], 0
.LBB158_864:
	s_andn2_b64 vcc, exec, s[0:1]
	s_cbranch_vccnz .LBB158_880
; %bb.865:
	v_cmp_gt_i16_e32 vcc, 2, v2
	s_mov_b64 s[0:1], -1
	s_cbranch_vccnz .LBB158_875
; %bb.866:
	v_cmp_gt_i16_e32 vcc, 3, v2
	s_cbranch_vccnz .LBB158_872
; %bb.867:
	v_cmp_lt_i16_e32 vcc, 3, v2
	s_cbranch_vccz .LBB158_869
; %bb.868:
	s_and_b32 s0, s23, 0xffff
	v_mov_b32_e32 v4, s0
	v_mov_b32_e32 v5, 0
	global_store_dwordx2 v[0:1], v[4:5], off
	s_mov_b64 s[0:1], 0
.LBB158_869:
	s_andn2_b64 vcc, exec, s[0:1]
	s_cbranch_vccnz .LBB158_871
; %bb.870:
	s_and_b32 s0, 0xffff, s23
	v_mov_b32_e32 v3, s0
	global_store_dword v[0:1], v3, off
.LBB158_871:
	s_mov_b64 s[0:1], 0
.LBB158_872:
	s_andn2_b64 vcc, exec, s[0:1]
	s_cbranch_vccnz .LBB158_874
; %bb.873:
	v_mov_b32_e32 v3, s23
	global_store_short v[0:1], v3, off
.LBB158_874:
	s_mov_b64 s[0:1], 0
.LBB158_875:
	s_andn2_b64 vcc, exec, s[0:1]
	s_cbranch_vccnz .LBB158_880
; %bb.876:
	v_cmp_lt_i16_e32 vcc, 0, v2
	s_mov_b64 s[0:1], -1
	s_cbranch_vccz .LBB158_878
; %bb.877:
	v_mov_b32_e32 v2, s23
	global_store_byte v[0:1], v2, off
	s_mov_b64 s[0:1], 0
.LBB158_878:
	s_andn2_b64 vcc, exec, s[0:1]
	s_cbranch_vccnz .LBB158_880
; %bb.879:
	v_mov_b32_e32 v2, s23
	global_store_byte v[0:1], v2, off
	s_endpgm
.LBB158_880:
	s_endpgm
.LBB158_881:
	s_trap 2
	s_or_b64 s[4:5], s[4:5], exec
	s_cbranch_execz .LBB158_799
	s_branch .LBB158_800
.LBB158_882:
	s_mov_b64 s[10:11], -1
	s_mov_b64 s[8:9], 0
                                        ; implicit-def: $sgpr12
.LBB158_883:
	s_andn2_b64 vcc, exec, s[10:11]
	v_mov_b32_e32 v4, s12
                                        ; implicit-def: $sgpr10
	s_cbranch_vccnz .LBB158_885
; %bb.884:
	v_add_f32_e32 v3, 0x42800000, v3
	v_and_b32_e32 v4, 0xff, v3
	s_mov_b32 s10, 0
	v_cmp_ne_u32_e64 s[8:9], 0, v4
.LBB158_885:
	s_andn2_b64 vcc, exec, s[8:9]
	v_mov_b32_e32 v5, s10
	s_cbranch_vccnz .LBB158_887
; %bb.886:
	v_mov_b32_e32 v5, v4
.LBB158_887:
	s_mov_b64 s[8:9], 0
	global_store_byte v[0:1], v5, off
.LBB158_888:
	s_and_b64 vcc, exec, s[8:9]
	s_cbranch_vccz .LBB158_900
; %bb.889:
	s_and_b32 s8, 0xffff, s23
	v_cvt_f32_u32_e32 v3, s8
	s_mov_b32 s8, 0x43f00000
	v_cmp_gt_u32_e32 vcc, s8, v3
	v_readfirstlane_b32 s10, v3
	s_cbranch_vccz .LBB158_892
; %bb.890:
	s_cmp_gt_u32 s10, 0x3c7fffff
	s_cbranch_scc0 .LBB158_893
; %bb.891:
	s_bfe_u32 s8, s10, 0x10014
	s_add_i32 s8, s10, s8
	s_add_i32 s8, s8, 0x407ffff
	s_lshr_b32 s9, s8, 20
	s_and_b32 s8, s8, 0xff00000
	s_cmp_lg_u32 s8, 0x7f00000
	s_cselect_b32 s11, s9, 0x7e
	s_mov_b64 s[8:9], 0
	s_branch .LBB158_894
.LBB158_892:
	s_mov_b64 s[8:9], -1
                                        ; implicit-def: $vgpr4
	s_branch .LBB158_897
.LBB158_893:
	s_mov_b64 s[8:9], -1
                                        ; implicit-def: $sgpr11
.LBB158_894:
	s_andn2_b64 vcc, exec, s[8:9]
	v_mov_b32_e32 v4, s11
	s_cbranch_vccnz .LBB158_896
; %bb.895:
	v_add_f32_e32 v4, 0x46800000, v3
.LBB158_896:
	s_mov_b64 s[8:9], 0
.LBB158_897:
	s_andn2_b64 vcc, exec, s[8:9]
	s_cbranch_vccnz .LBB158_899
; %bb.898:
	s_cmp_gt_u32 s10, 0x7f800000
	s_movk_i32 s8, 0x7f
	s_cselect_b32 s8, s8, 0x7e
	v_mov_b32_e32 v4, s8
.LBB158_899:
	global_store_byte v[0:1], v4, off
.LBB158_900:
	s_mov_b64 s[8:9], 0
.LBB158_901:
	s_andn2_b64 vcc, exec, s[8:9]
	s_cbranch_vccnz .LBB158_913
; %bb.902:
	s_and_b32 s8, 0xffff, s23
	v_cvt_f32_u32_e32 v3, s8
	s_mov_b32 s8, 0x47800000
	v_cmp_gt_u32_e32 vcc, s8, v3
	v_readfirstlane_b32 s10, v3
	s_cbranch_vccz .LBB158_905
; %bb.903:
	s_cmp_gt_u32 s10, 0x387fffff
	s_cbranch_scc0 .LBB158_906
; %bb.904:
	s_bfe_u32 s8, s10, 0x10015
	s_add_i32 s8, s10, s8
	s_add_i32 s8, s8, 0x80fffff
	s_lshr_b32 s11, s8, 21
	s_mov_b64 s[8:9], 0
	s_branch .LBB158_907
.LBB158_905:
	s_mov_b64 s[8:9], -1
                                        ; implicit-def: $vgpr4
	s_branch .LBB158_910
.LBB158_906:
	s_mov_b64 s[8:9], -1
                                        ; implicit-def: $sgpr11
.LBB158_907:
	s_andn2_b64 vcc, exec, s[8:9]
	v_mov_b32_e32 v4, s11
	s_cbranch_vccnz .LBB158_909
; %bb.908:
	v_add_f32_e32 v4, 0x43000000, v3
.LBB158_909:
	s_mov_b64 s[8:9], 0
.LBB158_910:
	s_andn2_b64 vcc, exec, s[8:9]
	s_cbranch_vccnz .LBB158_912
; %bb.911:
	s_cmp_gt_u32 s10, 0x7f800000
	s_movk_i32 s8, 0x7f
	s_cselect_b32 s8, s8, 0x7c
	v_mov_b32_e32 v4, s8
.LBB158_912:
	global_store_byte v[0:1], v4, off
.LBB158_913:
	s_mov_b64 s[8:9], 0
.LBB158_914:
	s_andn2_b64 vcc, exec, s[8:9]
	s_mov_b64 s[8:9], 0
	s_cbranch_vccnz .LBB158_921
; %bb.915:
	v_cmp_lt_i16_e32 vcc, 14, v2
	s_mov_b64 s[10:11], -1
	s_cbranch_vccz .LBB158_919
; %bb.916:
	v_cmp_eq_u16_e32 vcc, 15, v2
	s_mov_b64 s[6:7], -1
	s_cbranch_vccz .LBB158_918
; %bb.917:
	s_and_b32 s6, 0xffff, s23
	v_cvt_f32_u32_e32 v3, s6
	s_mov_b64 s[6:7], 0
	v_bfe_u32 v4, v3, 16, 1
	v_add_u32_e32 v3, v3, v4
	v_add_u32_e32 v3, 0x7fff, v3
	global_store_short_d16_hi v[0:1], v3, off
.LBB158_918:
	s_mov_b64 s[10:11], 0
.LBB158_919:
	s_and_b64 vcc, exec, s[10:11]
	s_cbranch_vccz .LBB158_921
; %bb.920:
	v_cmp_ne_u16_e64 s[6:7], 11, v2
	s_mov_b64 s[8:9], -1
.LBB158_921:
	s_and_b64 vcc, exec, s[6:7]
	s_cbranch_vccnz .LBB158_923
.LBB158_922:
	s_mov_b64 s[6:7], 0
	s_branch .LBB158_840
.LBB158_923:
	s_mov_b64 s[8:9], 0
	s_or_b64 s[4:5], s[4:5], exec
	s_trap 2
	s_branch .LBB158_922
	.section	.rodata,"a",@progbits
	.p2align	6, 0x0
	.amdhsa_kernel _ZN2at6native32elementwise_kernel_manual_unrollILi128ELi4EZNS0_15gpu_kernel_implINS0_11FillFunctorItEEEEvRNS_18TensorIteratorBaseERKT_EUlibE_EEviT1_
		.amdhsa_group_segment_fixed_size 0
		.amdhsa_private_segment_fixed_size 0
		.amdhsa_kernarg_size 24
		.amdhsa_user_sgpr_count 6
		.amdhsa_user_sgpr_private_segment_buffer 1
		.amdhsa_user_sgpr_dispatch_ptr 0
		.amdhsa_user_sgpr_queue_ptr 0
		.amdhsa_user_sgpr_kernarg_segment_ptr 1
		.amdhsa_user_sgpr_dispatch_id 0
		.amdhsa_user_sgpr_flat_scratch_init 0
		.amdhsa_user_sgpr_kernarg_preload_length 0
		.amdhsa_user_sgpr_kernarg_preload_offset 0
		.amdhsa_user_sgpr_private_segment_size 0
		.amdhsa_uses_dynamic_stack 0
		.amdhsa_system_sgpr_private_segment_wavefront_offset 0
		.amdhsa_system_sgpr_workgroup_id_x 1
		.amdhsa_system_sgpr_workgroup_id_y 0
		.amdhsa_system_sgpr_workgroup_id_z 0
		.amdhsa_system_sgpr_workgroup_info 0
		.amdhsa_system_vgpr_workitem_id 0
		.amdhsa_next_free_vgpr 24
		.amdhsa_next_free_sgpr 54
		.amdhsa_accum_offset 24
		.amdhsa_reserve_vcc 1
		.amdhsa_reserve_flat_scratch 0
		.amdhsa_float_round_mode_32 0
		.amdhsa_float_round_mode_16_64 0
		.amdhsa_float_denorm_mode_32 3
		.amdhsa_float_denorm_mode_16_64 3
		.amdhsa_dx10_clamp 1
		.amdhsa_ieee_mode 1
		.amdhsa_fp16_overflow 0
		.amdhsa_tg_split 0
		.amdhsa_exception_fp_ieee_invalid_op 0
		.amdhsa_exception_fp_denorm_src 0
		.amdhsa_exception_fp_ieee_div_zero 0
		.amdhsa_exception_fp_ieee_overflow 0
		.amdhsa_exception_fp_ieee_underflow 0
		.amdhsa_exception_fp_ieee_inexact 0
		.amdhsa_exception_int_div_zero 0
	.end_amdhsa_kernel
	.section	.text._ZN2at6native32elementwise_kernel_manual_unrollILi128ELi4EZNS0_15gpu_kernel_implINS0_11FillFunctorItEEEEvRNS_18TensorIteratorBaseERKT_EUlibE_EEviT1_,"axG",@progbits,_ZN2at6native32elementwise_kernel_manual_unrollILi128ELi4EZNS0_15gpu_kernel_implINS0_11FillFunctorItEEEEvRNS_18TensorIteratorBaseERKT_EUlibE_EEviT1_,comdat
.Lfunc_end158:
	.size	_ZN2at6native32elementwise_kernel_manual_unrollILi128ELi4EZNS0_15gpu_kernel_implINS0_11FillFunctorItEEEEvRNS_18TensorIteratorBaseERKT_EUlibE_EEviT1_, .Lfunc_end158-_ZN2at6native32elementwise_kernel_manual_unrollILi128ELi4EZNS0_15gpu_kernel_implINS0_11FillFunctorItEEEEvRNS_18TensorIteratorBaseERKT_EUlibE_EEviT1_
                                        ; -- End function
	.section	.AMDGPU.csdata,"",@progbits
; Kernel info:
; codeLenInByte = 13820
; NumSgprs: 58
; NumVgprs: 24
; NumAgprs: 0
; TotalNumVgprs: 24
; ScratchSize: 0
; MemoryBound: 0
; FloatMode: 240
; IeeeMode: 1
; LDSByteSize: 0 bytes/workgroup (compile time only)
; SGPRBlocks: 7
; VGPRBlocks: 2
; NumSGPRsForWavesPerEU: 58
; NumVGPRsForWavesPerEU: 24
; AccumOffset: 24
; Occupancy: 8
; WaveLimiterHint : 0
; COMPUTE_PGM_RSRC2:SCRATCH_EN: 0
; COMPUTE_PGM_RSRC2:USER_SGPR: 6
; COMPUTE_PGM_RSRC2:TRAP_HANDLER: 0
; COMPUTE_PGM_RSRC2:TGID_X_EN: 1
; COMPUTE_PGM_RSRC2:TGID_Y_EN: 0
; COMPUTE_PGM_RSRC2:TGID_Z_EN: 0
; COMPUTE_PGM_RSRC2:TIDIG_COMP_CNT: 0
; COMPUTE_PGM_RSRC3_GFX90A:ACCUM_OFFSET: 5
; COMPUTE_PGM_RSRC3_GFX90A:TG_SPLIT: 0
	.section	.text._ZN2at6native32elementwise_kernel_manual_unrollILi128ELi4EZNS0_15gpu_kernel_implINS0_11FillFunctorItEEEEvRNS_18TensorIteratorBaseERKT_EUlibE0_EEviT1_,"axG",@progbits,_ZN2at6native32elementwise_kernel_manual_unrollILi128ELi4EZNS0_15gpu_kernel_implINS0_11FillFunctorItEEEEvRNS_18TensorIteratorBaseERKT_EUlibE0_EEviT1_,comdat
	.protected	_ZN2at6native32elementwise_kernel_manual_unrollILi128ELi4EZNS0_15gpu_kernel_implINS0_11FillFunctorItEEEEvRNS_18TensorIteratorBaseERKT_EUlibE0_EEviT1_ ; -- Begin function _ZN2at6native32elementwise_kernel_manual_unrollILi128ELi4EZNS0_15gpu_kernel_implINS0_11FillFunctorItEEEEvRNS_18TensorIteratorBaseERKT_EUlibE0_EEviT1_
	.globl	_ZN2at6native32elementwise_kernel_manual_unrollILi128ELi4EZNS0_15gpu_kernel_implINS0_11FillFunctorItEEEEvRNS_18TensorIteratorBaseERKT_EUlibE0_EEviT1_
	.p2align	8
	.type	_ZN2at6native32elementwise_kernel_manual_unrollILi128ELi4EZNS0_15gpu_kernel_implINS0_11FillFunctorItEEEEvRNS_18TensorIteratorBaseERKT_EUlibE0_EEviT1_,@function
_ZN2at6native32elementwise_kernel_manual_unrollILi128ELi4EZNS0_15gpu_kernel_implINS0_11FillFunctorItEEEEvRNS_18TensorIteratorBaseERKT_EUlibE0_EEviT1_: ; @_ZN2at6native32elementwise_kernel_manual_unrollILi128ELi4EZNS0_15gpu_kernel_implINS0_11FillFunctorItEEEEvRNS_18TensorIteratorBaseERKT_EUlibE0_EEviT1_
; %bb.0:
	s_load_dword s85, s[4:5], 0x0
	s_load_dword s33, s[4:5], 0x8
	s_or_b32 s34, s4, 8
	v_lshl_or_b32 v9, s6, 9, v0
	v_or_b32_e32 v8, 0x180, v9
	s_mov_b32 s35, s5
	s_waitcnt lgkmcnt(0)
	s_add_i32 s82, s33, -1
	s_cmp_gt_u32 s82, 1
	v_cmp_le_i32_e32 vcc, s85, v8
	s_cselect_b64 s[46:47], -1, 0
	s_mov_b64 s[44:45], 0
	s_mov_b64 s[6:7], 0
	s_and_saveexec_b64 s[0:1], vcc
	s_xor_b64 s[48:49], exec, s[0:1]
	s_cbranch_execz .LBB159_462
; %bb.1:
	s_load_dwordx2 s[58:59], s[34:35], 0xc4
	s_load_dwordx2 s[56:57], s[34:35], 0x108
	s_load_dword s83, s[34:35], 0x110
	s_cmp_lg_u32 s33, 0
	s_cselect_b64 s[66:67], -1, 0
	s_add_u32 s64, s34, 0xc4
	s_addc_u32 s65, s35, 0
	s_min_u32 s86, s82, 15
	s_cmp_gt_u32 s33, 1
	s_cselect_b64 s[60:61], -1, 0
	s_waitcnt lgkmcnt(0)
	s_and_b32 s50, s83, 0xffff
	v_cvt_f32_u32_e32 v4, s50
	s_load_dword s0, s[4:5], 0x118
	s_mov_b32 s2, 0x47800000
	v_mov_b32_e32 v3, 0x7e
	v_and_b32_e32 v1, 0x400000, v4
	v_lshrrev_b32_e32 v0, 23, v4
	v_cmp_ne_u32_e32 vcc, 0, v1
	v_and_b32_e32 v1, 0x3fffff, v4
	s_waitcnt lgkmcnt(0)
	s_lshr_b32 s84, s0, 16
	s_movk_i32 s0, 0xff
	v_or_b32_e32 v1, v0, v1
	v_cmp_eq_u32_e64 s[18:19], s0, v0
	v_cmp_ne_u32_e64 s[0:1], 0, v1
	s_and_b64 s[0:1], vcc, s[0:1]
	v_cndmask_b32_e64 v1, 0, 1, s[0:1]
	s_mov_b32 s0, 0x43800000
	v_cmp_gt_u32_e64 s[16:17], s0, v4
	s_mov_b32 s0, 0x3bffffff
	v_add_f32_e32 v21, 0x46000000, v4
	v_add_u32_e32 v22, v0, v1
	v_cmp_lt_u32_e64 s[14:15], s0, v4
	v_bfe_u32 v0, v4, 20, 1
	v_readfirstlane_b32 s0, v21
	v_add_u32_e32 v0, v4, v0
	s_and_b32 s0, s0, 0xff
	v_cmp_gt_u32_e64 s[12:13], s2, v4
	s_mov_b32 s2, 0x37ffffff
	v_add_f32_e32 v18, 0x42800000, v4
	v_add_u32_e32 v1, 0x487ffff, v0
	s_cmp_lg_u32 s0, 0
	v_cmp_lt_u32_e64 s[10:11], s2, v4
	v_readfirstlane_b32 s2, v18
	v_lshrrev_b32_e32 v20, 20, v1
	s_cselect_b64 s[54:55], -1, 0
	v_bfe_u32 v1, v4, 21, 1
	s_and_b32 s2, s2, 0xff
	v_add_u32_e32 v1, v4, v1
	s_cmp_lg_u32 s2, 0
	s_mov_b32 s2, 0x43efffff
	v_add_u32_e32 v2, 0x88fffff, v1
	v_cmp_lt_u32_e64 s[6:7], s2, v4
	s_mov_b32 s2, 0x3c800000
	v_add_u32_e32 v0, 0x407ffff, v0
	v_lshrrev_b32_e32 v17, 21, v2
	v_cmp_gt_u32_e64 s[8:9], s2, v4
	v_lshrrev_b32_e32 v2, 20, v0
	v_and_b32_e32 v0, 0xff00000, v0
	s_mov_b32 s2, 0x7f00000
	v_cmp_ne_u32_e32 vcc, s2, v0
	v_add_u32_e32 v0, 0x80fffff, v1
	s_mov_b32 s20, 0x7f800000
	s_load_dwordx4 s[28:31], s[34:35], 0x4
	s_load_dwordx2 s[62:63], s[34:35], 0x14
	v_cndmask_b32_e32 v15, v3, v2, vcc
	v_lshrrev_b32_e32 v12, 21, v0
	v_mov_b32_e32 v0, 0x7f
	v_cmp_lt_u32_e32 vcc, s20, v4
	v_mov_b32_e32 v1, 0x7c
	v_cndmask_b32_e32 v19, v3, v0, vcc
	v_cndmask_b32_e32 v14, v1, v0, vcc
	v_bfe_u32 v0, v4, 16, 1
	v_add_u32_e32 v0, v4, v0
	s_mov_b32 s0, 0x477fffff
	s_mov_b32 s2, 0x38800000
	v_add_u32_e32 v0, 0x7fff, v0
	v_cmp_ne_u16_e64 s[20:21], s83, 0
	s_mov_b32 s51, 0
	v_cmp_lt_u32_e64 s[0:1], s0, v4
	s_cselect_b64 s[52:53], -1, 0
	v_add_f32_e32 v16, 0x46800000, v4
	v_cmp_gt_u32_e64 s[2:3], s2, v4
	v_add_f32_e32 v13, 0x43000000, v4
	v_lshrrev_b32_e32 v11, 16, v0
	v_cndmask_b32_e64 v10, 0, 1, s[20:21]
	v_cvt_f64_u32_e32 v[0:1], s50
	v_cvt_f16_u16_e32 v8, s83
	v_cmp_gt_i32_e32 vcc, s85, v9
	s_mov_b64 s[22:23], -1
	s_mov_b64 s[74:75], 0
	s_mov_b64 s[68:69], 0
	s_and_saveexec_b64 s[70:71], vcc
	s_cbranch_execz .LBB159_114
; %bb.2:
	s_andn2_b64 vcc, exec, s[46:47]
	s_cbranch_vccnz .LBB159_7
; %bb.3:
	s_andn2_b64 vcc, exec, s[66:67]
	s_cbranch_vccnz .LBB159_8
; %bb.4:
	s_add_i32 s77, s86, 1
	s_mov_b32 s76, 0
	s_cmp_eq_u32 s82, 2
	v_mov_b32_e32 v2, 0
	s_cbranch_scc1 .LBB159_9
; %bb.5:
	s_and_b32 s76, s77, 28
	s_mov_b32 s78, 0
	v_mov_b32_e32 v2, 0
	s_mov_b64 s[68:69], s[34:35]
	s_mov_b64 s[72:73], s[64:65]
	v_mov_b32_e32 v5, v9
.LBB159_6:                              ; =>This Inner Loop Header: Depth=1
	s_load_dwordx8 s[20:27], s[68:69], 0x4
	s_load_dwordx4 s[36:39], s[68:69], 0x24
	s_load_dwordx4 s[40:43], s[72:73], 0x0
	s_add_u32 s68, s68, 48
	s_addc_u32 s69, s69, 0
	s_waitcnt lgkmcnt(0)
	v_mul_hi_u32 v3, s21, v5
	v_add_u32_e32 v3, v5, v3
	v_lshrrev_b32_e32 v3, s22, v3
	v_mul_lo_u32 v6, v3, s20
	v_mul_hi_u32 v7, s24, v3
	v_sub_u32_e32 v5, v5, v6
	v_add_u32_e32 v6, v3, v7
	v_lshrrev_b32_e32 v6, s25, v6
	v_mul_lo_u32 v7, v6, s23
	v_mul_hi_u32 v23, s27, v6
	v_sub_u32_e32 v3, v3, v7
	v_add_u32_e32 v7, v6, v23
	v_mul_lo_u32 v5, v5, s40
	v_mul_lo_u32 v3, v3, s41
	v_lshrrev_b32_e32 v7, s36, v7
	v_add3_u32 v2, v5, v2, v3
	v_mul_hi_u32 v5, s38, v7
	v_add_u32_e32 v5, v7, v5
	v_mul_lo_u32 v3, v7, s26
	v_lshrrev_b32_e32 v5, s39, v5
	s_add_i32 s78, s78, 4
	v_sub_u32_e32 v3, v6, v3
	v_mul_lo_u32 v6, v5, s37
	s_add_u32 s72, s72, 16
	v_sub_u32_e32 v6, v7, v6
	s_addc_u32 s73, s73, 0
	v_mul_lo_u32 v3, v3, s42
	v_mul_lo_u32 v6, v6, s43
	s_cmp_lg_u32 s76, s78
	v_add3_u32 v2, v3, v2, v6
	s_cbranch_scc1 .LBB159_6
	s_branch .LBB159_10
.LBB159_7:
                                        ; implicit-def: $vgpr2
	s_branch .LBB159_14
.LBB159_8:
	v_mov_b32_e32 v2, 0
	s_branch .LBB159_13
.LBB159_9:
	v_mov_b32_e32 v5, v9
.LBB159_10:
	s_and_b32 s24, s77, 3
	s_cmp_eq_u32 s24, 0
	s_cbranch_scc1 .LBB159_13
; %bb.11:
	s_lshl_b32 s20, s76, 2
	s_add_u32 s20, s20, s34
	s_addc_u32 s21, s35, 0
	s_add_u32 s20, s20, 0xc4
	s_addc_u32 s21, s21, 0
	s_mul_i32 s22, s76, 12
	s_add_u32 s22, s34, s22
	s_addc_u32 s23, s35, 0
.LBB159_12:                             ; =>This Inner Loop Header: Depth=1
	s_load_dwordx2 s[26:27], s[22:23], 0x4
	s_load_dword s25, s[22:23], 0xc
	s_load_dword s36, s[20:21], 0x0
	s_add_u32 s22, s22, 12
	s_addc_u32 s23, s23, 0
	s_waitcnt lgkmcnt(0)
	v_mul_hi_u32 v3, s27, v5
	v_add_u32_e32 v3, v5, v3
	v_lshrrev_b32_e32 v3, s25, v3
	s_add_u32 s20, s20, 4
	v_mul_lo_u32 v6, v3, s26
	s_addc_u32 s21, s21, 0
	s_add_i32 s24, s24, -1
	v_sub_u32_e32 v6, v5, v6
	s_cmp_lg_u32 s24, 0
	v_mov_b32_e32 v5, v3
	v_mad_u64_u32 v[2:3], s[26:27], v6, s36, v[2:3]
	s_cbranch_scc1 .LBB159_12
.LBB159_13:
	s_cbranch_execnz .LBB159_16
.LBB159_14:
	s_waitcnt lgkmcnt(0)
	v_mul_hi_u32 v2, s29, v9
	v_add_u32_e32 v2, v9, v2
	v_lshrrev_b32_e32 v3, s30, v2
	v_mul_lo_u32 v2, v3, s28
	v_sub_u32_e32 v2, v9, v2
	s_andn2_b64 vcc, exec, s[60:61]
	v_mul_lo_u32 v2, v2, s58
	s_cbranch_vccnz .LBB159_16
; %bb.15:
	v_mul_hi_u32 v5, s62, v3
	v_add_u32_e32 v5, v3, v5
	v_lshrrev_b32_e32 v5, s63, v5
	v_mul_lo_u32 v5, v5, s31
	v_sub_u32_e32 v3, v3, v5
	v_mad_u64_u32 v[2:3], s[20:21], v3, s59, v[2:3]
.LBB159_16:
	v_mov_b32_e32 v3, s57
	v_add_co_u32_e32 v6, vcc, s56, v2
	v_mov_b32_e32 v2, 11
	v_addc_co_u32_e32 v7, vcc, 0, v3, vcc
	v_cmp_lt_i16_sdwa s[20:21], s84, v2 src0_sel:BYTE_0 src1_sel:DWORD
	s_and_b64 vcc, exec, s[20:21]
	s_cbranch_vccnz .LBB159_23
; %bb.17:
	v_mov_b32_e32 v2, 25
	v_cmp_gt_i16_sdwa s[20:21], s84, v2 src0_sel:BYTE_0 src1_sel:DWORD
	s_and_b64 vcc, exec, s[20:21]
	s_cbranch_vccz .LBB159_26
; %bb.18:
	v_mov_b32_e32 v2, 28
	v_cmp_gt_i16_sdwa s[20:21], s84, v2 src0_sel:BYTE_0 src1_sel:DWORD
	s_and_b64 vcc, exec, s[20:21]
	s_cbranch_vccz .LBB159_27
	;; [unrolled: 5-line block ×4, first 2 shown]
; %bb.21:
	v_mov_b32_e32 v2, 46
	v_cmp_eq_u16_sdwa s[22:23], s84, v2 src0_sel:BYTE_0 src1_sel:DWORD
	s_mov_b64 s[24:25], 0
	s_mov_b64 s[20:21], -1
	s_and_b64 vcc, exec, s[22:23]
	s_mov_b64 s[22:23], 0
	s_cbranch_vccz .LBB159_30
; %bb.22:
	global_store_dword v[6:7], v11, off
	s_mov_b64 s[22:23], -1
	s_mov_b64 s[20:21], 0
	s_branch .LBB159_30
.LBB159_23:
	s_mov_b64 s[20:21], 0
	s_mov_b64 s[22:23], 0
	s_cbranch_execnz .LBB159_74
.LBB159_24:
	s_andn2_b64 vcc, exec, s[22:23]
	s_cbranch_vccnz .LBB159_112
.LBB159_25:
	v_add_u32_e32 v9, 0x80, v9
	s_mov_b64 s[22:23], -1
	s_branch .LBB159_113
.LBB159_26:
	s_mov_b64 s[20:21], 0
	s_mov_b64 s[22:23], 0
	s_cbranch_execnz .LBB159_52
	s_branch .LBB159_73
.LBB159_27:
	s_mov_b64 s[24:25], -1
	s_mov_b64 s[20:21], 0
	s_mov_b64 s[22:23], 0
	s_branch .LBB159_38
.LBB159_28:
	s_mov_b64 s[24:25], -1
	s_mov_b64 s[20:21], 0
	s_mov_b64 s[22:23], 0
	s_branch .LBB159_34
.LBB159_29:
	s_mov_b64 s[24:25], -1
	s_mov_b64 s[20:21], 0
	s_mov_b64 s[22:23], 0
.LBB159_30:
	s_and_b64 vcc, exec, s[24:25]
	s_cbranch_vccz .LBB159_33
; %bb.31:
	v_mov_b32_e32 v2, 44
	v_cmp_eq_u16_sdwa s[24:25], s84, v2 src0_sel:BYTE_0 src1_sel:DWORD
	s_mov_b64 s[20:21], -1
	s_and_b64 vcc, exec, s[24:25]
	s_cbranch_vccz .LBB159_33
; %bb.32:
	v_mov_b32_e32 v2, 0xff
	v_cndmask_b32_e64 v2, v22, v2, s[18:19]
	global_store_byte v[6:7], v2, off
	s_mov_b64 s[22:23], -1
	s_mov_b64 s[20:21], 0
.LBB159_33:
	s_mov_b64 s[24:25], 0
.LBB159_34:
	s_and_b64 vcc, exec, s[24:25]
	s_cbranch_vccz .LBB159_37
; %bb.35:
	v_mov_b32_e32 v2, 29
	v_cmp_eq_u16_sdwa s[24:25], s84, v2 src0_sel:BYTE_0 src1_sel:DWORD
	s_mov_b64 s[20:21], -1
	s_and_b64 vcc, exec, s[24:25]
	s_cbranch_vccz .LBB159_37
; %bb.36:
	v_pk_mov_b32 v[2:3], s[50:51], s[50:51] op_sel:[0,1]
	global_store_dwordx2 v[6:7], v[2:3], off
	s_mov_b64 s[22:23], -1
	s_mov_b64 s[20:21], 0
.LBB159_37:
	s_mov_b64 s[24:25], 0
.LBB159_38:
	s_and_b64 vcc, exec, s[24:25]
	s_cbranch_vccz .LBB159_51
; %bb.39:
	v_mov_b32_e32 v2, 27
	v_cmp_lt_i16_sdwa s[24:25], s84, v2 src0_sel:BYTE_0 src1_sel:DWORD
	s_mov_b64 s[22:23], -1
	s_and_b64 vcc, exec, s[24:25]
	s_cbranch_vccnz .LBB159_45
; %bb.40:
	v_cmp_gt_i16_sdwa s[24:25], s84, v2 src0_sel:BYTE_0 src1_sel:DWORD
	s_and_b64 vcc, exec, s[24:25]
	s_cbranch_vccz .LBB159_42
; %bb.41:
	v_mov_b32_e32 v2, s50
	s_mov_b64 s[22:23], 0
	global_store_dword v[6:7], v2, off
.LBB159_42:
	s_andn2_b64 vcc, exec, s[22:23]
	s_cbranch_vccnz .LBB159_44
; %bb.43:
	v_mov_b32_e32 v2, s83
	global_store_short v[6:7], v2, off
.LBB159_44:
	s_mov_b64 s[22:23], 0
.LBB159_45:
	s_andn2_b64 vcc, exec, s[22:23]
	s_cbranch_vccnz .LBB159_50
; %bb.46:
	s_andn2_b64 vcc, exec, s[16:17]
	v_mov_b32_e32 v2, 0x80
	s_cbranch_vccnz .LBB159_49
; %bb.47:
	s_or_b64 s[22:23], s[14:15], s[54:55]
	s_andn2_b64 vcc, exec, s[22:23]
	v_mov_b32_e32 v2, 0
	s_cbranch_vccnz .LBB159_49
; %bb.48:
	v_cndmask_b32_e64 v2, v21, v20, s[14:15]
.LBB159_49:
	global_store_byte v[6:7], v2, off
.LBB159_50:
	s_mov_b64 s[22:23], -1
.LBB159_51:
	s_branch .LBB159_73
.LBB159_52:
	v_mov_b32_e32 v2, 22
	v_cmp_gt_i16_sdwa s[26:27], s84, v2 src0_sel:BYTE_0 src1_sel:DWORD
	s_mov_b64 s[24:25], -1
	s_and_b64 vcc, exec, s[26:27]
	s_cbranch_vccz .LBB159_65
; %bb.53:
	v_mov_b32_e32 v2, 24
	v_cmp_lt_i16_sdwa s[24:25], s84, v2 src0_sel:BYTE_0 src1_sel:DWORD
	s_mov_b64 s[22:23], -1
	s_and_b64 vcc, exec, s[24:25]
	s_cbranch_vccnz .LBB159_62
; %bb.54:
	v_cmp_gt_i16_sdwa s[24:25], s84, v2 src0_sel:BYTE_0 src1_sel:DWORD
	s_and_b64 vcc, exec, s[24:25]
	s_cbranch_vccz .LBB159_59
; %bb.55:
	s_andn2_b64 vcc, exec, s[12:13]
	v_mov_b32_e32 v2, 0x80
	s_cbranch_vccnz .LBB159_58
; %bb.56:
	s_or_b64 s[22:23], s[10:11], s[52:53]
	s_andn2_b64 vcc, exec, s[22:23]
	v_mov_b32_e32 v2, 0
	s_cbranch_vccnz .LBB159_58
; %bb.57:
	v_cndmask_b32_e64 v2, v18, v17, s[10:11]
.LBB159_58:
	s_mov_b64 s[22:23], 0
	global_store_byte v[6:7], v2, off
.LBB159_59:
	s_and_b64 vcc, exec, s[22:23]
	s_cbranch_vccz .LBB159_61
; %bb.60:
	v_cndmask_b32_e64 v2, v15, v16, s[8:9]
	v_cndmask_b32_e64 v2, v2, v19, s[6:7]
	global_store_byte v[6:7], v2, off
.LBB159_61:
	s_mov_b64 s[22:23], 0
.LBB159_62:
	s_andn2_b64 vcc, exec, s[22:23]
	s_cbranch_vccnz .LBB159_64
; %bb.63:
	v_cndmask_b32_e64 v2, v12, v13, s[2:3]
	v_cndmask_b32_e64 v2, v2, v14, s[0:1]
	global_store_byte v[6:7], v2, off
.LBB159_64:
	s_mov_b64 s[24:25], 0
	s_mov_b64 s[22:23], -1
.LBB159_65:
	s_andn2_b64 vcc, exec, s[24:25]
	s_cbranch_vccnz .LBB159_73
; %bb.66:
	v_mov_b32_e32 v2, 14
	v_cmp_gt_i16_sdwa s[26:27], s84, v2 src0_sel:BYTE_0 src1_sel:DWORD
	s_mov_b64 s[24:25], -1
	s_and_b64 vcc, exec, s[26:27]
	s_cbranch_vccz .LBB159_70
; %bb.67:
	v_mov_b32_e32 v2, 15
	v_cmp_eq_u16_sdwa s[24:25], s84, v2 src0_sel:BYTE_0 src1_sel:DWORD
	s_mov_b64 s[20:21], -1
	s_and_b64 vcc, exec, s[24:25]
	s_cbranch_vccz .LBB159_69
; %bb.68:
	global_store_short v[6:7], v11, off
	s_mov_b64 s[22:23], -1
	s_mov_b64 s[20:21], 0
.LBB159_69:
	s_mov_b64 s[24:25], 0
.LBB159_70:
	s_and_b64 vcc, exec, s[24:25]
	s_cbranch_vccz .LBB159_73
; %bb.71:
	v_mov_b32_e32 v2, 11
	v_cmp_eq_u16_sdwa s[24:25], s84, v2 src0_sel:BYTE_0 src1_sel:DWORD
	s_mov_b64 s[20:21], -1
	s_and_b64 vcc, exec, s[24:25]
	s_cbranch_vccz .LBB159_73
; %bb.72:
	s_mov_b64 s[22:23], -1
	s_mov_b64 s[20:21], 0
	global_store_byte v[6:7], v10, off
.LBB159_73:
	s_branch .LBB159_24
.LBB159_74:
	v_mov_b32_e32 v2, 5
	v_cmp_lt_i16_sdwa s[24:25], s84, v2 src0_sel:BYTE_0 src1_sel:DWORD
	s_mov_b64 s[22:23], -1
	s_and_b64 vcc, exec, s[24:25]
	s_cbranch_vccnz .LBB159_95
; %bb.75:
	v_mov_b32_e32 v2, 8
	v_cmp_lt_i16_sdwa s[24:25], s84, v2 src0_sel:BYTE_0 src1_sel:DWORD
	s_and_b64 vcc, exec, s[24:25]
	s_cbranch_vccnz .LBB159_85
; %bb.76:
	v_mov_b32_e32 v2, 9
	v_cmp_lt_i16_sdwa s[24:25], s84, v2 src0_sel:BYTE_0 src1_sel:DWORD
	s_and_b64 vcc, exec, s[24:25]
	s_cbranch_vccnz .LBB159_82
; %bb.77:
	v_cmp_gt_i16_sdwa s[24:25], s84, v2 src0_sel:BYTE_0 src1_sel:DWORD
	s_and_b64 vcc, exec, s[24:25]
	s_cbranch_vccz .LBB159_79
; %bb.78:
	v_mov_b32_e32 v2, 0
	v_mov_b32_e32 v3, v2
	global_store_dwordx4 v[6:7], v[0:3], off
	s_mov_b64 s[22:23], 0
.LBB159_79:
	s_andn2_b64 vcc, exec, s[22:23]
	s_cbranch_vccnz .LBB159_81
; %bb.80:
	v_mov_b32_e32 v5, 0
	global_store_dwordx2 v[6:7], v[4:5], off
.LBB159_81:
	s_mov_b64 s[22:23], 0
.LBB159_82:
	s_andn2_b64 vcc, exec, s[22:23]
	s_cbranch_vccnz .LBB159_84
; %bb.83:
	global_store_dword v[6:7], v8, off
.LBB159_84:
	s_mov_b64 s[22:23], 0
.LBB159_85:
	s_andn2_b64 vcc, exec, s[22:23]
	s_cbranch_vccnz .LBB159_94
; %bb.86:
	v_mov_b32_e32 v2, 6
	v_cmp_lt_i16_sdwa s[24:25], s84, v2 src0_sel:BYTE_0 src1_sel:DWORD
	s_mov_b64 s[22:23], -1
	s_and_b64 vcc, exec, s[24:25]
	s_cbranch_vccnz .LBB159_92
; %bb.87:
	v_cmp_gt_i16_sdwa s[24:25], s84, v2 src0_sel:BYTE_0 src1_sel:DWORD
	s_and_b64 vcc, exec, s[24:25]
	s_cbranch_vccz .LBB159_89
; %bb.88:
	global_store_dwordx2 v[6:7], v[0:1], off
	s_mov_b64 s[22:23], 0
.LBB159_89:
	s_andn2_b64 vcc, exec, s[22:23]
	s_cbranch_vccnz .LBB159_91
; %bb.90:
	global_store_dword v[6:7], v4, off
.LBB159_91:
	s_mov_b64 s[22:23], 0
.LBB159_92:
	s_andn2_b64 vcc, exec, s[22:23]
	s_cbranch_vccnz .LBB159_94
; %bb.93:
	global_store_short v[6:7], v8, off
.LBB159_94:
	s_mov_b64 s[22:23], 0
.LBB159_95:
	s_andn2_b64 vcc, exec, s[22:23]
	s_cbranch_vccnz .LBB159_111
; %bb.96:
	v_mov_b32_e32 v2, 2
	v_cmp_lt_i16_sdwa s[24:25], s84, v2 src0_sel:BYTE_0 src1_sel:DWORD
	s_mov_b64 s[22:23], -1
	s_and_b64 vcc, exec, s[24:25]
	s_cbranch_vccnz .LBB159_106
; %bb.97:
	v_mov_b32_e32 v2, 3
	v_cmp_lt_i16_sdwa s[24:25], s84, v2 src0_sel:BYTE_0 src1_sel:DWORD
	s_and_b64 vcc, exec, s[24:25]
	s_cbranch_vccnz .LBB159_103
; %bb.98:
	v_cmp_gt_i16_sdwa s[24:25], s84, v2 src0_sel:BYTE_0 src1_sel:DWORD
	s_and_b64 vcc, exec, s[24:25]
	s_cbranch_vccz .LBB159_100
; %bb.99:
	v_pk_mov_b32 v[2:3], s[50:51], s[50:51] op_sel:[0,1]
	global_store_dwordx2 v[6:7], v[2:3], off
	s_mov_b64 s[22:23], 0
.LBB159_100:
	s_andn2_b64 vcc, exec, s[22:23]
	s_cbranch_vccnz .LBB159_102
; %bb.101:
	v_mov_b32_e32 v2, s50
	global_store_dword v[6:7], v2, off
.LBB159_102:
	s_mov_b64 s[22:23], 0
.LBB159_103:
	s_andn2_b64 vcc, exec, s[22:23]
	s_cbranch_vccnz .LBB159_105
; %bb.104:
	v_mov_b32_e32 v2, s83
	global_store_short v[6:7], v2, off
.LBB159_105:
	s_mov_b64 s[22:23], 0
.LBB159_106:
	s_andn2_b64 vcc, exec, s[22:23]
	s_cbranch_vccnz .LBB159_111
; %bb.107:
	v_mov_b32_e32 v2, 0
	v_cmp_gt_i16_sdwa s[24:25], s84, v2 src0_sel:BYTE_0 src1_sel:DWORD
	s_mov_b64 s[22:23], -1
	s_and_b64 vcc, exec, s[24:25]
	s_cbranch_vccz .LBB159_109
; %bb.108:
	v_mov_b32_e32 v2, s83
	global_store_byte v[6:7], v2, off
	s_mov_b64 s[22:23], 0
.LBB159_109:
	s_andn2_b64 vcc, exec, s[22:23]
	s_cbranch_vccnz .LBB159_111
; %bb.110:
	v_mov_b32_e32 v2, s83
	global_store_byte v[6:7], v2, off
.LBB159_111:
	s_branch .LBB159_25
.LBB159_112:
	s_mov_b64 s[22:23], 0
                                        ; implicit-def: $vgpr9
.LBB159_113:
	s_and_b64 s[68:69], s[20:21], exec
	s_orn2_b64 s[22:23], s[22:23], exec
.LBB159_114:
	s_or_b64 exec, exec, s[70:71]
	s_mov_b64 s[20:21], 0
                                        ; implicit-def: $vgpr23
                                        ; implicit-def: $vgpr6_vgpr7
	s_and_saveexec_b64 s[70:71], s[22:23]
	s_cbranch_execz .LBB159_121
; %bb.115:
	v_cmp_gt_i32_e32 vcc, s85, v9
	s_mov_b64 s[20:21], -1
	s_mov_b64 s[72:73], s[68:69]
	s_and_saveexec_b64 s[74:75], vcc
	s_cbranch_execz .LBB159_232
; %bb.116:
	s_andn2_b64 vcc, exec, s[46:47]
	s_cbranch_vccnz .LBB159_124
; %bb.117:
	s_andn2_b64 vcc, exec, s[66:67]
	s_cbranch_vccnz .LBB159_125
; %bb.118:
	s_add_i32 s79, s86, 1
	s_mov_b32 s78, 0
	s_cmp_eq_u32 s82, 2
	v_mov_b32_e32 v2, 0
	s_cbranch_scc1 .LBB159_126
; %bb.119:
	s_and_b32 s78, s79, 28
	s_mov_b32 s80, 0
	v_mov_b32_e32 v2, 0
	s_mov_b64 s[72:73], s[34:35]
	s_mov_b64 s[76:77], s[64:65]
	v_mov_b32_e32 v5, v9
.LBB159_120:                            ; =>This Inner Loop Header: Depth=1
	s_load_dwordx8 s[20:27], s[72:73], 0x4
	s_load_dwordx4 s[36:39], s[72:73], 0x24
	s_load_dwordx4 s[40:43], s[76:77], 0x0
	s_add_u32 s72, s72, 48
	s_addc_u32 s73, s73, 0
	s_waitcnt lgkmcnt(0)
	v_mul_hi_u32 v3, s21, v5
	v_add_u32_e32 v3, v5, v3
	v_lshrrev_b32_e32 v3, s22, v3
	v_mul_lo_u32 v6, v3, s20
	v_mul_hi_u32 v7, s24, v3
	v_sub_u32_e32 v5, v5, v6
	v_add_u32_e32 v6, v3, v7
	v_lshrrev_b32_e32 v6, s25, v6
	v_mul_lo_u32 v7, v6, s23
	v_mul_hi_u32 v23, s27, v6
	v_sub_u32_e32 v3, v3, v7
	v_add_u32_e32 v7, v6, v23
	v_mul_lo_u32 v5, v5, s40
	v_mul_lo_u32 v3, v3, s41
	v_lshrrev_b32_e32 v7, s36, v7
	v_add3_u32 v2, v5, v2, v3
	v_mul_hi_u32 v5, s38, v7
	v_add_u32_e32 v5, v7, v5
	v_mul_lo_u32 v3, v7, s26
	v_lshrrev_b32_e32 v5, s39, v5
	s_add_i32 s80, s80, 4
	v_sub_u32_e32 v3, v6, v3
	v_mul_lo_u32 v6, v5, s37
	s_add_u32 s76, s76, 16
	v_sub_u32_e32 v6, v7, v6
	s_addc_u32 s77, s77, 0
	v_mul_lo_u32 v3, v3, s42
	v_mul_lo_u32 v6, v6, s43
	s_cmp_eq_u32 s78, s80
	v_add3_u32 v2, v3, v2, v6
	s_cbranch_scc0 .LBB159_120
	s_branch .LBB159_127
.LBB159_121:
	s_or_b64 exec, exec, s[70:71]
	s_mov_b64 s[0:1], 0
	s_and_saveexec_b64 s[2:3], s[68:69]
	s_cbranch_execnz .LBB159_422
.LBB159_122:
	s_or_b64 exec, exec, s[2:3]
	s_and_saveexec_b64 s[2:3], s[74:75]
	s_xor_b64 s[2:3], exec, s[2:3]
	s_cbranch_execz .LBB159_423
.LBB159_123:
	global_store_byte v[6:7], v10, off
	s_or_b64 exec, exec, s[2:3]
	s_and_saveexec_b64 s[2:3], s[20:21]
	s_xor_b64 s[2:3], exec, s[2:3]
	s_cbranch_execz .LBB159_461
	s_branch .LBB159_424
.LBB159_124:
                                        ; implicit-def: $vgpr2
	s_andn2_b64 vcc, exec, s[20:21]
	s_cbranch_vccz .LBB159_131
	s_branch .LBB159_133
.LBB159_125:
	v_mov_b32_e32 v2, 0
	s_branch .LBB159_130
.LBB159_126:
	v_mov_b32_e32 v5, v9
.LBB159_127:
	s_and_b32 s24, s79, 3
	s_cmp_eq_u32 s24, 0
	s_cbranch_scc1 .LBB159_130
; %bb.128:
	s_lshl_b32 s20, s78, 2
	s_add_u32 s20, s20, s34
	s_addc_u32 s21, s35, 0
	s_add_u32 s20, s20, 0xc4
	s_addc_u32 s21, s21, 0
	s_mul_i32 s22, s78, 12
	s_add_u32 s22, s34, s22
	s_addc_u32 s23, s35, 0
.LBB159_129:                            ; =>This Inner Loop Header: Depth=1
	s_load_dwordx2 s[26:27], s[22:23], 0x4
	s_load_dword s25, s[22:23], 0xc
	s_load_dword s36, s[20:21], 0x0
	s_add_u32 s22, s22, 12
	s_addc_u32 s23, s23, 0
	s_waitcnt lgkmcnt(0)
	v_mul_hi_u32 v3, s27, v5
	v_add_u32_e32 v3, v5, v3
	v_lshrrev_b32_e32 v3, s25, v3
	s_add_u32 s20, s20, 4
	v_mul_lo_u32 v6, v3, s26
	s_addc_u32 s21, s21, 0
	s_add_i32 s24, s24, -1
	v_sub_u32_e32 v6, v5, v6
	s_cmp_lg_u32 s24, 0
	v_mov_b32_e32 v5, v3
	v_mad_u64_u32 v[2:3], s[26:27], v6, s36, v[2:3]
	s_cbranch_scc1 .LBB159_129
.LBB159_130:
	s_cbranch_execnz .LBB159_133
.LBB159_131:
	s_waitcnt lgkmcnt(0)
	v_mul_hi_u32 v2, s29, v9
	v_add_u32_e32 v2, v9, v2
	v_lshrrev_b32_e32 v3, s30, v2
	v_mul_lo_u32 v2, v3, s28
	v_sub_u32_e32 v2, v9, v2
	s_andn2_b64 vcc, exec, s[60:61]
	v_mul_lo_u32 v2, v2, s58
	s_cbranch_vccnz .LBB159_133
; %bb.132:
	v_mul_hi_u32 v5, s62, v3
	v_add_u32_e32 v5, v3, v5
	v_lshrrev_b32_e32 v5, s63, v5
	v_mul_lo_u32 v5, v5, s31
	v_sub_u32_e32 v3, v3, v5
	v_mad_u64_u32 v[2:3], s[20:21], v3, s59, v[2:3]
.LBB159_133:
	v_mov_b32_e32 v3, s57
	v_add_co_u32_e32 v6, vcc, s56, v2
	v_mov_b32_e32 v2, 11
	v_addc_co_u32_e32 v7, vcc, 0, v3, vcc
	v_cmp_lt_i16_sdwa s[20:21], s84, v2 src0_sel:BYTE_0 src1_sel:DWORD
	s_and_b64 vcc, exec, s[20:21]
	s_cbranch_vccnz .LBB159_140
; %bb.134:
	v_mov_b32_e32 v2, 25
	v_cmp_gt_i16_sdwa s[20:21], s84, v2 src0_sel:BYTE_0 src1_sel:DWORD
	s_and_b64 vcc, exec, s[20:21]
	s_cbranch_vccz .LBB159_143
; %bb.135:
	v_mov_b32_e32 v2, 28
	v_cmp_gt_i16_sdwa s[20:21], s84, v2 src0_sel:BYTE_0 src1_sel:DWORD
	s_and_b64 vcc, exec, s[20:21]
	s_cbranch_vccz .LBB159_144
	;; [unrolled: 5-line block ×4, first 2 shown]
; %bb.138:
	v_mov_b32_e32 v2, 46
	v_cmp_eq_u16_sdwa s[22:23], s84, v2 src0_sel:BYTE_0 src1_sel:DWORD
	s_mov_b64 s[24:25], 0
	s_mov_b64 s[20:21], -1
	s_and_b64 vcc, exec, s[22:23]
	s_mov_b64 s[22:23], 0
	s_cbranch_vccz .LBB159_147
; %bb.139:
	global_store_dword v[6:7], v11, off
	s_mov_b64 s[22:23], -1
	s_mov_b64 s[20:21], 0
	s_branch .LBB159_147
.LBB159_140:
	s_mov_b64 s[22:23], 0
	s_mov_b64 s[20:21], s[68:69]
	s_cbranch_execnz .LBB159_192
.LBB159_141:
	s_andn2_b64 vcc, exec, s[22:23]
	s_cbranch_vccnz .LBB159_230
.LBB159_142:
	v_add_u32_e32 v9, 0x80, v9
	s_mov_b64 s[22:23], -1
	s_branch .LBB159_231
.LBB159_143:
	s_mov_b64 s[24:25], -1
	s_mov_b64 s[22:23], 0
	s_mov_b64 s[20:21], s[68:69]
	s_branch .LBB159_169
.LBB159_144:
	s_mov_b64 s[24:25], -1
	s_mov_b64 s[22:23], 0
	s_mov_b64 s[20:21], s[68:69]
	s_branch .LBB159_155
.LBB159_145:
	s_mov_b64 s[24:25], -1
	s_mov_b64 s[22:23], 0
	s_mov_b64 s[20:21], s[68:69]
	s_branch .LBB159_151
.LBB159_146:
	s_mov_b64 s[24:25], -1
	s_mov_b64 s[22:23], 0
	s_mov_b64 s[20:21], s[68:69]
.LBB159_147:
	s_and_b64 vcc, exec, s[24:25]
	s_cbranch_vccz .LBB159_150
; %bb.148:
	v_mov_b32_e32 v2, 44
	v_cmp_eq_u16_sdwa s[24:25], s84, v2 src0_sel:BYTE_0 src1_sel:DWORD
	s_mov_b64 s[20:21], -1
	s_and_b64 vcc, exec, s[24:25]
	s_cbranch_vccz .LBB159_150
; %bb.149:
	v_mov_b32_e32 v2, 0xff
	v_cndmask_b32_e64 v2, v22, v2, s[18:19]
	s_mov_b64 s[22:23], -1
	s_mov_b64 s[20:21], 0
	global_store_byte v[6:7], v2, off
.LBB159_150:
	s_mov_b64 s[24:25], 0
.LBB159_151:
	s_and_b64 vcc, exec, s[24:25]
	s_cbranch_vccz .LBB159_154
; %bb.152:
	v_mov_b32_e32 v2, 29
	v_cmp_eq_u16_sdwa s[24:25], s84, v2 src0_sel:BYTE_0 src1_sel:DWORD
	s_mov_b64 s[20:21], -1
	s_and_b64 vcc, exec, s[24:25]
	s_cbranch_vccz .LBB159_154
; %bb.153:
	v_pk_mov_b32 v[2:3], s[50:51], s[50:51] op_sel:[0,1]
	global_store_dwordx2 v[6:7], v[2:3], off
	s_mov_b64 s[22:23], -1
	s_mov_b64 s[20:21], 0
.LBB159_154:
	s_mov_b64 s[24:25], 0
.LBB159_155:
	s_and_b64 vcc, exec, s[24:25]
	s_cbranch_vccz .LBB159_168
; %bb.156:
	v_mov_b32_e32 v2, 27
	v_cmp_lt_i16_sdwa s[24:25], s84, v2 src0_sel:BYTE_0 src1_sel:DWORD
	s_mov_b64 s[22:23], -1
	s_and_b64 vcc, exec, s[24:25]
	s_cbranch_vccnz .LBB159_162
; %bb.157:
	v_cmp_gt_i16_sdwa s[24:25], s84, v2 src0_sel:BYTE_0 src1_sel:DWORD
	s_and_b64 vcc, exec, s[24:25]
	s_cbranch_vccz .LBB159_159
; %bb.158:
	v_mov_b32_e32 v2, s50
	s_mov_b64 s[22:23], 0
	global_store_dword v[6:7], v2, off
.LBB159_159:
	s_andn2_b64 vcc, exec, s[22:23]
	s_cbranch_vccnz .LBB159_161
; %bb.160:
	v_mov_b32_e32 v2, s83
	global_store_short v[6:7], v2, off
.LBB159_161:
	s_mov_b64 s[22:23], 0
.LBB159_162:
	s_andn2_b64 vcc, exec, s[22:23]
	s_cbranch_vccnz .LBB159_167
; %bb.163:
	s_andn2_b64 vcc, exec, s[16:17]
	v_mov_b32_e32 v2, 0x80
	s_cbranch_vccnz .LBB159_166
; %bb.164:
	s_or_b64 s[22:23], s[14:15], s[54:55]
	s_andn2_b64 vcc, exec, s[22:23]
	v_mov_b32_e32 v2, 0
	s_cbranch_vccnz .LBB159_166
; %bb.165:
	v_cndmask_b32_e64 v2, v21, v20, s[14:15]
.LBB159_166:
	global_store_byte v[6:7], v2, off
.LBB159_167:
	s_mov_b64 s[22:23], -1
.LBB159_168:
	s_mov_b64 s[24:25], 0
.LBB159_169:
	s_and_b64 vcc, exec, s[24:25]
	s_cbranch_vccz .LBB159_191
; %bb.170:
	v_mov_b32_e32 v2, 22
	v_cmp_gt_i16_sdwa s[26:27], s84, v2 src0_sel:BYTE_0 src1_sel:DWORD
	s_mov_b64 s[24:25], -1
	s_and_b64 vcc, exec, s[26:27]
	s_cbranch_vccz .LBB159_183
; %bb.171:
	v_mov_b32_e32 v2, 24
	v_cmp_lt_i16_sdwa s[24:25], s84, v2 src0_sel:BYTE_0 src1_sel:DWORD
	s_mov_b64 s[22:23], -1
	s_and_b64 vcc, exec, s[24:25]
	s_cbranch_vccnz .LBB159_180
; %bb.172:
	v_cmp_gt_i16_sdwa s[24:25], s84, v2 src0_sel:BYTE_0 src1_sel:DWORD
	s_and_b64 vcc, exec, s[24:25]
	s_cbranch_vccz .LBB159_177
; %bb.173:
	s_andn2_b64 vcc, exec, s[12:13]
	v_mov_b32_e32 v2, 0x80
	s_cbranch_vccnz .LBB159_176
; %bb.174:
	s_or_b64 s[22:23], s[10:11], s[52:53]
	s_andn2_b64 vcc, exec, s[22:23]
	v_mov_b32_e32 v2, 0
	s_cbranch_vccnz .LBB159_176
; %bb.175:
	v_cndmask_b32_e64 v2, v18, v17, s[10:11]
.LBB159_176:
	s_mov_b64 s[22:23], 0
	global_store_byte v[6:7], v2, off
.LBB159_177:
	s_and_b64 vcc, exec, s[22:23]
	s_cbranch_vccz .LBB159_179
; %bb.178:
	v_cndmask_b32_e64 v2, v15, v16, s[8:9]
	v_cndmask_b32_e64 v2, v2, v19, s[6:7]
	global_store_byte v[6:7], v2, off
.LBB159_179:
	s_mov_b64 s[22:23], 0
.LBB159_180:
	s_andn2_b64 vcc, exec, s[22:23]
	s_cbranch_vccnz .LBB159_182
; %bb.181:
	v_cndmask_b32_e64 v2, v12, v13, s[2:3]
	v_cndmask_b32_e64 v2, v2, v14, s[0:1]
	global_store_byte v[6:7], v2, off
.LBB159_182:
	s_mov_b64 s[24:25], 0
	s_mov_b64 s[22:23], -1
.LBB159_183:
	s_andn2_b64 vcc, exec, s[24:25]
	s_cbranch_vccnz .LBB159_191
; %bb.184:
	v_mov_b32_e32 v2, 14
	v_cmp_gt_i16_sdwa s[26:27], s84, v2 src0_sel:BYTE_0 src1_sel:DWORD
	s_mov_b64 s[24:25], -1
	s_and_b64 vcc, exec, s[26:27]
	s_cbranch_vccz .LBB159_188
; %bb.185:
	v_mov_b32_e32 v2, 15
	v_cmp_eq_u16_sdwa s[24:25], s84, v2 src0_sel:BYTE_0 src1_sel:DWORD
	s_mov_b64 s[20:21], -1
	s_and_b64 vcc, exec, s[24:25]
	s_cbranch_vccz .LBB159_187
; %bb.186:
	global_store_short v[6:7], v11, off
	s_mov_b64 s[22:23], -1
	s_mov_b64 s[20:21], 0
.LBB159_187:
	s_mov_b64 s[24:25], 0
.LBB159_188:
	s_and_b64 vcc, exec, s[24:25]
	s_cbranch_vccz .LBB159_191
; %bb.189:
	v_mov_b32_e32 v2, 11
	v_cmp_eq_u16_sdwa s[24:25], s84, v2 src0_sel:BYTE_0 src1_sel:DWORD
	s_mov_b64 s[20:21], -1
	s_and_b64 vcc, exec, s[24:25]
	s_cbranch_vccz .LBB159_191
; %bb.190:
	s_mov_b64 s[22:23], -1
	s_mov_b64 s[20:21], 0
	global_store_byte v[6:7], v10, off
.LBB159_191:
	s_branch .LBB159_141
.LBB159_192:
	v_mov_b32_e32 v2, 5
	v_cmp_lt_i16_sdwa s[24:25], s84, v2 src0_sel:BYTE_0 src1_sel:DWORD
	s_mov_b64 s[22:23], -1
	s_and_b64 vcc, exec, s[24:25]
	s_cbranch_vccnz .LBB159_213
; %bb.193:
	v_mov_b32_e32 v2, 8
	v_cmp_lt_i16_sdwa s[24:25], s84, v2 src0_sel:BYTE_0 src1_sel:DWORD
	s_and_b64 vcc, exec, s[24:25]
	s_cbranch_vccnz .LBB159_203
; %bb.194:
	v_mov_b32_e32 v2, 9
	v_cmp_lt_i16_sdwa s[24:25], s84, v2 src0_sel:BYTE_0 src1_sel:DWORD
	s_and_b64 vcc, exec, s[24:25]
	s_cbranch_vccnz .LBB159_200
; %bb.195:
	v_cmp_gt_i16_sdwa s[24:25], s84, v2 src0_sel:BYTE_0 src1_sel:DWORD
	s_and_b64 vcc, exec, s[24:25]
	s_cbranch_vccz .LBB159_197
; %bb.196:
	v_mov_b32_e32 v2, 0
	v_mov_b32_e32 v3, v2
	s_mov_b64 s[22:23], 0
	global_store_dwordx4 v[6:7], v[0:3], off
.LBB159_197:
	s_andn2_b64 vcc, exec, s[22:23]
	s_cbranch_vccnz .LBB159_199
; %bb.198:
	v_mov_b32_e32 v5, 0
	global_store_dwordx2 v[6:7], v[4:5], off
.LBB159_199:
	s_mov_b64 s[22:23], 0
.LBB159_200:
	s_andn2_b64 vcc, exec, s[22:23]
	s_cbranch_vccnz .LBB159_202
; %bb.201:
	global_store_dword v[6:7], v8, off
.LBB159_202:
	s_mov_b64 s[22:23], 0
.LBB159_203:
	s_andn2_b64 vcc, exec, s[22:23]
	s_cbranch_vccnz .LBB159_212
; %bb.204:
	v_mov_b32_e32 v2, 6
	v_cmp_lt_i16_sdwa s[24:25], s84, v2 src0_sel:BYTE_0 src1_sel:DWORD
	s_mov_b64 s[22:23], -1
	s_and_b64 vcc, exec, s[24:25]
	s_cbranch_vccnz .LBB159_210
; %bb.205:
	v_cmp_gt_i16_sdwa s[24:25], s84, v2 src0_sel:BYTE_0 src1_sel:DWORD
	s_and_b64 vcc, exec, s[24:25]
	s_cbranch_vccz .LBB159_207
; %bb.206:
	s_mov_b64 s[22:23], 0
	global_store_dwordx2 v[6:7], v[0:1], off
.LBB159_207:
	s_andn2_b64 vcc, exec, s[22:23]
	s_cbranch_vccnz .LBB159_209
; %bb.208:
	global_store_dword v[6:7], v4, off
.LBB159_209:
	s_mov_b64 s[22:23], 0
.LBB159_210:
	s_andn2_b64 vcc, exec, s[22:23]
	s_cbranch_vccnz .LBB159_212
; %bb.211:
	global_store_short v[6:7], v8, off
.LBB159_212:
	s_mov_b64 s[22:23], 0
.LBB159_213:
	s_andn2_b64 vcc, exec, s[22:23]
	s_cbranch_vccnz .LBB159_229
; %bb.214:
	v_mov_b32_e32 v2, 2
	v_cmp_lt_i16_sdwa s[24:25], s84, v2 src0_sel:BYTE_0 src1_sel:DWORD
	s_mov_b64 s[22:23], -1
	s_and_b64 vcc, exec, s[24:25]
	s_cbranch_vccnz .LBB159_224
; %bb.215:
	v_mov_b32_e32 v2, 3
	v_cmp_lt_i16_sdwa s[24:25], s84, v2 src0_sel:BYTE_0 src1_sel:DWORD
	s_and_b64 vcc, exec, s[24:25]
	s_cbranch_vccnz .LBB159_221
; %bb.216:
	v_cmp_gt_i16_sdwa s[24:25], s84, v2 src0_sel:BYTE_0 src1_sel:DWORD
	s_and_b64 vcc, exec, s[24:25]
	s_cbranch_vccz .LBB159_218
; %bb.217:
	v_pk_mov_b32 v[2:3], s[50:51], s[50:51] op_sel:[0,1]
	s_mov_b64 s[22:23], 0
	global_store_dwordx2 v[6:7], v[2:3], off
.LBB159_218:
	s_andn2_b64 vcc, exec, s[22:23]
	s_cbranch_vccnz .LBB159_220
; %bb.219:
	v_mov_b32_e32 v2, s50
	global_store_dword v[6:7], v2, off
.LBB159_220:
	s_mov_b64 s[22:23], 0
.LBB159_221:
	s_andn2_b64 vcc, exec, s[22:23]
	s_cbranch_vccnz .LBB159_223
; %bb.222:
	v_mov_b32_e32 v2, s83
	global_store_short v[6:7], v2, off
.LBB159_223:
	s_mov_b64 s[22:23], 0
.LBB159_224:
	s_andn2_b64 vcc, exec, s[22:23]
	s_cbranch_vccnz .LBB159_229
; %bb.225:
	v_mov_b32_e32 v2, 0
	v_cmp_gt_i16_sdwa s[24:25], s84, v2 src0_sel:BYTE_0 src1_sel:DWORD
	s_mov_b64 s[22:23], -1
	s_and_b64 vcc, exec, s[24:25]
	s_cbranch_vccz .LBB159_227
; %bb.226:
	v_mov_b32_e32 v2, s83
	s_mov_b64 s[22:23], 0
	global_store_byte v[6:7], v2, off
.LBB159_227:
	s_andn2_b64 vcc, exec, s[22:23]
	s_cbranch_vccnz .LBB159_229
; %bb.228:
	v_mov_b32_e32 v2, s83
	global_store_byte v[6:7], v2, off
.LBB159_229:
	s_branch .LBB159_142
.LBB159_230:
	s_mov_b64 s[22:23], 0
                                        ; implicit-def: $vgpr9
.LBB159_231:
	s_andn2_b64 s[24:25], s[68:69], exec
	s_and_b64 s[20:21], s[20:21], exec
	s_or_b64 s[72:73], s[24:25], s[20:21]
	s_orn2_b64 s[20:21], s[22:23], exec
.LBB159_232:
	s_or_b64 exec, exec, s[74:75]
	s_mov_b64 s[22:23], 0
	s_mov_b64 s[24:25], 0
                                        ; implicit-def: $vgpr23
                                        ; implicit-def: $vgpr6_vgpr7
	s_and_saveexec_b64 s[74:75], s[20:21]
	s_cbranch_execz .LBB159_421
; %bb.233:
	v_cmp_gt_i32_e32 vcc, s85, v9
	s_mov_b64 s[22:23], -1
	s_mov_b64 s[78:79], s[72:73]
	s_and_saveexec_b64 s[76:77], vcc
	s_cbranch_execz .LBB159_349
; %bb.234:
	s_andn2_b64 vcc, exec, s[46:47]
	s_cbranch_vccnz .LBB159_239
; %bb.235:
	s_andn2_b64 vcc, exec, s[66:67]
	s_cbranch_vccnz .LBB159_240
; %bb.236:
	s_add_i32 s88, s86, 1
	s_mov_b32 s87, 0
	s_cmp_eq_u32 s82, 2
	v_mov_b32_e32 v2, 0
	s_cbranch_scc1 .LBB159_241
; %bb.237:
	s_and_b32 s87, s88, 28
	s_mov_b32 s89, 0
	v_mov_b32_e32 v2, 0
	s_mov_b64 s[78:79], s[34:35]
	s_mov_b64 s[80:81], s[64:65]
	v_mov_b32_e32 v5, v9
.LBB159_238:                            ; =>This Inner Loop Header: Depth=1
	s_load_dwordx8 s[20:27], s[78:79], 0x4
	s_load_dwordx4 s[36:39], s[78:79], 0x24
	s_load_dwordx4 s[40:43], s[80:81], 0x0
	s_add_u32 s78, s78, 48
	s_addc_u32 s79, s79, 0
	s_waitcnt lgkmcnt(0)
	v_mul_hi_u32 v3, s21, v5
	v_add_u32_e32 v3, v5, v3
	v_lshrrev_b32_e32 v3, s22, v3
	v_mul_lo_u32 v6, v3, s20
	v_mul_hi_u32 v7, s24, v3
	v_sub_u32_e32 v5, v5, v6
	v_add_u32_e32 v6, v3, v7
	v_lshrrev_b32_e32 v6, s25, v6
	v_mul_lo_u32 v7, v6, s23
	v_mul_hi_u32 v23, s27, v6
	v_sub_u32_e32 v3, v3, v7
	v_add_u32_e32 v7, v6, v23
	v_mul_lo_u32 v5, v5, s40
	v_mul_lo_u32 v3, v3, s41
	v_lshrrev_b32_e32 v7, s36, v7
	v_add3_u32 v2, v5, v2, v3
	v_mul_hi_u32 v5, s38, v7
	v_add_u32_e32 v5, v7, v5
	v_mul_lo_u32 v3, v7, s26
	v_lshrrev_b32_e32 v5, s39, v5
	s_add_i32 s89, s89, 4
	v_sub_u32_e32 v3, v6, v3
	v_mul_lo_u32 v6, v5, s37
	s_add_u32 s80, s80, 16
	v_sub_u32_e32 v6, v7, v6
	s_addc_u32 s81, s81, 0
	v_mul_lo_u32 v3, v3, s42
	v_mul_lo_u32 v6, v6, s43
	s_cmp_eq_u32 s87, s89
	v_add3_u32 v2, v3, v2, v6
	s_cbranch_scc0 .LBB159_238
	s_branch .LBB159_242
.LBB159_239:
	s_mov_b64 s[20:21], -1
                                        ; implicit-def: $vgpr2
	s_branch .LBB159_246
.LBB159_240:
	v_mov_b32_e32 v2, 0
	s_branch .LBB159_245
.LBB159_241:
	v_mov_b32_e32 v5, v9
.LBB159_242:
	s_and_b32 s24, s88, 3
	s_cmp_eq_u32 s24, 0
	s_cbranch_scc1 .LBB159_245
; %bb.243:
	s_lshl_b32 s20, s87, 2
	s_add_u32 s20, s20, s34
	s_addc_u32 s21, s35, 0
	s_add_u32 s20, s20, 0xc4
	s_addc_u32 s21, s21, 0
	s_mul_i32 s22, s87, 12
	s_add_u32 s22, s34, s22
	s_addc_u32 s23, s35, 0
.LBB159_244:                            ; =>This Inner Loop Header: Depth=1
	s_load_dwordx2 s[26:27], s[22:23], 0x4
	s_load_dword s25, s[22:23], 0xc
	s_load_dword s36, s[20:21], 0x0
	s_add_u32 s22, s22, 12
	s_addc_u32 s23, s23, 0
	s_waitcnt lgkmcnt(0)
	v_mul_hi_u32 v3, s27, v5
	v_add_u32_e32 v3, v5, v3
	v_lshrrev_b32_e32 v3, s25, v3
	s_add_u32 s20, s20, 4
	v_mul_lo_u32 v6, v3, s26
	s_addc_u32 s21, s21, 0
	s_add_i32 s24, s24, -1
	v_sub_u32_e32 v6, v5, v6
	s_cmp_lg_u32 s24, 0
	v_mov_b32_e32 v5, v3
	v_mad_u64_u32 v[2:3], s[26:27], v6, s36, v[2:3]
	s_cbranch_scc1 .LBB159_244
.LBB159_245:
	s_mov_b64 s[20:21], 0
.LBB159_246:
	s_andn2_b64 vcc, exec, s[20:21]
	s_cbranch_vccnz .LBB159_249
; %bb.247:
	s_waitcnt lgkmcnt(0)
	v_mul_hi_u32 v2, s29, v9
	v_add_u32_e32 v2, v9, v2
	v_lshrrev_b32_e32 v3, s30, v2
	v_mul_lo_u32 v2, v3, s28
	v_sub_u32_e32 v2, v9, v2
	s_andn2_b64 vcc, exec, s[60:61]
	v_mul_lo_u32 v2, v2, s58
	s_cbranch_vccnz .LBB159_249
; %bb.248:
	v_mul_hi_u32 v5, s62, v3
	v_add_u32_e32 v5, v3, v5
	v_lshrrev_b32_e32 v5, s63, v5
	v_mul_lo_u32 v5, v5, s31
	v_sub_u32_e32 v3, v3, v5
	v_mad_u64_u32 v[2:3], s[20:21], v3, s59, v[2:3]
.LBB159_249:
	v_mov_b32_e32 v3, s57
	v_add_co_u32_e32 v6, vcc, s56, v2
	v_mov_b32_e32 v2, 11
	v_addc_co_u32_e32 v7, vcc, 0, v3, vcc
	v_cmp_lt_i16_sdwa s[20:21], s84, v2 src0_sel:BYTE_0 src1_sel:DWORD
	s_and_b64 vcc, exec, s[20:21]
	s_cbranch_vccnz .LBB159_256
; %bb.250:
	v_mov_b32_e32 v2, 25
	v_cmp_gt_i16_sdwa s[20:21], s84, v2 src0_sel:BYTE_0 src1_sel:DWORD
	s_and_b64 vcc, exec, s[20:21]
	s_cbranch_vccz .LBB159_257
; %bb.251:
	v_mov_b32_e32 v2, 28
	v_cmp_gt_i16_sdwa s[20:21], s84, v2 src0_sel:BYTE_0 src1_sel:DWORD
	s_and_b64 vcc, exec, s[20:21]
	s_cbranch_vccz .LBB159_258
	;; [unrolled: 5-line block ×4, first 2 shown]
; %bb.254:
	v_mov_b32_e32 v2, 46
	v_cmp_eq_u16_sdwa s[22:23], s84, v2 src0_sel:BYTE_0 src1_sel:DWORD
	s_mov_b64 s[24:25], 0
	s_mov_b64 s[20:21], -1
	s_and_b64 vcc, exec, s[22:23]
	s_mov_b64 s[22:23], 0
	s_cbranch_vccz .LBB159_261
; %bb.255:
	global_store_dword v[6:7], v11, off
	s_mov_b64 s[22:23], -1
	s_mov_b64 s[20:21], 0
	s_branch .LBB159_261
.LBB159_256:
	s_mov_b64 s[24:25], -1
	s_mov_b64 s[22:23], 0
	s_mov_b64 s[20:21], s[72:73]
	s_branch .LBB159_306
.LBB159_257:
	s_mov_b64 s[24:25], -1
	s_mov_b64 s[22:23], 0
	s_mov_b64 s[20:21], s[72:73]
	s_branch .LBB159_283
.LBB159_258:
	s_mov_b64 s[24:25], -1
	s_mov_b64 s[22:23], 0
	s_mov_b64 s[20:21], s[72:73]
	s_branch .LBB159_269
.LBB159_259:
	s_mov_b64 s[24:25], -1
	s_mov_b64 s[22:23], 0
	s_mov_b64 s[20:21], s[72:73]
	s_branch .LBB159_265
.LBB159_260:
	s_mov_b64 s[24:25], -1
	s_mov_b64 s[22:23], 0
	s_mov_b64 s[20:21], s[72:73]
.LBB159_261:
	s_and_b64 vcc, exec, s[24:25]
	s_cbranch_vccz .LBB159_264
; %bb.262:
	v_mov_b32_e32 v2, 44
	v_cmp_eq_u16_sdwa s[24:25], s84, v2 src0_sel:BYTE_0 src1_sel:DWORD
	s_mov_b64 s[20:21], -1
	s_and_b64 vcc, exec, s[24:25]
	s_cbranch_vccz .LBB159_264
; %bb.263:
	v_mov_b32_e32 v2, 0xff
	v_cndmask_b32_e64 v2, v22, v2, s[18:19]
	s_mov_b64 s[22:23], -1
	s_mov_b64 s[20:21], 0
	global_store_byte v[6:7], v2, off
.LBB159_264:
	s_mov_b64 s[24:25], 0
.LBB159_265:
	s_and_b64 vcc, exec, s[24:25]
	s_cbranch_vccz .LBB159_268
; %bb.266:
	v_mov_b32_e32 v2, 29
	v_cmp_eq_u16_sdwa s[24:25], s84, v2 src0_sel:BYTE_0 src1_sel:DWORD
	s_mov_b64 s[20:21], -1
	s_and_b64 vcc, exec, s[24:25]
	s_cbranch_vccz .LBB159_268
; %bb.267:
	v_pk_mov_b32 v[2:3], s[50:51], s[50:51] op_sel:[0,1]
	global_store_dwordx2 v[6:7], v[2:3], off
	s_mov_b64 s[22:23], -1
	s_mov_b64 s[20:21], 0
.LBB159_268:
	s_mov_b64 s[24:25], 0
.LBB159_269:
	s_and_b64 vcc, exec, s[24:25]
	s_cbranch_vccz .LBB159_282
; %bb.270:
	v_mov_b32_e32 v2, 27
	v_cmp_lt_i16_sdwa s[24:25], s84, v2 src0_sel:BYTE_0 src1_sel:DWORD
	s_mov_b64 s[22:23], -1
	s_and_b64 vcc, exec, s[24:25]
	s_cbranch_vccnz .LBB159_276
; %bb.271:
	v_cmp_gt_i16_sdwa s[24:25], s84, v2 src0_sel:BYTE_0 src1_sel:DWORD
	s_and_b64 vcc, exec, s[24:25]
	s_cbranch_vccz .LBB159_273
; %bb.272:
	v_mov_b32_e32 v2, s50
	s_mov_b64 s[22:23], 0
	global_store_dword v[6:7], v2, off
.LBB159_273:
	s_andn2_b64 vcc, exec, s[22:23]
	s_cbranch_vccnz .LBB159_275
; %bb.274:
	v_mov_b32_e32 v2, s83
	global_store_short v[6:7], v2, off
.LBB159_275:
	s_mov_b64 s[22:23], 0
.LBB159_276:
	s_andn2_b64 vcc, exec, s[22:23]
	s_cbranch_vccnz .LBB159_281
; %bb.277:
	s_andn2_b64 vcc, exec, s[16:17]
	v_mov_b32_e32 v2, 0x80
	s_cbranch_vccnz .LBB159_280
; %bb.278:
	s_or_b64 s[22:23], s[14:15], s[54:55]
	s_andn2_b64 vcc, exec, s[22:23]
	v_mov_b32_e32 v2, 0
	s_cbranch_vccnz .LBB159_280
; %bb.279:
	v_cndmask_b32_e64 v2, v21, v20, s[14:15]
.LBB159_280:
	global_store_byte v[6:7], v2, off
.LBB159_281:
	s_mov_b64 s[22:23], -1
.LBB159_282:
	s_mov_b64 s[24:25], 0
.LBB159_283:
	s_and_b64 vcc, exec, s[24:25]
	s_cbranch_vccz .LBB159_305
; %bb.284:
	v_mov_b32_e32 v2, 22
	v_cmp_gt_i16_sdwa s[26:27], s84, v2 src0_sel:BYTE_0 src1_sel:DWORD
	s_mov_b64 s[24:25], -1
	s_and_b64 vcc, exec, s[26:27]
	s_cbranch_vccz .LBB159_297
; %bb.285:
	v_mov_b32_e32 v2, 24
	v_cmp_lt_i16_sdwa s[24:25], s84, v2 src0_sel:BYTE_0 src1_sel:DWORD
	s_mov_b64 s[22:23], -1
	s_and_b64 vcc, exec, s[24:25]
	s_cbranch_vccnz .LBB159_294
; %bb.286:
	v_cmp_gt_i16_sdwa s[24:25], s84, v2 src0_sel:BYTE_0 src1_sel:DWORD
	s_and_b64 vcc, exec, s[24:25]
	s_cbranch_vccz .LBB159_291
; %bb.287:
	s_andn2_b64 vcc, exec, s[12:13]
	v_mov_b32_e32 v2, 0x80
	s_cbranch_vccnz .LBB159_290
; %bb.288:
	s_or_b64 s[22:23], s[10:11], s[52:53]
	s_andn2_b64 vcc, exec, s[22:23]
	v_mov_b32_e32 v2, 0
	s_cbranch_vccnz .LBB159_290
; %bb.289:
	v_cndmask_b32_e64 v2, v18, v17, s[10:11]
.LBB159_290:
	s_mov_b64 s[22:23], 0
	global_store_byte v[6:7], v2, off
.LBB159_291:
	s_and_b64 vcc, exec, s[22:23]
	s_cbranch_vccz .LBB159_293
; %bb.292:
	v_cndmask_b32_e64 v2, v15, v16, s[8:9]
	v_cndmask_b32_e64 v2, v2, v19, s[6:7]
	global_store_byte v[6:7], v2, off
.LBB159_293:
	s_mov_b64 s[22:23], 0
.LBB159_294:
	s_andn2_b64 vcc, exec, s[22:23]
	s_cbranch_vccnz .LBB159_296
; %bb.295:
	v_cndmask_b32_e64 v2, v12, v13, s[2:3]
	v_cndmask_b32_e64 v2, v2, v14, s[0:1]
	global_store_byte v[6:7], v2, off
.LBB159_296:
	s_mov_b64 s[24:25], 0
	s_mov_b64 s[22:23], -1
.LBB159_297:
	s_andn2_b64 vcc, exec, s[24:25]
	s_cbranch_vccnz .LBB159_305
; %bb.298:
	v_mov_b32_e32 v2, 14
	v_cmp_gt_i16_sdwa s[26:27], s84, v2 src0_sel:BYTE_0 src1_sel:DWORD
	s_mov_b64 s[24:25], -1
	s_and_b64 vcc, exec, s[26:27]
	s_cbranch_vccz .LBB159_302
; %bb.299:
	v_mov_b32_e32 v2, 15
	v_cmp_eq_u16_sdwa s[24:25], s84, v2 src0_sel:BYTE_0 src1_sel:DWORD
	s_mov_b64 s[20:21], -1
	s_and_b64 vcc, exec, s[24:25]
	s_cbranch_vccz .LBB159_301
; %bb.300:
	global_store_short v[6:7], v11, off
	s_mov_b64 s[22:23], -1
	s_mov_b64 s[20:21], 0
.LBB159_301:
	s_mov_b64 s[24:25], 0
.LBB159_302:
	s_and_b64 vcc, exec, s[24:25]
	s_cbranch_vccz .LBB159_305
; %bb.303:
	v_mov_b32_e32 v2, 11
	v_cmp_eq_u16_sdwa s[24:25], s84, v2 src0_sel:BYTE_0 src1_sel:DWORD
	s_mov_b64 s[20:21], -1
	s_and_b64 vcc, exec, s[24:25]
	s_cbranch_vccz .LBB159_305
; %bb.304:
	s_mov_b64 s[22:23], -1
	s_mov_b64 s[20:21], 0
	global_store_byte v[6:7], v10, off
.LBB159_305:
	s_mov_b64 s[24:25], 0
.LBB159_306:
	s_and_b64 vcc, exec, s[24:25]
	s_cbranch_vccz .LBB159_345
; %bb.307:
	v_mov_b32_e32 v2, 5
	v_cmp_lt_i16_sdwa s[24:25], s84, v2 src0_sel:BYTE_0 src1_sel:DWORD
	s_mov_b64 s[22:23], -1
	s_and_b64 vcc, exec, s[24:25]
	s_cbranch_vccnz .LBB159_328
; %bb.308:
	v_mov_b32_e32 v2, 8
	v_cmp_lt_i16_sdwa s[24:25], s84, v2 src0_sel:BYTE_0 src1_sel:DWORD
	s_and_b64 vcc, exec, s[24:25]
	s_cbranch_vccnz .LBB159_318
; %bb.309:
	v_mov_b32_e32 v2, 9
	v_cmp_lt_i16_sdwa s[24:25], s84, v2 src0_sel:BYTE_0 src1_sel:DWORD
	s_and_b64 vcc, exec, s[24:25]
	s_cbranch_vccnz .LBB159_315
; %bb.310:
	v_cmp_gt_i16_sdwa s[24:25], s84, v2 src0_sel:BYTE_0 src1_sel:DWORD
	s_and_b64 vcc, exec, s[24:25]
	s_cbranch_vccz .LBB159_312
; %bb.311:
	v_mov_b32_e32 v2, 0
	v_mov_b32_e32 v3, v2
	s_mov_b64 s[22:23], 0
	global_store_dwordx4 v[6:7], v[0:3], off
.LBB159_312:
	s_andn2_b64 vcc, exec, s[22:23]
	s_cbranch_vccnz .LBB159_314
; %bb.313:
	v_mov_b32_e32 v5, 0
	global_store_dwordx2 v[6:7], v[4:5], off
.LBB159_314:
	s_mov_b64 s[22:23], 0
.LBB159_315:
	s_andn2_b64 vcc, exec, s[22:23]
	s_cbranch_vccnz .LBB159_317
; %bb.316:
	global_store_dword v[6:7], v8, off
.LBB159_317:
	s_mov_b64 s[22:23], 0
.LBB159_318:
	s_andn2_b64 vcc, exec, s[22:23]
	s_cbranch_vccnz .LBB159_327
; %bb.319:
	v_mov_b32_e32 v2, 6
	v_cmp_lt_i16_sdwa s[24:25], s84, v2 src0_sel:BYTE_0 src1_sel:DWORD
	s_mov_b64 s[22:23], -1
	s_and_b64 vcc, exec, s[24:25]
	s_cbranch_vccnz .LBB159_325
; %bb.320:
	v_cmp_gt_i16_sdwa s[24:25], s84, v2 src0_sel:BYTE_0 src1_sel:DWORD
	s_and_b64 vcc, exec, s[24:25]
	s_cbranch_vccz .LBB159_322
; %bb.321:
	s_mov_b64 s[22:23], 0
	global_store_dwordx2 v[6:7], v[0:1], off
.LBB159_322:
	s_andn2_b64 vcc, exec, s[22:23]
	s_cbranch_vccnz .LBB159_324
; %bb.323:
	global_store_dword v[6:7], v4, off
.LBB159_324:
	s_mov_b64 s[22:23], 0
.LBB159_325:
	s_andn2_b64 vcc, exec, s[22:23]
	s_cbranch_vccnz .LBB159_327
; %bb.326:
	global_store_short v[6:7], v8, off
.LBB159_327:
	s_mov_b64 s[22:23], 0
.LBB159_328:
	s_andn2_b64 vcc, exec, s[22:23]
	s_cbranch_vccnz .LBB159_344
; %bb.329:
	v_mov_b32_e32 v2, 2
	v_cmp_lt_i16_sdwa s[24:25], s84, v2 src0_sel:BYTE_0 src1_sel:DWORD
	s_mov_b64 s[22:23], -1
	s_and_b64 vcc, exec, s[24:25]
	s_cbranch_vccnz .LBB159_339
; %bb.330:
	v_mov_b32_e32 v2, 3
	v_cmp_lt_i16_sdwa s[24:25], s84, v2 src0_sel:BYTE_0 src1_sel:DWORD
	s_and_b64 vcc, exec, s[24:25]
	s_cbranch_vccnz .LBB159_336
; %bb.331:
	v_cmp_gt_i16_sdwa s[24:25], s84, v2 src0_sel:BYTE_0 src1_sel:DWORD
	s_and_b64 vcc, exec, s[24:25]
	s_cbranch_vccz .LBB159_333
; %bb.332:
	v_pk_mov_b32 v[2:3], s[50:51], s[50:51] op_sel:[0,1]
	s_mov_b64 s[22:23], 0
	global_store_dwordx2 v[6:7], v[2:3], off
.LBB159_333:
	s_andn2_b64 vcc, exec, s[22:23]
	s_cbranch_vccnz .LBB159_335
; %bb.334:
	v_mov_b32_e32 v2, s50
	global_store_dword v[6:7], v2, off
.LBB159_335:
	s_mov_b64 s[22:23], 0
.LBB159_336:
	s_andn2_b64 vcc, exec, s[22:23]
	s_cbranch_vccnz .LBB159_338
; %bb.337:
	v_mov_b32_e32 v2, s83
	global_store_short v[6:7], v2, off
.LBB159_338:
	s_mov_b64 s[22:23], 0
.LBB159_339:
	s_andn2_b64 vcc, exec, s[22:23]
	s_cbranch_vccnz .LBB159_344
; %bb.340:
	v_mov_b32_e32 v2, 0
	v_cmp_gt_i16_sdwa s[24:25], s84, v2 src0_sel:BYTE_0 src1_sel:DWORD
	s_mov_b64 s[22:23], -1
	s_and_b64 vcc, exec, s[24:25]
	s_cbranch_vccz .LBB159_342
; %bb.341:
	v_mov_b32_e32 v2, s83
	s_mov_b64 s[22:23], 0
	global_store_byte v[6:7], v2, off
.LBB159_342:
	s_andn2_b64 vcc, exec, s[22:23]
	s_cbranch_vccnz .LBB159_344
; %bb.343:
	v_mov_b32_e32 v2, s83
	global_store_byte v[6:7], v2, off
.LBB159_344:
	s_mov_b64 s[22:23], -1
.LBB159_345:
	s_andn2_b64 vcc, exec, s[22:23]
	s_cbranch_vccnz .LBB159_347
; %bb.346:
	v_add_u32_e32 v9, 0x80, v9
	s_mov_b64 s[22:23], -1
	s_branch .LBB159_348
.LBB159_347:
	s_mov_b64 s[22:23], 0
                                        ; implicit-def: $vgpr9
.LBB159_348:
	s_andn2_b64 s[24:25], s[72:73], exec
	s_and_b64 s[20:21], s[20:21], exec
	s_or_b64 s[78:79], s[24:25], s[20:21]
	s_orn2_b64 s[22:23], s[22:23], exec
.LBB159_349:
	s_or_b64 exec, exec, s[76:77]
	s_mov_b64 s[20:21], 0
	s_mov_b64 s[26:27], 0
                                        ; implicit-def: $vgpr23
                                        ; implicit-def: $vgpr6_vgpr7
	s_and_saveexec_b64 s[76:77], s[22:23]
	s_cbranch_execz .LBB159_420
; %bb.350:
	v_cmp_gt_i32_e32 vcc, s85, v9
	s_mov_b64 s[22:23], 0
	s_mov_b64 s[24:25], s[78:79]
                                        ; implicit-def: $vgpr23
                                        ; implicit-def: $vgpr6_vgpr7
	s_and_saveexec_b64 s[80:81], vcc
	s_cbranch_execz .LBB159_419
; %bb.351:
	s_andn2_b64 vcc, exec, s[46:47]
	s_cbranch_vccnz .LBB159_356
; %bb.352:
	s_andn2_b64 vcc, exec, s[66:67]
	s_cbranch_vccnz .LBB159_357
; %bb.353:
	s_add_i32 s86, s86, 1
	s_mov_b32 s85, 0
	s_cmp_eq_u32 s82, 2
	v_mov_b32_e32 v2, 0
	s_cbranch_scc1 .LBB159_358
; %bb.354:
	s_and_b32 s85, s86, 28
	s_mov_b32 s87, 0
	v_mov_b32_e32 v2, 0
	s_mov_b64 s[66:67], s[34:35]
	v_mov_b32_e32 v5, v9
.LBB159_355:                            ; =>This Inner Loop Header: Depth=1
	s_load_dwordx8 s[20:27], s[66:67], 0x4
	s_load_dwordx4 s[36:39], s[66:67], 0x24
	s_load_dwordx4 s[40:43], s[64:65], 0x0
	s_add_u32 s66, s66, 48
	s_addc_u32 s67, s67, 0
	s_waitcnt lgkmcnt(0)
	v_mul_hi_u32 v3, s21, v5
	v_add_u32_e32 v3, v5, v3
	v_lshrrev_b32_e32 v3, s22, v3
	v_mul_lo_u32 v6, v3, s20
	v_mul_hi_u32 v7, s24, v3
	v_sub_u32_e32 v5, v5, v6
	v_add_u32_e32 v6, v3, v7
	v_lshrrev_b32_e32 v6, s25, v6
	v_mul_lo_u32 v7, v6, s23
	v_mul_hi_u32 v23, s27, v6
	v_sub_u32_e32 v3, v3, v7
	v_add_u32_e32 v7, v6, v23
	v_mul_lo_u32 v5, v5, s40
	v_mul_lo_u32 v3, v3, s41
	v_lshrrev_b32_e32 v7, s36, v7
	v_add3_u32 v2, v5, v2, v3
	v_mul_hi_u32 v5, s38, v7
	v_add_u32_e32 v5, v7, v5
	v_mul_lo_u32 v3, v7, s26
	v_lshrrev_b32_e32 v5, s39, v5
	s_add_i32 s87, s87, 4
	v_sub_u32_e32 v3, v6, v3
	v_mul_lo_u32 v6, v5, s37
	s_add_u32 s64, s64, 16
	v_sub_u32_e32 v6, v7, v6
	s_addc_u32 s65, s65, 0
	v_mul_lo_u32 v3, v3, s42
	v_mul_lo_u32 v6, v6, s43
	s_cmp_eq_u32 s85, s87
	v_add3_u32 v2, v3, v2, v6
	s_cbranch_scc0 .LBB159_355
	s_branch .LBB159_359
.LBB159_356:
	s_mov_b64 s[20:21], -1
                                        ; implicit-def: $vgpr2
	s_branch .LBB159_363
.LBB159_357:
	v_mov_b32_e32 v2, 0
	s_branch .LBB159_362
.LBB159_358:
	v_mov_b32_e32 v5, v9
.LBB159_359:
	s_and_b32 s24, s86, 3
	s_cmp_eq_u32 s24, 0
	s_cbranch_scc1 .LBB159_362
; %bb.360:
	s_lshl_b32 s20, s85, 2
	s_add_u32 s20, s20, s34
	s_addc_u32 s21, s35, 0
	s_add_u32 s20, s20, 0xc4
	s_addc_u32 s21, s21, 0
	s_mul_i32 s22, s85, 12
	s_add_u32 s22, s34, s22
	s_addc_u32 s23, s35, 0
.LBB159_361:                            ; =>This Inner Loop Header: Depth=1
	s_load_dwordx2 s[26:27], s[22:23], 0x4
	s_load_dword s25, s[22:23], 0xc
	s_load_dword s36, s[20:21], 0x0
	s_add_u32 s22, s22, 12
	s_addc_u32 s23, s23, 0
	s_waitcnt lgkmcnt(0)
	v_mul_hi_u32 v3, s27, v5
	v_add_u32_e32 v3, v5, v3
	v_lshrrev_b32_e32 v3, s25, v3
	s_add_u32 s20, s20, 4
	v_mul_lo_u32 v6, v3, s26
	s_addc_u32 s21, s21, 0
	s_add_i32 s24, s24, -1
	v_sub_u32_e32 v6, v5, v6
	s_cmp_lg_u32 s24, 0
	v_mov_b32_e32 v5, v3
	v_mad_u64_u32 v[2:3], s[26:27], v6, s36, v[2:3]
	s_cbranch_scc1 .LBB159_361
.LBB159_362:
	s_mov_b64 s[20:21], 0
.LBB159_363:
	s_andn2_b64 vcc, exec, s[20:21]
	s_cbranch_vccnz .LBB159_366
; %bb.364:
	s_waitcnt lgkmcnt(0)
	v_mul_hi_u32 v2, s29, v9
	v_add_u32_e32 v2, v9, v2
	v_lshrrev_b32_e32 v3, s30, v2
	v_mul_lo_u32 v2, v3, s28
	v_sub_u32_e32 v2, v9, v2
	s_andn2_b64 vcc, exec, s[60:61]
	v_mul_lo_u32 v2, v2, s58
	s_cbranch_vccnz .LBB159_366
; %bb.365:
	v_mul_hi_u32 v5, s62, v3
	v_add_u32_e32 v5, v3, v5
	v_lshrrev_b32_e32 v5, s63, v5
	v_mul_lo_u32 v5, v5, s31
	v_sub_u32_e32 v3, v3, v5
	v_mad_u64_u32 v[2:3], s[20:21], v3, s59, v[2:3]
.LBB159_366:
	v_mov_b32_e32 v3, s57
	v_add_co_u32_e32 v6, vcc, s56, v2
	v_mov_b32_e32 v2, 0xff
	v_addc_co_u32_e32 v7, vcc, 0, v3, vcc
	v_and_b32_e32 v23, s84, v2
	v_cmp_gt_i16_e32 vcc, 11, v23
	s_cbranch_vccnz .LBB159_416
; %bb.367:
	v_cmp_lt_i16_e32 vcc, 25, v23
	s_mov_b64 s[22:23], -1
	s_mov_b64 s[20:21], s[78:79]
	s_cbranch_vccz .LBB159_395
; %bb.368:
	v_cmp_lt_i16_e32 vcc, 28, v23
	s_mov_b64 s[20:21], s[78:79]
	s_cbranch_vccz .LBB159_382
; %bb.369:
	v_cmp_lt_i16_e32 vcc, 43, v23
	;; [unrolled: 4-line block ×3, first 2 shown]
	s_mov_b64 s[20:21], s[78:79]
	s_cbranch_vccz .LBB159_374
; %bb.371:
	v_cmp_eq_u16_e32 vcc, 46, v23
	s_mov_b64 s[20:21], -1
	s_cbranch_vccz .LBB159_373
; %bb.372:
	global_store_dword v[6:7], v11, off
	s_mov_b64 s[20:21], 0
.LBB159_373:
	s_mov_b64 s[22:23], 0
.LBB159_374:
	s_and_b64 vcc, exec, s[22:23]
	s_cbranch_vccz .LBB159_377
; %bb.375:
	v_cmp_eq_u16_e32 vcc, 44, v23
	s_mov_b64 s[20:21], -1
	s_cbranch_vccz .LBB159_377
; %bb.376:
	v_mov_b32_e32 v2, 0xff
	v_cndmask_b32_e64 v2, v22, v2, s[18:19]
	global_store_byte v[6:7], v2, off
	s_mov_b64 s[20:21], 0
.LBB159_377:
	s_mov_b64 s[22:23], 0
.LBB159_378:
	s_and_b64 vcc, exec, s[22:23]
	s_cbranch_vccz .LBB159_381
; %bb.379:
	v_cmp_eq_u16_e32 vcc, 29, v23
	s_mov_b64 s[20:21], -1
	s_cbranch_vccz .LBB159_381
; %bb.380:
	v_pk_mov_b32 v[2:3], s[50:51], s[50:51] op_sel:[0,1]
	global_store_dwordx2 v[6:7], v[2:3], off
	s_mov_b64 s[20:21], 0
.LBB159_381:
	s_mov_b64 s[22:23], 0
.LBB159_382:
	s_and_b64 vcc, exec, s[22:23]
	s_cbranch_vccz .LBB159_394
; %bb.383:
	v_cmp_gt_i16_e32 vcc, 27, v23
	s_mov_b64 s[18:19], -1
	s_cbranch_vccnz .LBB159_389
; %bb.384:
	v_cmp_lt_i16_e32 vcc, 27, v23
	s_cbranch_vccz .LBB159_386
; %bb.385:
	v_mov_b32_e32 v2, s50
	s_mov_b64 s[18:19], 0
	global_store_dword v[6:7], v2, off
.LBB159_386:
	s_andn2_b64 vcc, exec, s[18:19]
	s_cbranch_vccnz .LBB159_388
; %bb.387:
	v_mov_b32_e32 v2, s83
	global_store_short v[6:7], v2, off
.LBB159_388:
	s_mov_b64 s[18:19], 0
.LBB159_389:
	s_andn2_b64 vcc, exec, s[18:19]
	s_cbranch_vccnz .LBB159_394
; %bb.390:
	s_andn2_b64 vcc, exec, s[16:17]
	v_mov_b32_e32 v2, 0x80
	s_cbranch_vccnz .LBB159_393
; %bb.391:
	s_or_b64 s[16:17], s[14:15], s[54:55]
	s_andn2_b64 vcc, exec, s[16:17]
	v_mov_b32_e32 v2, 0
	s_cbranch_vccnz .LBB159_393
; %bb.392:
	v_cndmask_b32_e64 v2, v21, v20, s[14:15]
.LBB159_393:
	global_store_byte v[6:7], v2, off
.LBB159_394:
	s_mov_b64 s[22:23], 0
.LBB159_395:
	s_mov_b64 s[14:15], 0
	s_and_b64 vcc, exec, s[22:23]
	s_cbranch_vccz .LBB159_417
; %bb.396:
	v_cmp_lt_i16_e32 vcc, 22, v23
	s_mov_b64 s[16:17], -1
	s_cbranch_vccz .LBB159_409
; %bb.397:
	v_cmp_gt_i16_e32 vcc, 24, v23
	s_cbranch_vccnz .LBB159_406
; %bb.398:
	v_cmp_lt_i16_e32 vcc, 24, v23
	s_cbranch_vccz .LBB159_403
; %bb.399:
	s_andn2_b64 vcc, exec, s[12:13]
	v_mov_b32_e32 v2, 0x80
	s_cbranch_vccnz .LBB159_402
; %bb.400:
	s_or_b64 s[12:13], s[10:11], s[52:53]
	s_andn2_b64 vcc, exec, s[12:13]
	v_mov_b32_e32 v2, 0
	s_cbranch_vccnz .LBB159_402
; %bb.401:
	v_cndmask_b32_e64 v2, v18, v17, s[10:11]
.LBB159_402:
	s_mov_b64 s[16:17], 0
	global_store_byte v[6:7], v2, off
.LBB159_403:
	s_and_b64 vcc, exec, s[16:17]
	s_cbranch_vccz .LBB159_405
; %bb.404:
	v_cndmask_b32_e64 v2, v15, v16, s[8:9]
	v_cndmask_b32_e64 v2, v2, v19, s[6:7]
	global_store_byte v[6:7], v2, off
.LBB159_405:
	s_mov_b64 s[16:17], 0
.LBB159_406:
	s_andn2_b64 vcc, exec, s[16:17]
	s_cbranch_vccnz .LBB159_408
; %bb.407:
	v_cndmask_b32_e64 v2, v12, v13, s[2:3]
	v_cndmask_b32_e64 v2, v2, v14, s[0:1]
	global_store_byte v[6:7], v2, off
.LBB159_408:
	s_mov_b64 s[16:17], 0
.LBB159_409:
	s_andn2_b64 vcc, exec, s[16:17]
	s_mov_b64 s[0:1], 0
	s_cbranch_vccnz .LBB159_418
; %bb.410:
	v_cmp_lt_i16_e32 vcc, 14, v23
	s_mov_b64 s[2:3], -1
	s_cbranch_vccz .LBB159_414
; %bb.411:
	v_cmp_eq_u16_e32 vcc, 15, v23
	s_mov_b64 s[20:21], -1
	s_cbranch_vccz .LBB159_413
; %bb.412:
	global_store_short v[6:7], v11, off
	s_mov_b64 s[20:21], 0
.LBB159_413:
	s_mov_b64 s[2:3], 0
.LBB159_414:
	s_and_b64 vcc, exec, s[2:3]
	s_cbranch_vccz .LBB159_418
; %bb.415:
	v_cmp_ne_u16_e32 vcc, 11, v23
	s_andn2_b64 s[2:3], s[20:21], exec
	s_and_b64 s[6:7], vcc, exec
	s_mov_b64 s[0:1], -1
	s_or_b64 s[20:21], s[2:3], s[6:7]
	s_branch .LBB159_418
.LBB159_416:
	s_mov_b64 s[0:1], 0
	s_mov_b64 s[14:15], -1
	s_mov_b64 s[20:21], s[78:79]
	s_branch .LBB159_418
.LBB159_417:
	s_mov_b64 s[0:1], 0
.LBB159_418:
	s_and_b64 s[22:23], s[0:1], exec
	s_andn2_b64 s[0:1], s[78:79], exec
	s_and_b64 s[2:3], s[20:21], exec
	s_and_b64 s[26:27], s[14:15], exec
	s_or_b64 s[24:25], s[0:1], s[2:3]
.LBB159_419:
	s_or_b64 exec, exec, s[80:81]
	s_andn2_b64 s[0:1], s[78:79], exec
	s_and_b64 s[2:3], s[24:25], exec
	s_and_b64 s[26:27], s[26:27], exec
	;; [unrolled: 1-line block ×3, first 2 shown]
	s_or_b64 s[78:79], s[0:1], s[2:3]
.LBB159_420:
	s_or_b64 exec, exec, s[76:77]
	s_andn2_b64 s[0:1], s[72:73], exec
	s_and_b64 s[2:3], s[78:79], exec
	s_and_b64 s[24:25], s[26:27], exec
	;; [unrolled: 1-line block ×3, first 2 shown]
	s_or_b64 s[72:73], s[0:1], s[2:3]
.LBB159_421:
	s_or_b64 exec, exec, s[74:75]
	s_andn2_b64 s[0:1], s[68:69], exec
	s_and_b64 s[2:3], s[72:73], exec
	s_and_b64 s[20:21], s[24:25], exec
	;; [unrolled: 1-line block ×3, first 2 shown]
	s_or_b64 s[68:69], s[0:1], s[2:3]
	s_or_b64 exec, exec, s[70:71]
	s_mov_b64 s[0:1], 0
	s_and_saveexec_b64 s[2:3], s[68:69]
	s_cbranch_execz .LBB159_122
.LBB159_422:
	s_mov_b64 s[0:1], exec
	s_andn2_b64 s[74:75], s[74:75], exec
	s_trap 2
	s_or_b64 exec, exec, s[2:3]
	s_and_saveexec_b64 s[2:3], s[74:75]
	s_xor_b64 s[2:3], exec, s[2:3]
	s_cbranch_execnz .LBB159_123
.LBB159_423:
	s_or_b64 exec, exec, s[2:3]
	s_and_saveexec_b64 s[2:3], s[20:21]
	s_xor_b64 s[2:3], exec, s[2:3]
	s_cbranch_execz .LBB159_461
.LBB159_424:
	v_cmp_gt_i16_e32 vcc, 5, v23
	s_mov_b64 s[6:7], -1
	s_cbranch_vccnz .LBB159_445
; %bb.425:
	v_cmp_gt_i16_e32 vcc, 8, v23
	s_cbranch_vccnz .LBB159_435
; %bb.426:
	v_cmp_gt_i16_e32 vcc, 9, v23
	s_cbranch_vccnz .LBB159_432
; %bb.427:
	v_cmp_lt_i16_e32 vcc, 9, v23
	s_cbranch_vccz .LBB159_429
; %bb.428:
	v_mov_b32_e32 v2, 0
	v_mov_b32_e32 v3, v2
	s_mov_b64 s[6:7], 0
	global_store_dwordx4 v[6:7], v[0:3], off
.LBB159_429:
	s_andn2_b64 vcc, exec, s[6:7]
	s_cbranch_vccnz .LBB159_431
; %bb.430:
	v_mov_b32_e32 v5, 0
	global_store_dwordx2 v[6:7], v[4:5], off
.LBB159_431:
	s_mov_b64 s[6:7], 0
.LBB159_432:
	s_andn2_b64 vcc, exec, s[6:7]
	s_cbranch_vccnz .LBB159_434
; %bb.433:
	global_store_dword v[6:7], v8, off
.LBB159_434:
	s_mov_b64 s[6:7], 0
.LBB159_435:
	s_andn2_b64 vcc, exec, s[6:7]
	s_cbranch_vccnz .LBB159_444
; %bb.436:
	v_cmp_gt_i16_e32 vcc, 6, v23
	s_mov_b64 s[6:7], -1
	s_cbranch_vccnz .LBB159_442
; %bb.437:
	v_cmp_lt_i16_e32 vcc, 6, v23
	s_cbranch_vccz .LBB159_439
; %bb.438:
	s_mov_b64 s[6:7], 0
	global_store_dwordx2 v[6:7], v[0:1], off
.LBB159_439:
	s_andn2_b64 vcc, exec, s[6:7]
	s_cbranch_vccnz .LBB159_441
; %bb.440:
	global_store_dword v[6:7], v4, off
.LBB159_441:
	s_mov_b64 s[6:7], 0
.LBB159_442:
	s_andn2_b64 vcc, exec, s[6:7]
	s_cbranch_vccnz .LBB159_444
; %bb.443:
	global_store_short v[6:7], v8, off
.LBB159_444:
	s_mov_b64 s[6:7], 0
.LBB159_445:
	s_andn2_b64 vcc, exec, s[6:7]
	s_cbranch_vccnz .LBB159_461
; %bb.446:
	v_cmp_gt_i16_e32 vcc, 2, v23
	s_mov_b64 s[6:7], -1
	s_cbranch_vccnz .LBB159_456
; %bb.447:
	v_cmp_gt_i16_e32 vcc, 3, v23
	s_cbranch_vccnz .LBB159_453
; %bb.448:
	v_cmp_lt_i16_e32 vcc, 3, v23
	s_cbranch_vccz .LBB159_450
; %bb.449:
	v_pk_mov_b32 v[0:1], s[50:51], s[50:51] op_sel:[0,1]
	s_mov_b64 s[6:7], 0
	global_store_dwordx2 v[6:7], v[0:1], off
.LBB159_450:
	s_andn2_b64 vcc, exec, s[6:7]
	s_cbranch_vccnz .LBB159_452
; %bb.451:
	v_mov_b32_e32 v0, s50
	global_store_dword v[6:7], v0, off
.LBB159_452:
	s_mov_b64 s[6:7], 0
.LBB159_453:
	s_andn2_b64 vcc, exec, s[6:7]
	s_cbranch_vccnz .LBB159_455
; %bb.454:
	v_mov_b32_e32 v0, s83
	global_store_short v[6:7], v0, off
.LBB159_455:
	s_mov_b64 s[6:7], 0
.LBB159_456:
	s_andn2_b64 vcc, exec, s[6:7]
	s_cbranch_vccnz .LBB159_461
; %bb.457:
	v_cmp_lt_i16_e32 vcc, 0, v23
	s_mov_b64 s[6:7], -1
	s_cbranch_vccz .LBB159_459
; %bb.458:
	v_mov_b32_e32 v0, s83
	s_mov_b64 s[6:7], 0
	global_store_byte v[6:7], v0, off
.LBB159_459:
	s_andn2_b64 vcc, exec, s[6:7]
	s_cbranch_vccnz .LBB159_461
; %bb.460:
	v_mov_b32_e32 v0, s83
	global_store_byte v[6:7], v0, off
.LBB159_461:
	s_or_b64 exec, exec, s[2:3]
	s_and_b64 s[6:7], s[0:1], exec
                                        ; implicit-def: $vgpr8
                                        ; implicit-def: $vgpr9
.LBB159_462:
	s_or_saveexec_b64 s[24:25], s[48:49]
	s_mov_b64 s[0:1], 0
                                        ; implicit-def: $vgpr2
                                        ; implicit-def: $vgpr0_vgpr1
                                        ; implicit-def: $sgpr14
	s_xor_b64 exec, exec, s[24:25]
	s_cbranch_execz .LBB159_948
; %bb.463:
	v_cndmask_b32_e64 v0, 0, 1, s[46:47]
	v_cmp_ne_u32_e64 s[0:1], 1, v0
	s_andn2_b64 vcc, exec, s[46:47]
	s_cbranch_vccnz .LBB159_469
; %bb.464:
	s_waitcnt lgkmcnt(0)
	s_mov_b32 s28, 0
	s_cmp_eq_u32 s33, 0
	v_mov_b32_e32 v6, 0
	s_cbranch_scc1 .LBB159_473
; %bb.465:
	s_min_u32 s29, s82, 15
	s_add_i32 s29, s29, 1
	s_cmp_eq_u32 s82, 2
	v_mov_b32_e32 v6, 0
	s_cbranch_scc1 .LBB159_470
; %bb.466:
	s_add_u32 s2, s34, 0xc4
	s_addc_u32 s3, s35, 0
	s_and_b32 s28, s29, 28
	s_mov_b32 s30, 0
	v_mov_b32_e32 v6, 0
	s_mov_b64 s[26:27], s[34:35]
	v_mov_b32_e32 v0, v9
.LBB159_467:                            ; =>This Inner Loop Header: Depth=1
	s_load_dwordx8 s[8:15], s[26:27], 0x4
	s_load_dwordx4 s[16:19], s[26:27], 0x24
	s_load_dwordx4 s[20:23], s[2:3], 0x0
	s_add_u32 s26, s26, 48
	s_addc_u32 s27, s27, 0
	s_waitcnt lgkmcnt(0)
	v_mul_hi_u32 v1, s9, v0
	v_add_u32_e32 v1, v0, v1
	v_lshrrev_b32_e32 v1, s10, v1
	v_mul_lo_u32 v2, v1, s8
	v_mul_hi_u32 v3, s12, v1
	v_sub_u32_e32 v0, v0, v2
	v_add_u32_e32 v2, v1, v3
	v_lshrrev_b32_e32 v2, s13, v2
	v_mul_lo_u32 v3, v2, s11
	v_mul_hi_u32 v4, s15, v2
	v_sub_u32_e32 v1, v1, v3
	v_add_u32_e32 v3, v2, v4
	v_mul_lo_u32 v0, v0, s20
	v_mul_lo_u32 v1, v1, s21
	v_lshrrev_b32_e32 v3, s16, v3
	v_add3_u32 v1, v0, v6, v1
	v_mul_lo_u32 v0, v3, s14
	v_mul_hi_u32 v4, s18, v3
	v_sub_u32_e32 v0, v2, v0
	v_add_u32_e32 v2, v3, v4
	v_mul_lo_u32 v4, v0, s22
	v_lshrrev_b32_e32 v0, s19, v2
	s_add_i32 s30, s30, 4
	v_mul_lo_u32 v2, v0, s17
	s_add_u32 s2, s2, 16
	v_sub_u32_e32 v2, v3, v2
	s_addc_u32 s3, s3, 0
	v_mul_lo_u32 v2, v2, s23
	s_cmp_lg_u32 s28, s30
	v_add3_u32 v6, v4, v1, v2
	s_cbranch_scc1 .LBB159_467
; %bb.468:
	s_and_b32 s10, s29, 3
	s_cmp_eq_u32 s10, 0
	s_cbranch_scc0 .LBB159_471
	s_branch .LBB159_473
.LBB159_469:
                                        ; implicit-def: $vgpr6
	s_branch .LBB159_474
.LBB159_470:
	v_mov_b32_e32 v0, v9
	s_and_b32 s10, s29, 3
	s_cmp_eq_u32 s10, 0
	s_cbranch_scc1 .LBB159_473
.LBB159_471:
	s_lshl_b32 s2, s28, 2
	s_add_u32 s2, s2, s34
	s_addc_u32 s3, 0, s35
	s_add_u32 s2, s2, 0xc4
	s_addc_u32 s3, s3, 0
	s_mul_i32 s8, s28, 12
	s_add_u32 s8, s34, s8
	s_addc_u32 s9, 0, s35
.LBB159_472:                            ; =>This Inner Loop Header: Depth=1
	s_load_dwordx2 s[12:13], s[8:9], 0x4
	s_load_dword s11, s[8:9], 0xc
	s_load_dword s14, s[2:3], 0x0
	s_add_u32 s8, s8, 12
	s_addc_u32 s9, s9, 0
	s_waitcnt lgkmcnt(0)
	v_mul_hi_u32 v1, s13, v0
	v_add_u32_e32 v1, v0, v1
	v_lshrrev_b32_e32 v1, s11, v1
	s_add_u32 s2, s2, 4
	v_mul_lo_u32 v2, v1, s12
	s_addc_u32 s3, s3, 0
	s_add_i32 s10, s10, -1
	v_sub_u32_e32 v2, v0, v2
	s_cmp_lg_u32 s10, 0
	v_mov_b32_e32 v0, v1
	v_mad_u64_u32 v[6:7], s[12:13], v2, s14, v[6:7]
	s_cbranch_scc1 .LBB159_472
.LBB159_473:
	s_cbranch_execnz .LBB159_476
.LBB159_474:
	s_load_dwordx4 s[8:11], s[34:35], 0x4
	s_load_dword s2, s[34:35], 0xc4
	s_cmp_lt_u32 s33, 2
	s_waitcnt lgkmcnt(0)
	v_mul_hi_u32 v0, s9, v9
	v_add_u32_e32 v0, v9, v0
	v_lshrrev_b32_e32 v0, s10, v0
	v_mul_lo_u32 v1, v0, s8
	v_sub_u32_e32 v1, v9, v1
	v_mul_lo_u32 v6, v1, s2
	s_cbranch_scc1 .LBB159_476
; %bb.475:
	s_load_dwordx4 s[8:11], s[34:35], 0x10
	s_load_dword s2, s[34:35], 0xc8
	s_waitcnt lgkmcnt(0)
	v_mul_hi_u32 v1, s9, v0
	v_add_u32_e32 v1, v0, v1
	v_lshrrev_b32_e32 v1, s10, v1
	v_mul_lo_u32 v1, v1, s8
	v_sub_u32_e32 v0, v0, v1
	v_mad_u64_u32 v[6:7], s[2:3], v0, s2, v[6:7]
.LBB159_476:
	s_and_b64 vcc, exec, s[0:1]
	v_add_u32_e32 v0, 0x80, v9
	s_cbranch_vccnz .LBB159_482
; %bb.477:
	s_waitcnt lgkmcnt(0)
	s_mov_b32 s28, 0
	s_cmp_eq_u32 s33, 0
	v_mov_b32_e32 v4, 0
	s_cbranch_scc1 .LBB159_486
; %bb.478:
	s_min_u32 s29, s82, 15
	s_add_i32 s29, s29, 1
	s_cmp_eq_u32 s82, 2
	v_mov_b32_e32 v4, 0
	s_cbranch_scc1 .LBB159_483
; %bb.479:
	s_add_u32 s2, s34, 0xc4
	s_addc_u32 s3, s35, 0
	s_and_b32 s28, s29, 28
	s_mov_b32 s30, 0
	v_mov_b32_e32 v4, 0
	s_mov_b64 s[26:27], s[34:35]
	v_mov_b32_e32 v1, v0
.LBB159_480:                            ; =>This Inner Loop Header: Depth=1
	s_load_dwordx8 s[8:15], s[26:27], 0x4
	s_load_dwordx4 s[16:19], s[26:27], 0x24
	s_load_dwordx4 s[20:23], s[2:3], 0x0
	s_add_u32 s26, s26, 48
	s_addc_u32 s27, s27, 0
	s_waitcnt lgkmcnt(0)
	v_mul_hi_u32 v2, s9, v1
	v_add_u32_e32 v2, v1, v2
	v_lshrrev_b32_e32 v2, s10, v2
	v_mul_lo_u32 v3, v2, s8
	v_mul_hi_u32 v5, s12, v2
	v_sub_u32_e32 v1, v1, v3
	v_add_u32_e32 v3, v2, v5
	v_lshrrev_b32_e32 v3, s13, v3
	v_mul_lo_u32 v5, v3, s11
	v_mul_hi_u32 v7, s15, v3
	v_sub_u32_e32 v2, v2, v5
	v_add_u32_e32 v5, v3, v7
	v_mul_lo_u32 v1, v1, s20
	v_mul_lo_u32 v2, v2, s21
	v_lshrrev_b32_e32 v5, s16, v5
	v_add3_u32 v2, v1, v4, v2
	v_mul_lo_u32 v1, v5, s14
	v_mul_hi_u32 v4, s18, v5
	v_sub_u32_e32 v1, v3, v1
	v_add_u32_e32 v3, v5, v4
	v_mul_lo_u32 v4, v1, s22
	v_lshrrev_b32_e32 v1, s19, v3
	s_add_i32 s30, s30, 4
	v_mul_lo_u32 v3, v1, s17
	s_add_u32 s2, s2, 16
	v_sub_u32_e32 v3, v5, v3
	s_addc_u32 s3, s3, 0
	v_mul_lo_u32 v3, v3, s23
	s_cmp_lg_u32 s28, s30
	v_add3_u32 v4, v4, v2, v3
	s_cbranch_scc1 .LBB159_480
; %bb.481:
	s_and_b32 s10, s29, 3
	s_cmp_eq_u32 s10, 0
	s_cbranch_scc0 .LBB159_484
	s_branch .LBB159_486
.LBB159_482:
                                        ; implicit-def: $vgpr4
	s_branch .LBB159_487
.LBB159_483:
	v_mov_b32_e32 v1, v0
	s_and_b32 s10, s29, 3
	s_cmp_eq_u32 s10, 0
	s_cbranch_scc1 .LBB159_486
.LBB159_484:
	s_lshl_b32 s2, s28, 2
	s_add_u32 s2, s2, s34
	s_addc_u32 s3, 0, s35
	s_add_u32 s2, s2, 0xc4
	s_addc_u32 s3, s3, 0
	s_mul_i32 s8, s28, 12
	s_add_u32 s8, s34, s8
	s_addc_u32 s9, 0, s35
.LBB159_485:                            ; =>This Inner Loop Header: Depth=1
	s_load_dwordx2 s[12:13], s[8:9], 0x4
	s_load_dword s11, s[8:9], 0xc
	s_load_dword s14, s[2:3], 0x0
	s_add_u32 s8, s8, 12
	s_addc_u32 s9, s9, 0
	s_waitcnt lgkmcnt(0)
	v_mul_hi_u32 v2, s13, v1
	v_add_u32_e32 v2, v1, v2
	v_lshrrev_b32_e32 v2, s11, v2
	s_add_u32 s2, s2, 4
	v_mul_lo_u32 v3, v2, s12
	s_addc_u32 s3, s3, 0
	s_add_i32 s10, s10, -1
	v_sub_u32_e32 v3, v1, v3
	s_cmp_lg_u32 s10, 0
	v_mov_b32_e32 v1, v2
	v_mad_u64_u32 v[4:5], s[12:13], v3, s14, v[4:5]
	s_cbranch_scc1 .LBB159_485
.LBB159_486:
	s_cbranch_execnz .LBB159_489
.LBB159_487:
	s_load_dwordx4 s[8:11], s[34:35], 0x4
	s_load_dword s2, s[34:35], 0xc4
	s_cmp_lt_u32 s33, 2
	s_waitcnt lgkmcnt(0)
	v_mul_hi_u32 v1, s9, v0
	v_add_u32_e32 v1, v0, v1
	v_lshrrev_b32_e32 v1, s10, v1
	v_mul_lo_u32 v2, v1, s8
	v_sub_u32_e32 v0, v0, v2
	v_mul_lo_u32 v4, v0, s2
	s_cbranch_scc1 .LBB159_489
; %bb.488:
	s_load_dwordx4 s[8:11], s[34:35], 0x10
	s_load_dword s2, s[34:35], 0xc8
	s_waitcnt lgkmcnt(0)
	v_mul_hi_u32 v0, s9, v1
	v_add_u32_e32 v0, v1, v0
	v_lshrrev_b32_e32 v0, s10, v0
	v_mul_lo_u32 v0, v0, s8
	v_sub_u32_e32 v0, v1, v0
	v_mad_u64_u32 v[4:5], s[2:3], v0, s2, v[4:5]
.LBB159_489:
	s_and_b64 vcc, exec, s[0:1]
	v_add_u32_e32 v0, 0x100, v9
	s_cbranch_vccnz .LBB159_495
; %bb.490:
	s_waitcnt lgkmcnt(0)
	s_mov_b32 s28, 0
	s_cmp_eq_u32 s33, 0
	v_mov_b32_e32 v2, 0
	s_cbranch_scc1 .LBB159_499
; %bb.491:
	s_min_u32 s29, s82, 15
	s_add_i32 s29, s29, 1
	s_cmp_eq_u32 s82, 2
	v_mov_b32_e32 v2, 0
	s_cbranch_scc1 .LBB159_496
; %bb.492:
	s_add_u32 s2, s34, 0xc4
	s_addc_u32 s3, s35, 0
	s_and_b32 s28, s29, 28
	s_mov_b32 s30, 0
	v_mov_b32_e32 v2, 0
	s_mov_b64 s[26:27], s[34:35]
	v_mov_b32_e32 v1, v0
.LBB159_493:                            ; =>This Inner Loop Header: Depth=1
	s_load_dwordx8 s[8:15], s[26:27], 0x4
	s_load_dwordx4 s[16:19], s[26:27], 0x24
	s_load_dwordx4 s[20:23], s[2:3], 0x0
	s_add_u32 s26, s26, 48
	s_addc_u32 s27, s27, 0
	s_waitcnt lgkmcnt(0)
	v_mul_hi_u32 v3, s9, v1
	v_add_u32_e32 v3, v1, v3
	v_lshrrev_b32_e32 v3, s10, v3
	v_mul_lo_u32 v5, v3, s8
	v_mul_hi_u32 v7, s12, v3
	v_sub_u32_e32 v1, v1, v5
	v_add_u32_e32 v5, v3, v7
	v_lshrrev_b32_e32 v5, s13, v5
	v_mul_lo_u32 v7, v5, s11
	v_mul_hi_u32 v9, s15, v5
	v_sub_u32_e32 v3, v3, v7
	v_add_u32_e32 v7, v5, v9
	v_mul_lo_u32 v1, v1, s20
	v_mul_lo_u32 v3, v3, s21
	v_lshrrev_b32_e32 v7, s16, v7
	v_add3_u32 v2, v1, v2, v3
	v_mul_lo_u32 v1, v7, s14
	v_mul_hi_u32 v3, s18, v7
	v_sub_u32_e32 v1, v5, v1
	v_add_u32_e32 v3, v7, v3
	v_mul_lo_u32 v5, v1, s22
	v_lshrrev_b32_e32 v1, s19, v3
	s_add_i32 s30, s30, 4
	v_mul_lo_u32 v3, v1, s17
	s_add_u32 s2, s2, 16
	v_sub_u32_e32 v3, v7, v3
	s_addc_u32 s3, s3, 0
	v_mul_lo_u32 v3, v3, s23
	s_cmp_lg_u32 s28, s30
	v_add3_u32 v2, v5, v2, v3
	s_cbranch_scc1 .LBB159_493
; %bb.494:
	s_and_b32 s10, s29, 3
	s_cmp_eq_u32 s10, 0
	s_cbranch_scc0 .LBB159_497
	s_branch .LBB159_499
.LBB159_495:
                                        ; implicit-def: $vgpr2
	s_branch .LBB159_500
.LBB159_496:
	v_mov_b32_e32 v1, v0
	s_and_b32 s10, s29, 3
	s_cmp_eq_u32 s10, 0
	s_cbranch_scc1 .LBB159_499
.LBB159_497:
	s_lshl_b32 s2, s28, 2
	s_add_u32 s2, s2, s34
	s_addc_u32 s3, 0, s35
	s_add_u32 s2, s2, 0xc4
	s_addc_u32 s3, s3, 0
	s_mul_i32 s8, s28, 12
	s_add_u32 s8, s34, s8
	s_addc_u32 s9, 0, s35
.LBB159_498:                            ; =>This Inner Loop Header: Depth=1
	s_load_dwordx2 s[12:13], s[8:9], 0x4
	s_load_dword s11, s[8:9], 0xc
	s_load_dword s14, s[2:3], 0x0
	s_add_u32 s8, s8, 12
	s_addc_u32 s9, s9, 0
	s_waitcnt lgkmcnt(0)
	v_mul_hi_u32 v3, s13, v1
	v_add_u32_e32 v3, v1, v3
	v_lshrrev_b32_e32 v3, s11, v3
	s_add_u32 s2, s2, 4
	v_mul_lo_u32 v5, v3, s12
	s_addc_u32 s3, s3, 0
	s_add_i32 s10, s10, -1
	v_sub_u32_e32 v5, v1, v5
	s_cmp_lg_u32 s10, 0
	v_mov_b32_e32 v1, v3
	v_mad_u64_u32 v[2:3], s[12:13], v5, s14, v[2:3]
	s_cbranch_scc1 .LBB159_498
.LBB159_499:
	s_cbranch_execnz .LBB159_502
.LBB159_500:
	s_load_dwordx4 s[8:11], s[34:35], 0x4
	s_load_dword s2, s[34:35], 0xc4
	s_cmp_lt_u32 s33, 2
	s_waitcnt lgkmcnt(0)
	v_mul_hi_u32 v1, s9, v0
	v_add_u32_e32 v1, v0, v1
	v_lshrrev_b32_e32 v1, s10, v1
	v_mul_lo_u32 v2, v1, s8
	v_sub_u32_e32 v0, v0, v2
	v_mul_lo_u32 v2, v0, s2
	s_cbranch_scc1 .LBB159_502
; %bb.501:
	s_load_dwordx4 s[8:11], s[34:35], 0x10
	s_load_dword s2, s[34:35], 0xc8
	s_waitcnt lgkmcnt(0)
	v_mul_hi_u32 v0, s9, v1
	v_add_u32_e32 v0, v1, v0
	v_lshrrev_b32_e32 v0, s10, v0
	v_mul_lo_u32 v0, v0, s8
	v_sub_u32_e32 v0, v1, v0
	v_mad_u64_u32 v[2:3], s[2:3], v0, s2, v[2:3]
.LBB159_502:
	s_and_b64 vcc, exec, s[0:1]
	s_cbranch_vccnz .LBB159_508
; %bb.503:
	s_mov_b32 s26, 0
	s_cmp_eq_u32 s33, 0
	v_mov_b32_e32 v0, 0
	s_cbranch_scc1 .LBB159_512
; %bb.504:
	s_min_u32 s27, s82, 15
	s_add_i32 s27, s27, 1
	s_cmp_eq_u32 s82, 2
	v_mov_b32_e32 v0, 0
	s_cbranch_scc1 .LBB159_509
; %bb.505:
	s_add_u32 s20, s34, 0xc4
	s_addc_u32 s21, s35, 0
	s_and_b32 s26, s27, 28
	s_waitcnt lgkmcnt(0)
	s_mov_b32 s28, 0
	v_mov_b32_e32 v0, 0
	s_mov_b64 s[22:23], s[34:35]
	v_mov_b32_e32 v3, v8
.LBB159_506:                            ; =>This Inner Loop Header: Depth=1
	s_load_dwordx8 s[8:15], s[22:23], 0x4
	s_load_dwordx4 s[0:3], s[22:23], 0x24
	s_load_dwordx4 s[16:19], s[20:21], 0x0
	s_add_u32 s22, s22, 48
	s_addc_u32 s23, s23, 0
	s_waitcnt lgkmcnt(0)
	v_mul_hi_u32 v1, s9, v3
	v_add_u32_e32 v1, v3, v1
	v_lshrrev_b32_e32 v1, s10, v1
	v_mul_lo_u32 v5, v1, s8
	v_mul_hi_u32 v7, s12, v1
	v_sub_u32_e32 v3, v3, v5
	v_add_u32_e32 v5, v1, v7
	v_lshrrev_b32_e32 v5, s13, v5
	v_mul_lo_u32 v7, v5, s11
	v_mul_hi_u32 v9, s15, v5
	v_sub_u32_e32 v1, v1, v7
	v_add_u32_e32 v7, v5, v9
	v_mul_lo_u32 v3, v3, s16
	v_mul_lo_u32 v1, v1, s17
	v_lshrrev_b32_e32 v7, s0, v7
	v_add3_u32 v0, v3, v0, v1
	v_mul_hi_u32 v3, s2, v7
	v_add_u32_e32 v3, v7, v3
	v_mul_lo_u32 v1, v7, s14
	v_lshrrev_b32_e32 v3, s3, v3
	s_add_i32 s28, s28, 4
	v_sub_u32_e32 v1, v5, v1
	v_mul_lo_u32 v5, v3, s1
	s_add_u32 s20, s20, 16
	v_sub_u32_e32 v5, v7, v5
	s_addc_u32 s21, s21, 0
	v_mul_lo_u32 v1, v1, s18
	v_mul_lo_u32 v5, v5, s19
	s_cmp_lg_u32 s26, s28
	v_add3_u32 v0, v1, v0, v5
	s_cbranch_scc1 .LBB159_506
; %bb.507:
	s_and_b32 s8, s27, 3
	s_cmp_eq_u32 s8, 0
	s_cbranch_scc0 .LBB159_510
	s_branch .LBB159_512
.LBB159_508:
                                        ; implicit-def: $vgpr0
	s_branch .LBB159_513
.LBB159_509:
	v_mov_b32_e32 v3, v8
	s_and_b32 s8, s27, 3
	s_cmp_eq_u32 s8, 0
	s_cbranch_scc1 .LBB159_512
.LBB159_510:
	s_lshl_b32 s0, s26, 2
	s_add_u32 s0, s0, s34
	s_addc_u32 s1, 0, s35
	s_add_u32 s0, s0, 0xc4
	s_addc_u32 s1, s1, 0
	s_mul_i32 s2, s26, 12
	s_add_u32 s2, s34, s2
	s_addc_u32 s3, 0, s35
.LBB159_511:                            ; =>This Inner Loop Header: Depth=1
	s_load_dwordx2 s[10:11], s[2:3], 0x4
	s_load_dword s9, s[2:3], 0xc
	s_load_dword s12, s[0:1], 0x0
	s_add_u32 s2, s2, 12
	s_addc_u32 s3, s3, 0
	s_waitcnt lgkmcnt(0)
	v_mul_hi_u32 v1, s11, v3
	v_add_u32_e32 v1, v3, v1
	v_lshrrev_b32_e32 v1, s9, v1
	s_add_u32 s0, s0, 4
	v_mul_lo_u32 v5, v1, s10
	s_addc_u32 s1, s1, 0
	s_add_i32 s8, s8, -1
	v_sub_u32_e32 v5, v3, v5
	s_cmp_lg_u32 s8, 0
	v_mov_b32_e32 v3, v1
	v_mad_u64_u32 v[0:1], s[10:11], v5, s12, v[0:1]
	s_cbranch_scc1 .LBB159_511
.LBB159_512:
	s_cbranch_execnz .LBB159_515
.LBB159_513:
	s_load_dwordx4 s[0:3], s[34:35], 0x4
	s_waitcnt lgkmcnt(0)
	s_load_dword s3, s[34:35], 0xc4
	s_cmp_lt_u32 s33, 2
	v_mul_hi_u32 v0, s1, v8
	v_add_u32_e32 v0, v8, v0
	v_lshrrev_b32_e32 v1, s2, v0
	v_mul_lo_u32 v0, v1, s0
	v_sub_u32_e32 v0, v8, v0
	s_waitcnt lgkmcnt(0)
	v_mul_lo_u32 v0, v0, s3
	s_cbranch_scc1 .LBB159_515
; %bb.514:
	s_load_dwordx4 s[0:3], s[34:35], 0x10
	s_waitcnt lgkmcnt(0)
	s_load_dword s3, s[34:35], 0xc8
	v_mul_hi_u32 v3, s1, v1
	v_add_u32_e32 v3, v1, v3
	v_lshrrev_b32_e32 v3, s2, v3
	v_mul_lo_u32 v3, v3, s0
	v_sub_u32_e32 v1, v1, v3
	s_waitcnt lgkmcnt(0)
	v_mad_u64_u32 v[0:1], s[0:1], v1, s3, v[0:1]
.LBB159_515:
	s_load_dwordx2 s[0:1], s[34:35], 0x108
	s_load_dword s14, s[34:35], 0x110
	s_load_dword s2, s[4:5], 0x118
	s_waitcnt lgkmcnt(0)
	v_mov_b32_e32 v1, s1
	v_add_co_u32_e32 v6, vcc, s0, v6
	v_addc_co_u32_e32 v7, vcc, 0, v1, vcc
	s_lshr_b32 s15, s2, 16
	v_mov_b32_e32 v1, 11
	v_cmp_lt_i16_sdwa s[2:3], s15, v1 src0_sel:BYTE_0 src1_sel:DWORD
	s_and_b64 vcc, exec, s[2:3]
	s_cbranch_vccnz .LBB159_522
; %bb.516:
	v_mov_b32_e32 v1, 25
	v_cmp_gt_i16_sdwa s[2:3], s15, v1 src0_sel:BYTE_0 src1_sel:DWORD
	s_mov_b64 s[10:11], -1
	s_mov_b64 s[4:5], 0
	s_and_b64 vcc, exec, s[2:3]
	s_mov_b64 s[8:9], 0
	s_mov_b64 s[2:3], 0
	s_cbranch_vccz .LBB159_554
; %bb.517:
	v_mov_b32_e32 v1, 28
	v_cmp_gt_i16_sdwa s[2:3], s15, v1 src0_sel:BYTE_0 src1_sel:DWORD
	s_and_b64 vcc, exec, s[2:3]
	s_cbranch_vccz .LBB159_524
; %bb.518:
	v_mov_b32_e32 v1, 43
	v_cmp_gt_i16_sdwa s[2:3], s15, v1 src0_sel:BYTE_0 src1_sel:DWORD
	s_and_b64 vcc, exec, s[2:3]
	s_cbranch_vccz .LBB159_525
; %bb.519:
	v_mov_b32_e32 v1, 45
	v_cmp_gt_i16_sdwa s[2:3], s15, v1 src0_sel:BYTE_0 src1_sel:DWORD
	s_and_b64 vcc, exec, s[2:3]
	s_cbranch_vccz .LBB159_526
; %bb.520:
	v_mov_b32_e32 v1, 46
	v_cmp_eq_u16_sdwa s[8:9], s15, v1 src0_sel:BYTE_0 src1_sel:DWORD
	s_mov_b64 s[2:3], -1
	s_mov_b64 s[10:11], 0
	s_and_b64 vcc, exec, s[8:9]
	s_mov_b64 s[8:9], 0
	s_cbranch_vccz .LBB159_527
; %bb.521:
	s_and_b32 s2, 0xffff, s14
	v_cvt_f32_u32_e32 v1, s2
	s_mov_b64 s[2:3], 0
	s_mov_b64 s[8:9], -1
	v_bfe_u32 v3, v1, 16, 1
	v_add_u32_e32 v1, v1, v3
	v_add_u32_e32 v1, 0x7fff, v1
	v_lshrrev_b32_e32 v1, 16, v1
	global_store_dword v[6:7], v1, off
	s_branch .LBB159_527
.LBB159_522:
	s_mov_b64 s[8:9], 0
	s_mov_b64 s[2:3], s[6:7]
	s_cbranch_execnz .LBB159_604
.LBB159_523:
	s_andn2_b64 vcc, exec, s[8:9]
	s_cbranch_vccz .LBB159_642
	s_branch .LBB159_946
.LBB159_524:
	s_mov_b64 s[2:3], 0
	s_and_b64 vcc, exec, s[10:11]
	s_cbranch_vccz .LBB159_553
	s_branch .LBB159_536
.LBB159_525:
	s_mov_b64 s[2:3], 0
	s_and_b64 vcc, exec, s[10:11]
	s_cbranch_vccnz .LBB159_533
	s_branch .LBB159_535
.LBB159_526:
	s_mov_b64 s[2:3], 0
.LBB159_527:
	s_and_b64 vcc, exec, s[10:11]
	s_cbranch_vccz .LBB159_532
; %bb.528:
	v_mov_b32_e32 v1, 44
	v_cmp_eq_u16_sdwa s[10:11], s15, v1 src0_sel:BYTE_0 src1_sel:DWORD
	s_mov_b64 s[2:3], -1
	s_and_b64 vcc, exec, s[10:11]
	s_cbranch_vccz .LBB159_532
; %bb.529:
	s_and_b32 s2, 0xffff, s14
	v_cvt_f32_u32_e32 v1, s2
	v_readfirstlane_b32 s3, v1
	s_lshr_b32 s2, s3, 23
	s_cmpk_eq_i32 s2, 0xff
	v_mov_b32_e32 v1, 0xff
	s_cbranch_scc1 .LBB159_531
; %bb.530:
	s_bitcmp1_b32 s3, 22
	s_cselect_b64 s[8:9], -1, 0
	s_and_b32 s3, s3, 0x3fffff
	s_or_b32 s3, s2, s3
	s_cmp_lg_u32 s3, 0
	s_cselect_b64 s[10:11], -1, 0
	s_and_b64 s[8:9], s[8:9], s[10:11]
	v_cndmask_b32_e64 v1, 0, 1, s[8:9]
	v_add_u32_e32 v1, s2, v1
.LBB159_531:
	s_mov_b64 s[2:3], 0
	s_mov_b64 s[8:9], -1
	global_store_byte v[6:7], v1, off
.LBB159_532:
	s_branch .LBB159_535
.LBB159_533:
	v_mov_b32_e32 v1, 29
	v_cmp_eq_u16_sdwa s[10:11], s15, v1 src0_sel:BYTE_0 src1_sel:DWORD
	s_mov_b64 s[2:3], -1
	s_and_b64 vcc, exec, s[10:11]
	s_cbranch_vccz .LBB159_535
; %bb.534:
	s_and_b32 s2, s14, 0xffff
	v_mov_b32_e32 v8, s2
	v_mov_b32_e32 v9, 0
	global_store_dwordx2 v[6:7], v[8:9], off
	s_mov_b64 s[2:3], 0
	s_mov_b64 s[8:9], -1
.LBB159_535:
	s_branch .LBB159_553
.LBB159_536:
	v_mov_b32_e32 v1, 27
	v_cmp_lt_i16_sdwa s[10:11], s15, v1 src0_sel:BYTE_0 src1_sel:DWORD
	s_mov_b64 s[8:9], -1
	s_and_b64 vcc, exec, s[10:11]
	s_cbranch_vccnz .LBB159_542
; %bb.537:
	v_cmp_gt_i16_sdwa s[10:11], s15, v1 src0_sel:BYTE_0 src1_sel:DWORD
	s_and_b64 vcc, exec, s[10:11]
	s_cbranch_vccz .LBB159_539
; %bb.538:
	s_and_b32 s8, 0xffff, s14
	v_mov_b32_e32 v1, s8
	s_mov_b64 s[8:9], 0
	global_store_dword v[6:7], v1, off
.LBB159_539:
	s_andn2_b64 vcc, exec, s[8:9]
	s_cbranch_vccnz .LBB159_541
; %bb.540:
	v_mov_b32_e32 v1, s14
	global_store_short v[6:7], v1, off
.LBB159_541:
	s_mov_b64 s[8:9], 0
.LBB159_542:
	s_andn2_b64 vcc, exec, s[8:9]
	s_cbranch_vccnz .LBB159_552
; %bb.543:
	s_and_b32 s8, 0xffff, s14
	v_cvt_f32_u32_e32 v1, s8
	s_mov_b32 s9, 0x437fffff
	v_mov_b32_e32 v5, 0x80
	v_cmp_lt_u32_e32 vcc, s9, v1
	v_readfirstlane_b32 s8, v1
	s_cbranch_vccnz .LBB159_551
; %bb.544:
	s_cmp_gt_u32 s8, 0x3bffffff
	s_cbranch_scc0 .LBB159_546
; %bb.545:
	s_bfe_u32 s9, s8, 0x10014
	s_add_i32 s8, s8, s9
	s_add_i32 s8, s8, 0x487ffff
	s_lshr_b32 s12, s8, 20
	s_mov_b64 s[10:11], 0
	s_mov_b64 s[8:9], -1
	s_branch .LBB159_547
.LBB159_546:
	s_mov_b64 s[10:11], -1
	s_mov_b64 s[8:9], 0
                                        ; implicit-def: $sgpr12
.LBB159_547:
	s_andn2_b64 vcc, exec, s[10:11]
	v_mov_b32_e32 v3, s12
                                        ; implicit-def: $sgpr10
	s_cbranch_vccnz .LBB159_549
; %bb.548:
	v_add_f32_e32 v1, 0x46000000, v1
	v_and_b32_e32 v3, 0xff, v1
	s_mov_b32 s10, 0
	v_cmp_ne_u32_e64 s[8:9], 0, v3
.LBB159_549:
	s_andn2_b64 vcc, exec, s[8:9]
	v_mov_b32_e32 v5, s10
	s_cbranch_vccnz .LBB159_551
; %bb.550:
	v_mov_b32_e32 v5, v3
.LBB159_551:
	global_store_byte v[6:7], v5, off
.LBB159_552:
	s_mov_b64 s[8:9], -1
.LBB159_553:
	s_mov_b64 s[10:11], 0
.LBB159_554:
	s_and_b64 vcc, exec, s[10:11]
	s_cbranch_vccz .LBB159_600
; %bb.555:
	v_mov_b32_e32 v1, 22
	v_cmp_gt_i16_sdwa s[10:11], s15, v1 src0_sel:BYTE_0 src1_sel:DWORD
	s_mov_b64 s[4:5], -1
	s_and_b64 vcc, exec, s[10:11]
	s_cbranch_vccz .LBB159_593
; %bb.556:
	v_mov_b32_e32 v1, 24
	v_cmp_lt_i16_sdwa s[8:9], s15, v1 src0_sel:BYTE_0 src1_sel:DWORD
	s_and_b64 vcc, exec, s[8:9]
	s_cbranch_vccnz .LBB159_580
; %bb.557:
	v_cmp_gt_i16_sdwa s[8:9], s15, v1 src0_sel:BYTE_0 src1_sel:DWORD
	s_and_b64 vcc, exec, s[8:9]
	s_cbranch_vccz .LBB159_567
; %bb.558:
	s_and_b32 s4, 0xffff, s14
	v_cvt_f32_u32_e32 v1, s4
	s_mov_b32 s5, 0x477fffff
	v_mov_b32_e32 v5, 0x80
	v_cmp_lt_u32_e32 vcc, s5, v1
	v_readfirstlane_b32 s4, v1
	s_cbranch_vccnz .LBB159_566
; %bb.559:
	s_cmp_gt_u32 s4, 0x37ffffff
	s_cbranch_scc0 .LBB159_561
; %bb.560:
	s_bfe_u32 s5, s4, 0x10015
	s_add_i32 s4, s4, s5
	s_add_i32 s4, s4, 0x88fffff
	s_lshr_b32 s10, s4, 21
	s_mov_b64 s[8:9], 0
	s_mov_b64 s[4:5], -1
	s_branch .LBB159_562
.LBB159_561:
	s_mov_b64 s[8:9], -1
	s_mov_b64 s[4:5], 0
                                        ; implicit-def: $sgpr10
.LBB159_562:
	s_andn2_b64 vcc, exec, s[8:9]
	v_mov_b32_e32 v3, s10
                                        ; implicit-def: $sgpr8
	s_cbranch_vccnz .LBB159_564
; %bb.563:
	v_add_f32_e32 v1, 0x42800000, v1
	v_and_b32_e32 v3, 0xff, v1
	s_mov_b32 s8, 0
	v_cmp_ne_u32_e64 s[4:5], 0, v3
.LBB159_564:
	s_andn2_b64 vcc, exec, s[4:5]
	v_mov_b32_e32 v5, s8
	s_cbranch_vccnz .LBB159_566
; %bb.565:
	v_mov_b32_e32 v5, v3
.LBB159_566:
	s_mov_b64 s[4:5], 0
	global_store_byte v[6:7], v5, off
.LBB159_567:
	s_and_b64 vcc, exec, s[4:5]
	s_cbranch_vccz .LBB159_579
; %bb.568:
	s_and_b32 s4, 0xffff, s14
	v_cvt_f32_u32_e32 v1, s4
	s_mov_b32 s4, 0x43f00000
	v_cmp_gt_u32_e32 vcc, s4, v1
	v_readfirstlane_b32 s8, v1
	s_cbranch_vccz .LBB159_571
; %bb.569:
	s_cmp_gt_u32 s8, 0x3c7fffff
	s_cbranch_scc0 .LBB159_572
; %bb.570:
	s_bfe_u32 s4, s8, 0x10014
	s_add_i32 s4, s8, s4
	s_add_i32 s4, s4, 0x407ffff
	s_lshr_b32 s5, s4, 20
	s_and_b32 s4, s4, 0xff00000
	s_cmp_lg_u32 s4, 0x7f00000
	s_cselect_b32 s9, s5, 0x7e
	s_mov_b64 s[4:5], 0
	s_branch .LBB159_573
.LBB159_571:
	s_mov_b64 s[4:5], -1
                                        ; implicit-def: $vgpr3
	s_branch .LBB159_576
.LBB159_572:
	s_mov_b64 s[4:5], -1
                                        ; implicit-def: $sgpr9
.LBB159_573:
	s_andn2_b64 vcc, exec, s[4:5]
	v_mov_b32_e32 v3, s9
	s_cbranch_vccnz .LBB159_575
; %bb.574:
	v_add_f32_e32 v3, 0x46800000, v1
.LBB159_575:
	s_mov_b64 s[4:5], 0
.LBB159_576:
	s_andn2_b64 vcc, exec, s[4:5]
	s_cbranch_vccnz .LBB159_578
; %bb.577:
	s_cmp_gt_u32 s8, 0x7f800000
	s_movk_i32 s4, 0x7f
	s_cselect_b32 s4, s4, 0x7e
	v_mov_b32_e32 v3, s4
.LBB159_578:
	global_store_byte v[6:7], v3, off
.LBB159_579:
	s_mov_b64 s[4:5], 0
.LBB159_580:
	s_andn2_b64 vcc, exec, s[4:5]
	s_cbranch_vccnz .LBB159_592
; %bb.581:
	s_and_b32 s4, 0xffff, s14
	v_cvt_f32_u32_e32 v1, s4
	s_mov_b32 s4, 0x47800000
	v_cmp_gt_u32_e32 vcc, s4, v1
	v_readfirstlane_b32 s8, v1
	s_cbranch_vccz .LBB159_584
; %bb.582:
	s_cmp_gt_u32 s8, 0x387fffff
	s_cbranch_scc0 .LBB159_585
; %bb.583:
	s_bfe_u32 s4, s8, 0x10015
	s_add_i32 s4, s8, s4
	s_add_i32 s4, s4, 0x80fffff
	s_lshr_b32 s9, s4, 21
	s_mov_b64 s[4:5], 0
	s_branch .LBB159_586
.LBB159_584:
	s_mov_b64 s[4:5], -1
                                        ; implicit-def: $vgpr3
	s_branch .LBB159_589
.LBB159_585:
	s_mov_b64 s[4:5], -1
                                        ; implicit-def: $sgpr9
.LBB159_586:
	s_andn2_b64 vcc, exec, s[4:5]
	v_mov_b32_e32 v3, s9
	s_cbranch_vccnz .LBB159_588
; %bb.587:
	v_add_f32_e32 v3, 0x43000000, v1
.LBB159_588:
	s_mov_b64 s[4:5], 0
.LBB159_589:
	s_andn2_b64 vcc, exec, s[4:5]
	s_cbranch_vccnz .LBB159_591
; %bb.590:
	s_cmp_gt_u32 s8, 0x7f800000
	s_movk_i32 s4, 0x7f
	s_cselect_b32 s4, s4, 0x7c
	v_mov_b32_e32 v3, s4
.LBB159_591:
	global_store_byte v[6:7], v3, off
.LBB159_592:
	s_mov_b64 s[4:5], 0
	s_mov_b64 s[8:9], -1
.LBB159_593:
	s_andn2_b64 vcc, exec, s[4:5]
	s_mov_b64 s[4:5], 0
	s_cbranch_vccnz .LBB159_600
; %bb.594:
	v_mov_b32_e32 v1, 14
	v_cmp_gt_i16_sdwa s[4:5], s15, v1 src0_sel:BYTE_0 src1_sel:DWORD
	s_mov_b64 s[10:11], -1
	s_and_b64 vcc, exec, s[4:5]
	s_cbranch_vccz .LBB159_598
; %bb.595:
	v_mov_b32_e32 v1, 15
	v_cmp_eq_u16_sdwa s[4:5], s15, v1 src0_sel:BYTE_0 src1_sel:DWORD
	s_mov_b64 s[2:3], -1
	s_and_b64 vcc, exec, s[4:5]
	s_cbranch_vccz .LBB159_597
; %bb.596:
	s_and_b32 s2, 0xffff, s14
	v_cvt_f32_u32_e32 v1, s2
	s_mov_b64 s[2:3], 0
	s_mov_b64 s[8:9], -1
	v_bfe_u32 v3, v1, 16, 1
	v_add_u32_e32 v1, v1, v3
	v_add_u32_e32 v1, 0x7fff, v1
	global_store_short_d16_hi v[6:7], v1, off
.LBB159_597:
	s_mov_b64 s[10:11], 0
.LBB159_598:
	s_mov_b64 s[4:5], 0
	s_and_b64 vcc, exec, s[10:11]
	s_cbranch_vccz .LBB159_600
; %bb.599:
	v_mov_b32_e32 v1, 11
	v_cmp_ne_u16_sdwa s[2:3], s15, v1 src0_sel:BYTE_0 src1_sel:DWORD
	s_mov_b64 s[4:5], -1
.LBB159_600:
	s_and_b64 vcc, exec, s[2:3]
	s_mov_b64 s[2:3], s[6:7]
	s_cbranch_vccnz .LBB159_653
; %bb.601:
	s_andn2_b64 vcc, exec, s[4:5]
	s_cbranch_vccnz .LBB159_603
.LBB159_602:
	v_cmp_ne_u16_e64 s[4:5], s14, 0
	v_cndmask_b32_e64 v1, 0, 1, s[4:5]
	global_store_byte v[6:7], v1, off
	s_mov_b64 s[8:9], -1
.LBB159_603:
	s_branch .LBB159_523
.LBB159_604:
	v_mov_b32_e32 v1, 5
	v_cmp_lt_i16_sdwa s[8:9], s15, v1 src0_sel:BYTE_0 src1_sel:DWORD
	s_mov_b64 s[4:5], -1
	s_and_b64 vcc, exec, s[8:9]
	s_cbranch_vccnz .LBB159_625
; %bb.605:
	v_mov_b32_e32 v1, 8
	v_cmp_lt_i16_sdwa s[8:9], s15, v1 src0_sel:BYTE_0 src1_sel:DWORD
	s_and_b64 vcc, exec, s[8:9]
	s_cbranch_vccnz .LBB159_615
; %bb.606:
	v_mov_b32_e32 v1, 9
	v_cmp_lt_i16_sdwa s[8:9], s15, v1 src0_sel:BYTE_0 src1_sel:DWORD
	s_and_b64 vcc, exec, s[8:9]
	s_cbranch_vccnz .LBB159_612
; %bb.607:
	v_cmp_gt_i16_sdwa s[8:9], s15, v1 src0_sel:BYTE_0 src1_sel:DWORD
	s_and_b64 vcc, exec, s[8:9]
	s_cbranch_vccz .LBB159_609
; %bb.608:
	s_and_b32 s4, 0xffff, s14
	v_mov_b32_e32 v10, 0
	v_cvt_f64_u32_e32 v[8:9], s4
	v_mov_b32_e32 v11, v10
	global_store_dwordx4 v[6:7], v[8:11], off
	s_mov_b64 s[4:5], 0
.LBB159_609:
	s_andn2_b64 vcc, exec, s[4:5]
	s_cbranch_vccnz .LBB159_611
; %bb.610:
	s_and_b32 s4, 0xffff, s14
	v_cvt_f32_u32_e32 v8, s4
	v_mov_b32_e32 v9, 0
	global_store_dwordx2 v[6:7], v[8:9], off
.LBB159_611:
	s_mov_b64 s[4:5], 0
.LBB159_612:
	s_andn2_b64 vcc, exec, s[4:5]
	s_cbranch_vccnz .LBB159_614
; %bb.613:
	v_cvt_f16_u16_e32 v1, s14
	global_store_dword v[6:7], v1, off
.LBB159_614:
	s_mov_b64 s[4:5], 0
.LBB159_615:
	s_andn2_b64 vcc, exec, s[4:5]
	s_cbranch_vccnz .LBB159_624
; %bb.616:
	v_mov_b32_e32 v1, 6
	v_cmp_lt_i16_sdwa s[8:9], s15, v1 src0_sel:BYTE_0 src1_sel:DWORD
	s_mov_b64 s[4:5], -1
	s_and_b64 vcc, exec, s[8:9]
	s_cbranch_vccnz .LBB159_622
; %bb.617:
	v_cmp_gt_i16_sdwa s[8:9], s15, v1 src0_sel:BYTE_0 src1_sel:DWORD
	s_and_b64 vcc, exec, s[8:9]
	s_cbranch_vccz .LBB159_619
; %bb.618:
	s_and_b32 s4, 0xffff, s14
	v_cvt_f64_u32_e32 v[8:9], s4
	global_store_dwordx2 v[6:7], v[8:9], off
	s_mov_b64 s[4:5], 0
.LBB159_619:
	s_andn2_b64 vcc, exec, s[4:5]
	s_cbranch_vccnz .LBB159_621
; %bb.620:
	s_and_b32 s4, 0xffff, s14
	v_cvt_f32_u32_e32 v1, s4
	global_store_dword v[6:7], v1, off
.LBB159_621:
	s_mov_b64 s[4:5], 0
.LBB159_622:
	s_andn2_b64 vcc, exec, s[4:5]
	s_cbranch_vccnz .LBB159_624
; %bb.623:
	v_cvt_f16_u16_e32 v1, s14
	global_store_short v[6:7], v1, off
.LBB159_624:
	s_mov_b64 s[4:5], 0
.LBB159_625:
	s_andn2_b64 vcc, exec, s[4:5]
	s_cbranch_vccnz .LBB159_641
; %bb.626:
	v_mov_b32_e32 v1, 2
	v_cmp_lt_i16_sdwa s[8:9], s15, v1 src0_sel:BYTE_0 src1_sel:DWORD
	s_mov_b64 s[4:5], -1
	s_and_b64 vcc, exec, s[8:9]
	s_cbranch_vccnz .LBB159_636
; %bb.627:
	v_mov_b32_e32 v1, 3
	v_cmp_lt_i16_sdwa s[8:9], s15, v1 src0_sel:BYTE_0 src1_sel:DWORD
	s_and_b64 vcc, exec, s[8:9]
	s_cbranch_vccnz .LBB159_633
; %bb.628:
	v_cmp_gt_i16_sdwa s[8:9], s15, v1 src0_sel:BYTE_0 src1_sel:DWORD
	s_and_b64 vcc, exec, s[8:9]
	s_cbranch_vccz .LBB159_630
; %bb.629:
	s_and_b32 s4, s14, 0xffff
	v_mov_b32_e32 v8, s4
	v_mov_b32_e32 v9, 0
	global_store_dwordx2 v[6:7], v[8:9], off
	s_mov_b64 s[4:5], 0
.LBB159_630:
	s_andn2_b64 vcc, exec, s[4:5]
	s_cbranch_vccnz .LBB159_632
; %bb.631:
	s_and_b32 s4, 0xffff, s14
	v_mov_b32_e32 v1, s4
	global_store_dword v[6:7], v1, off
.LBB159_632:
	s_mov_b64 s[4:5], 0
.LBB159_633:
	s_andn2_b64 vcc, exec, s[4:5]
	s_cbranch_vccnz .LBB159_635
; %bb.634:
	v_mov_b32_e32 v1, s14
	global_store_short v[6:7], v1, off
.LBB159_635:
	s_mov_b64 s[4:5], 0
.LBB159_636:
	s_andn2_b64 vcc, exec, s[4:5]
	s_cbranch_vccnz .LBB159_641
; %bb.637:
	v_mov_b32_e32 v1, 0
	v_cmp_gt_i16_sdwa s[8:9], s15, v1 src0_sel:BYTE_0 src1_sel:DWORD
	s_mov_b64 s[4:5], -1
	s_and_b64 vcc, exec, s[8:9]
	s_cbranch_vccz .LBB159_639
; %bb.638:
	v_mov_b32_e32 v1, s14
	global_store_byte v[6:7], v1, off
	s_mov_b64 s[4:5], 0
.LBB159_639:
	s_andn2_b64 vcc, exec, s[4:5]
	s_cbranch_vccnz .LBB159_641
; %bb.640:
	v_mov_b32_e32 v1, s14
	global_store_byte v[6:7], v1, off
.LBB159_641:
.LBB159_642:
	v_mov_b32_e32 v1, s1
	v_add_co_u32_e32 v4, vcc, s0, v4
	v_addc_co_u32_e32 v5, vcc, 0, v1, vcc
	v_mov_b32_e32 v1, 11
	v_cmp_lt_i16_sdwa s[4:5], s15, v1 src0_sel:BYTE_0 src1_sel:DWORD
	s_and_b64 vcc, exec, s[4:5]
	s_cbranch_vccnz .LBB159_649
; %bb.643:
	v_mov_b32_e32 v1, 25
	v_cmp_gt_i16_sdwa s[4:5], s15, v1 src0_sel:BYTE_0 src1_sel:DWORD
	s_mov_b64 s[12:13], -1
	s_mov_b64 s[8:9], 0
	s_and_b64 vcc, exec, s[4:5]
	s_mov_b64 s[10:11], 0
	s_mov_b64 s[4:5], 0
	s_cbranch_vccz .LBB159_684
; %bb.644:
	v_mov_b32_e32 v1, 28
	v_cmp_gt_i16_sdwa s[4:5], s15, v1 src0_sel:BYTE_0 src1_sel:DWORD
	s_and_b64 vcc, exec, s[4:5]
	s_cbranch_vccz .LBB159_651
; %bb.645:
	v_mov_b32_e32 v1, 43
	v_cmp_gt_i16_sdwa s[4:5], s15, v1 src0_sel:BYTE_0 src1_sel:DWORD
	s_and_b64 vcc, exec, s[4:5]
	s_cbranch_vccz .LBB159_652
; %bb.646:
	v_mov_b32_e32 v1, 45
	v_cmp_gt_i16_sdwa s[4:5], s15, v1 src0_sel:BYTE_0 src1_sel:DWORD
	s_and_b64 vcc, exec, s[4:5]
	s_cbranch_vccz .LBB159_654
; %bb.647:
	v_mov_b32_e32 v1, 46
	v_cmp_eq_u16_sdwa s[10:11], s15, v1 src0_sel:BYTE_0 src1_sel:DWORD
	s_mov_b64 s[4:5], -1
	s_mov_b64 s[12:13], 0
	s_and_b64 vcc, exec, s[10:11]
	s_mov_b64 s[10:11], 0
	s_cbranch_vccz .LBB159_655
; %bb.648:
	s_and_b32 s4, 0xffff, s14
	v_cvt_f32_u32_e32 v1, s4
	s_mov_b64 s[4:5], 0
	s_mov_b64 s[10:11], -1
	v_bfe_u32 v3, v1, 16, 1
	v_add_u32_e32 v1, v1, v3
	v_add_u32_e32 v1, 0x7fff, v1
	v_lshrrev_b32_e32 v1, 16, v1
	global_store_dword v[4:5], v1, off
	s_branch .LBB159_655
.LBB159_649:
	s_mov_b64 s[10:11], 0
	s_cbranch_execnz .LBB159_734
.LBB159_650:
	s_andn2_b64 vcc, exec, s[10:11]
	s_cbranch_vccz .LBB159_772
	s_branch .LBB159_946
.LBB159_651:
	s_mov_b64 s[4:5], 0
	s_branch .LBB159_665
.LBB159_652:
	s_mov_b64 s[4:5], 0
	s_branch .LBB159_661
.LBB159_653:
	s_or_b64 s[2:3], s[6:7], exec
	s_trap 2
	s_cbranch_execz .LBB159_602
	s_branch .LBB159_603
.LBB159_654:
	s_mov_b64 s[4:5], 0
.LBB159_655:
	s_and_b64 vcc, exec, s[12:13]
	s_cbranch_vccz .LBB159_660
; %bb.656:
	v_mov_b32_e32 v1, 44
	v_cmp_eq_u16_sdwa s[12:13], s15, v1 src0_sel:BYTE_0 src1_sel:DWORD
	s_mov_b64 s[4:5], -1
	s_and_b64 vcc, exec, s[12:13]
	s_cbranch_vccz .LBB159_660
; %bb.657:
	s_and_b32 s4, 0xffff, s14
	v_cvt_f32_u32_e32 v1, s4
	v_readfirstlane_b32 s5, v1
	s_lshr_b32 s4, s5, 23
	s_cmpk_eq_i32 s4, 0xff
	v_mov_b32_e32 v1, 0xff
	s_cbranch_scc1 .LBB159_659
; %bb.658:
	s_bitcmp1_b32 s5, 22
	s_cselect_b64 s[10:11], -1, 0
	s_and_b32 s5, s5, 0x3fffff
	s_or_b32 s5, s4, s5
	s_cmp_lg_u32 s5, 0
	s_cselect_b64 s[12:13], -1, 0
	s_and_b64 s[10:11], s[10:11], s[12:13]
	v_cndmask_b32_e64 v1, 0, 1, s[10:11]
	v_add_u32_e32 v1, s4, v1
.LBB159_659:
	s_mov_b64 s[4:5], 0
	s_mov_b64 s[10:11], -1
	global_store_byte v[4:5], v1, off
.LBB159_660:
	s_mov_b64 s[12:13], 0
.LBB159_661:
	s_and_b64 vcc, exec, s[12:13]
	s_cbranch_vccz .LBB159_664
; %bb.662:
	v_mov_b32_e32 v1, 29
	v_cmp_eq_u16_sdwa s[12:13], s15, v1 src0_sel:BYTE_0 src1_sel:DWORD
	s_mov_b64 s[4:5], -1
	s_and_b64 vcc, exec, s[12:13]
	s_cbranch_vccz .LBB159_664
; %bb.663:
	s_and_b32 s4, s14, 0xffff
	v_mov_b32_e32 v6, s4
	v_mov_b32_e32 v7, 0
	global_store_dwordx2 v[4:5], v[6:7], off
	s_mov_b64 s[4:5], 0
	s_mov_b64 s[10:11], -1
.LBB159_664:
	s_mov_b64 s[12:13], 0
.LBB159_665:
	s_and_b64 vcc, exec, s[12:13]
	s_cbranch_vccz .LBB159_683
; %bb.666:
	v_mov_b32_e32 v1, 27
	v_cmp_lt_i16_sdwa s[12:13], s15, v1 src0_sel:BYTE_0 src1_sel:DWORD
	s_mov_b64 s[10:11], -1
	s_and_b64 vcc, exec, s[12:13]
	s_cbranch_vccnz .LBB159_672
; %bb.667:
	v_cmp_gt_i16_sdwa s[12:13], s15, v1 src0_sel:BYTE_0 src1_sel:DWORD
	s_and_b64 vcc, exec, s[12:13]
	s_cbranch_vccz .LBB159_669
; %bb.668:
	s_and_b32 s10, 0xffff, s14
	v_mov_b32_e32 v1, s10
	s_mov_b64 s[10:11], 0
	global_store_dword v[4:5], v1, off
.LBB159_669:
	s_andn2_b64 vcc, exec, s[10:11]
	s_cbranch_vccnz .LBB159_671
; %bb.670:
	v_mov_b32_e32 v1, s14
	global_store_short v[4:5], v1, off
.LBB159_671:
	s_mov_b64 s[10:11], 0
.LBB159_672:
	s_andn2_b64 vcc, exec, s[10:11]
	s_cbranch_vccnz .LBB159_682
; %bb.673:
	s_and_b32 s10, 0xffff, s14
	v_cvt_f32_u32_e32 v1, s10
	s_mov_b32 s11, 0x437fffff
	v_mov_b32_e32 v6, 0x80
	v_cmp_lt_u32_e32 vcc, s11, v1
	v_readfirstlane_b32 s10, v1
	s_cbranch_vccnz .LBB159_681
; %bb.674:
	s_cmp_gt_u32 s10, 0x3bffffff
	s_cbranch_scc0 .LBB159_676
; %bb.675:
	s_bfe_u32 s11, s10, 0x10014
	s_add_i32 s10, s10, s11
	s_add_i32 s10, s10, 0x487ffff
	s_lshr_b32 s16, s10, 20
	s_mov_b64 s[12:13], 0
	s_mov_b64 s[10:11], -1
	s_branch .LBB159_677
.LBB159_676:
	s_mov_b64 s[12:13], -1
	s_mov_b64 s[10:11], 0
                                        ; implicit-def: $sgpr16
.LBB159_677:
	s_andn2_b64 vcc, exec, s[12:13]
	v_mov_b32_e32 v3, s16
                                        ; implicit-def: $sgpr12
	s_cbranch_vccnz .LBB159_679
; %bb.678:
	v_add_f32_e32 v1, 0x46000000, v1
	v_and_b32_e32 v3, 0xff, v1
	s_mov_b32 s12, 0
	v_cmp_ne_u32_e64 s[10:11], 0, v3
.LBB159_679:
	s_andn2_b64 vcc, exec, s[10:11]
	v_mov_b32_e32 v6, s12
	s_cbranch_vccnz .LBB159_681
; %bb.680:
	v_mov_b32_e32 v6, v3
.LBB159_681:
	global_store_byte v[4:5], v6, off
.LBB159_682:
	s_mov_b64 s[10:11], -1
.LBB159_683:
	s_mov_b64 s[12:13], 0
.LBB159_684:
	s_and_b64 vcc, exec, s[12:13]
	s_cbranch_vccz .LBB159_730
; %bb.685:
	v_mov_b32_e32 v1, 22
	v_cmp_gt_i16_sdwa s[12:13], s15, v1 src0_sel:BYTE_0 src1_sel:DWORD
	s_mov_b64 s[8:9], -1
	s_and_b64 vcc, exec, s[12:13]
	s_cbranch_vccz .LBB159_723
; %bb.686:
	v_mov_b32_e32 v1, 24
	v_cmp_lt_i16_sdwa s[10:11], s15, v1 src0_sel:BYTE_0 src1_sel:DWORD
	s_and_b64 vcc, exec, s[10:11]
	s_cbranch_vccnz .LBB159_710
; %bb.687:
	v_cmp_gt_i16_sdwa s[10:11], s15, v1 src0_sel:BYTE_0 src1_sel:DWORD
	s_and_b64 vcc, exec, s[10:11]
	s_cbranch_vccz .LBB159_697
; %bb.688:
	s_and_b32 s8, 0xffff, s14
	v_cvt_f32_u32_e32 v1, s8
	s_mov_b32 s9, 0x477fffff
	v_mov_b32_e32 v6, 0x80
	v_cmp_lt_u32_e32 vcc, s9, v1
	v_readfirstlane_b32 s8, v1
	s_cbranch_vccnz .LBB159_696
; %bb.689:
	s_cmp_gt_u32 s8, 0x37ffffff
	s_cbranch_scc0 .LBB159_691
; %bb.690:
	s_bfe_u32 s9, s8, 0x10015
	s_add_i32 s8, s8, s9
	s_add_i32 s8, s8, 0x88fffff
	s_lshr_b32 s12, s8, 21
	s_mov_b64 s[10:11], 0
	s_mov_b64 s[8:9], -1
	s_branch .LBB159_692
.LBB159_691:
	s_mov_b64 s[10:11], -1
	s_mov_b64 s[8:9], 0
                                        ; implicit-def: $sgpr12
.LBB159_692:
	s_andn2_b64 vcc, exec, s[10:11]
	v_mov_b32_e32 v3, s12
                                        ; implicit-def: $sgpr10
	s_cbranch_vccnz .LBB159_694
; %bb.693:
	v_add_f32_e32 v1, 0x42800000, v1
	v_and_b32_e32 v3, 0xff, v1
	s_mov_b32 s10, 0
	v_cmp_ne_u32_e64 s[8:9], 0, v3
.LBB159_694:
	s_andn2_b64 vcc, exec, s[8:9]
	v_mov_b32_e32 v6, s10
	s_cbranch_vccnz .LBB159_696
; %bb.695:
	v_mov_b32_e32 v6, v3
.LBB159_696:
	s_mov_b64 s[8:9], 0
	global_store_byte v[4:5], v6, off
.LBB159_697:
	s_and_b64 vcc, exec, s[8:9]
	s_cbranch_vccz .LBB159_709
; %bb.698:
	s_and_b32 s8, 0xffff, s14
	v_cvt_f32_u32_e32 v1, s8
	s_mov_b32 s8, 0x43f00000
	v_cmp_gt_u32_e32 vcc, s8, v1
	v_readfirstlane_b32 s10, v1
	s_cbranch_vccz .LBB159_701
; %bb.699:
	s_cmp_gt_u32 s10, 0x3c7fffff
	s_cbranch_scc0 .LBB159_702
; %bb.700:
	s_bfe_u32 s8, s10, 0x10014
	s_add_i32 s8, s10, s8
	s_add_i32 s8, s8, 0x407ffff
	s_lshr_b32 s9, s8, 20
	s_and_b32 s8, s8, 0xff00000
	s_cmp_lg_u32 s8, 0x7f00000
	s_cselect_b32 s11, s9, 0x7e
	s_mov_b64 s[8:9], 0
	s_branch .LBB159_703
.LBB159_701:
	s_mov_b64 s[8:9], -1
                                        ; implicit-def: $vgpr3
	s_branch .LBB159_706
.LBB159_702:
	s_mov_b64 s[8:9], -1
                                        ; implicit-def: $sgpr11
.LBB159_703:
	s_andn2_b64 vcc, exec, s[8:9]
	v_mov_b32_e32 v3, s11
	s_cbranch_vccnz .LBB159_705
; %bb.704:
	v_add_f32_e32 v3, 0x46800000, v1
.LBB159_705:
	s_mov_b64 s[8:9], 0
.LBB159_706:
	s_andn2_b64 vcc, exec, s[8:9]
	s_cbranch_vccnz .LBB159_708
; %bb.707:
	s_cmp_gt_u32 s10, 0x7f800000
	s_movk_i32 s8, 0x7f
	s_cselect_b32 s8, s8, 0x7e
	v_mov_b32_e32 v3, s8
.LBB159_708:
	global_store_byte v[4:5], v3, off
.LBB159_709:
	s_mov_b64 s[8:9], 0
.LBB159_710:
	s_andn2_b64 vcc, exec, s[8:9]
	s_cbranch_vccnz .LBB159_722
; %bb.711:
	s_and_b32 s8, 0xffff, s14
	v_cvt_f32_u32_e32 v1, s8
	s_mov_b32 s8, 0x47800000
	v_cmp_gt_u32_e32 vcc, s8, v1
	v_readfirstlane_b32 s10, v1
	s_cbranch_vccz .LBB159_714
; %bb.712:
	s_cmp_gt_u32 s10, 0x387fffff
	s_cbranch_scc0 .LBB159_715
; %bb.713:
	s_bfe_u32 s8, s10, 0x10015
	s_add_i32 s8, s10, s8
	s_add_i32 s8, s8, 0x80fffff
	s_lshr_b32 s11, s8, 21
	s_mov_b64 s[8:9], 0
	s_branch .LBB159_716
.LBB159_714:
	s_mov_b64 s[8:9], -1
                                        ; implicit-def: $vgpr3
	s_branch .LBB159_719
.LBB159_715:
	s_mov_b64 s[8:9], -1
                                        ; implicit-def: $sgpr11
.LBB159_716:
	s_andn2_b64 vcc, exec, s[8:9]
	v_mov_b32_e32 v3, s11
	s_cbranch_vccnz .LBB159_718
; %bb.717:
	v_add_f32_e32 v3, 0x43000000, v1
.LBB159_718:
	s_mov_b64 s[8:9], 0
.LBB159_719:
	s_andn2_b64 vcc, exec, s[8:9]
	s_cbranch_vccnz .LBB159_721
; %bb.720:
	s_cmp_gt_u32 s10, 0x7f800000
	s_movk_i32 s8, 0x7f
	s_cselect_b32 s8, s8, 0x7c
	v_mov_b32_e32 v3, s8
.LBB159_721:
	global_store_byte v[4:5], v3, off
.LBB159_722:
	s_mov_b64 s[8:9], 0
	s_mov_b64 s[10:11], -1
.LBB159_723:
	s_andn2_b64 vcc, exec, s[8:9]
	s_mov_b64 s[8:9], 0
	s_cbranch_vccnz .LBB159_730
; %bb.724:
	v_mov_b32_e32 v1, 14
	v_cmp_gt_i16_sdwa s[8:9], s15, v1 src0_sel:BYTE_0 src1_sel:DWORD
	s_mov_b64 s[12:13], -1
	s_and_b64 vcc, exec, s[8:9]
	s_cbranch_vccz .LBB159_728
; %bb.725:
	v_mov_b32_e32 v1, 15
	v_cmp_eq_u16_sdwa s[8:9], s15, v1 src0_sel:BYTE_0 src1_sel:DWORD
	s_mov_b64 s[4:5], -1
	s_and_b64 vcc, exec, s[8:9]
	s_cbranch_vccz .LBB159_727
; %bb.726:
	s_and_b32 s4, 0xffff, s14
	v_cvt_f32_u32_e32 v1, s4
	s_mov_b64 s[4:5], 0
	s_mov_b64 s[10:11], -1
	v_bfe_u32 v3, v1, 16, 1
	v_add_u32_e32 v1, v1, v3
	v_add_u32_e32 v1, 0x7fff, v1
	global_store_short_d16_hi v[4:5], v1, off
.LBB159_727:
	s_mov_b64 s[12:13], 0
.LBB159_728:
	s_mov_b64 s[8:9], 0
	s_and_b64 vcc, exec, s[12:13]
	s_cbranch_vccz .LBB159_730
; %bb.729:
	v_mov_b32_e32 v1, 11
	v_cmp_ne_u16_sdwa s[4:5], s15, v1 src0_sel:BYTE_0 src1_sel:DWORD
	s_mov_b64 s[8:9], -1
.LBB159_730:
	s_and_b64 vcc, exec, s[4:5]
	s_cbranch_vccnz .LBB159_813
; %bb.731:
	s_andn2_b64 vcc, exec, s[8:9]
	s_cbranch_vccnz .LBB159_733
.LBB159_732:
	v_cmp_ne_u16_e64 s[4:5], s14, 0
	v_cndmask_b32_e64 v1, 0, 1, s[4:5]
	s_mov_b64 s[10:11], -1
	global_store_byte v[4:5], v1, off
.LBB159_733:
	s_branch .LBB159_650
.LBB159_734:
	v_mov_b32_e32 v1, 5
	v_cmp_lt_i16_sdwa s[8:9], s15, v1 src0_sel:BYTE_0 src1_sel:DWORD
	s_mov_b64 s[4:5], -1
	s_and_b64 vcc, exec, s[8:9]
	s_cbranch_vccnz .LBB159_755
; %bb.735:
	v_mov_b32_e32 v1, 8
	v_cmp_lt_i16_sdwa s[8:9], s15, v1 src0_sel:BYTE_0 src1_sel:DWORD
	s_and_b64 vcc, exec, s[8:9]
	s_cbranch_vccnz .LBB159_745
; %bb.736:
	v_mov_b32_e32 v1, 9
	v_cmp_lt_i16_sdwa s[8:9], s15, v1 src0_sel:BYTE_0 src1_sel:DWORD
	s_and_b64 vcc, exec, s[8:9]
	s_cbranch_vccnz .LBB159_742
; %bb.737:
	v_cmp_gt_i16_sdwa s[8:9], s15, v1 src0_sel:BYTE_0 src1_sel:DWORD
	s_and_b64 vcc, exec, s[8:9]
	s_cbranch_vccz .LBB159_739
; %bb.738:
	s_and_b32 s4, 0xffff, s14
	v_mov_b32_e32 v8, 0
	v_cvt_f64_u32_e32 v[6:7], s4
	v_mov_b32_e32 v9, v8
	global_store_dwordx4 v[4:5], v[6:9], off
	s_mov_b64 s[4:5], 0
.LBB159_739:
	s_andn2_b64 vcc, exec, s[4:5]
	s_cbranch_vccnz .LBB159_741
; %bb.740:
	s_and_b32 s4, 0xffff, s14
	v_cvt_f32_u32_e32 v6, s4
	v_mov_b32_e32 v7, 0
	global_store_dwordx2 v[4:5], v[6:7], off
.LBB159_741:
	s_mov_b64 s[4:5], 0
.LBB159_742:
	s_andn2_b64 vcc, exec, s[4:5]
	s_cbranch_vccnz .LBB159_744
; %bb.743:
	v_cvt_f16_u16_e32 v1, s14
	global_store_dword v[4:5], v1, off
.LBB159_744:
	s_mov_b64 s[4:5], 0
.LBB159_745:
	s_andn2_b64 vcc, exec, s[4:5]
	s_cbranch_vccnz .LBB159_754
; %bb.746:
	v_mov_b32_e32 v1, 6
	v_cmp_lt_i16_sdwa s[8:9], s15, v1 src0_sel:BYTE_0 src1_sel:DWORD
	s_mov_b64 s[4:5], -1
	s_and_b64 vcc, exec, s[8:9]
	s_cbranch_vccnz .LBB159_752
; %bb.747:
	v_cmp_gt_i16_sdwa s[8:9], s15, v1 src0_sel:BYTE_0 src1_sel:DWORD
	s_and_b64 vcc, exec, s[8:9]
	s_cbranch_vccz .LBB159_749
; %bb.748:
	s_and_b32 s4, 0xffff, s14
	v_cvt_f64_u32_e32 v[6:7], s4
	global_store_dwordx2 v[4:5], v[6:7], off
	s_mov_b64 s[4:5], 0
.LBB159_749:
	s_andn2_b64 vcc, exec, s[4:5]
	s_cbranch_vccnz .LBB159_751
; %bb.750:
	s_and_b32 s4, 0xffff, s14
	v_cvt_f32_u32_e32 v1, s4
	global_store_dword v[4:5], v1, off
.LBB159_751:
	s_mov_b64 s[4:5], 0
.LBB159_752:
	s_andn2_b64 vcc, exec, s[4:5]
	s_cbranch_vccnz .LBB159_754
; %bb.753:
	v_cvt_f16_u16_e32 v1, s14
	global_store_short v[4:5], v1, off
.LBB159_754:
	s_mov_b64 s[4:5], 0
.LBB159_755:
	s_andn2_b64 vcc, exec, s[4:5]
	s_cbranch_vccnz .LBB159_771
; %bb.756:
	v_mov_b32_e32 v1, 2
	v_cmp_lt_i16_sdwa s[8:9], s15, v1 src0_sel:BYTE_0 src1_sel:DWORD
	s_mov_b64 s[4:5], -1
	s_and_b64 vcc, exec, s[8:9]
	s_cbranch_vccnz .LBB159_766
; %bb.757:
	v_mov_b32_e32 v1, 3
	v_cmp_lt_i16_sdwa s[8:9], s15, v1 src0_sel:BYTE_0 src1_sel:DWORD
	s_and_b64 vcc, exec, s[8:9]
	s_cbranch_vccnz .LBB159_763
; %bb.758:
	v_cmp_gt_i16_sdwa s[8:9], s15, v1 src0_sel:BYTE_0 src1_sel:DWORD
	s_and_b64 vcc, exec, s[8:9]
	s_cbranch_vccz .LBB159_760
; %bb.759:
	s_and_b32 s4, s14, 0xffff
	v_mov_b32_e32 v6, s4
	v_mov_b32_e32 v7, 0
	global_store_dwordx2 v[4:5], v[6:7], off
	s_mov_b64 s[4:5], 0
.LBB159_760:
	s_andn2_b64 vcc, exec, s[4:5]
	s_cbranch_vccnz .LBB159_762
; %bb.761:
	s_and_b32 s4, 0xffff, s14
	v_mov_b32_e32 v1, s4
	global_store_dword v[4:5], v1, off
.LBB159_762:
	s_mov_b64 s[4:5], 0
.LBB159_763:
	s_andn2_b64 vcc, exec, s[4:5]
	s_cbranch_vccnz .LBB159_765
; %bb.764:
	v_mov_b32_e32 v1, s14
	global_store_short v[4:5], v1, off
.LBB159_765:
	s_mov_b64 s[4:5], 0
.LBB159_766:
	s_andn2_b64 vcc, exec, s[4:5]
	s_cbranch_vccnz .LBB159_771
; %bb.767:
	v_mov_b32_e32 v1, 0
	v_cmp_gt_i16_sdwa s[8:9], s15, v1 src0_sel:BYTE_0 src1_sel:DWORD
	s_mov_b64 s[4:5], -1
	s_and_b64 vcc, exec, s[8:9]
	s_cbranch_vccz .LBB159_769
; %bb.768:
	v_mov_b32_e32 v1, s14
	global_store_byte v[4:5], v1, off
	s_mov_b64 s[4:5], 0
.LBB159_769:
	s_andn2_b64 vcc, exec, s[4:5]
	s_cbranch_vccnz .LBB159_771
; %bb.770:
	v_mov_b32_e32 v1, s14
	global_store_byte v[4:5], v1, off
.LBB159_771:
.LBB159_772:
	v_mov_b32_e32 v1, s1
	v_add_co_u32_e32 v2, vcc, s0, v2
	v_addc_co_u32_e32 v3, vcc, 0, v1, vcc
	v_mov_b32_e32 v1, 11
	v_cmp_lt_i16_sdwa s[4:5], s15, v1 src0_sel:BYTE_0 src1_sel:DWORD
	s_and_b64 vcc, exec, s[4:5]
	s_cbranch_vccnz .LBB159_779
; %bb.773:
	v_mov_b32_e32 v1, 25
	v_cmp_gt_i16_sdwa s[4:5], s15, v1 src0_sel:BYTE_0 src1_sel:DWORD
	s_mov_b64 s[12:13], -1
	s_mov_b64 s[8:9], 0
	s_and_b64 vcc, exec, s[4:5]
	s_mov_b64 s[10:11], 0
	s_mov_b64 s[4:5], 0
	s_cbranch_vccz .LBB159_844
; %bb.774:
	v_mov_b32_e32 v1, 28
	v_cmp_gt_i16_sdwa s[4:5], s15, v1 src0_sel:BYTE_0 src1_sel:DWORD
	s_and_b64 vcc, exec, s[4:5]
	s_cbranch_vccz .LBB159_811
; %bb.775:
	v_mov_b32_e32 v1, 43
	v_cmp_gt_i16_sdwa s[4:5], s15, v1 src0_sel:BYTE_0 src1_sel:DWORD
	s_and_b64 vcc, exec, s[4:5]
	;; [unrolled: 5-line block ×3, first 2 shown]
	s_cbranch_vccz .LBB159_814
; %bb.777:
	v_mov_b32_e32 v1, 46
	v_cmp_eq_u16_sdwa s[10:11], s15, v1 src0_sel:BYTE_0 src1_sel:DWORD
	s_mov_b64 s[4:5], -1
	s_mov_b64 s[12:13], 0
	s_and_b64 vcc, exec, s[10:11]
	s_mov_b64 s[10:11], 0
	s_cbranch_vccz .LBB159_815
; %bb.778:
	s_and_b32 s4, 0xffff, s14
	v_cvt_f32_u32_e32 v1, s4
	s_mov_b64 s[4:5], 0
	s_mov_b64 s[10:11], -1
	v_bfe_u32 v4, v1, 16, 1
	v_add_u32_e32 v1, v1, v4
	v_add_u32_e32 v1, 0x7fff, v1
	v_lshrrev_b32_e32 v1, 16, v1
	global_store_dword v[2:3], v1, off
	s_branch .LBB159_815
.LBB159_779:
	s_mov_b64 s[10:11], 0
	s_cbranch_execnz .LBB159_908
.LBB159_780:
	s_andn2_b64 vcc, exec, s[10:11]
	s_cbranch_vccnz .LBB159_946
.LBB159_781:
	v_mov_b32_e32 v1, s1
	v_add_co_u32_e32 v0, vcc, s0, v0
	v_mov_b32_e32 v2, 0xff
	v_addc_co_u32_e32 v1, vcc, 0, v1, vcc
	v_and_b32_e32 v2, s15, v2
	v_cmp_gt_i16_e32 vcc, 11, v2
	s_cbranch_vccnz .LBB159_810
; %bb.782:
	v_cmp_lt_i16_e32 vcc, 25, v2
	s_mov_b64 s[8:9], -1
	s_mov_b64 s[4:5], 0
	s_mov_b64 s[0:1], 0
	s_cbranch_vccz .LBB159_858
; %bb.783:
	v_cmp_lt_i16_e32 vcc, 28, v2
	s_cbranch_vccz .LBB159_799
; %bb.784:
	v_cmp_lt_i16_e32 vcc, 43, v2
	;; [unrolled: 3-line block ×3, first 2 shown]
	s_cbranch_vccz .LBB159_789
; %bb.786:
	v_cmp_eq_u16_e32 vcc, 46, v2
	s_mov_b64 s[0:1], -1
	s_cbranch_vccz .LBB159_788
; %bb.787:
	s_and_b32 s0, 0xffff, s14
	v_cvt_f32_u32_e32 v3, s0
	s_mov_b64 s[0:1], 0
	v_bfe_u32 v4, v3, 16, 1
	v_add_u32_e32 v3, v3, v4
	v_add_u32_e32 v3, 0x7fff, v3
	v_lshrrev_b32_e32 v3, 16, v3
	global_store_dword v[0:1], v3, off
.LBB159_788:
	s_mov_b64 s[8:9], 0
.LBB159_789:
	s_and_b64 vcc, exec, s[8:9]
	s_cbranch_vccz .LBB159_794
; %bb.790:
	v_cmp_eq_u16_e32 vcc, 44, v2
	s_mov_b64 s[0:1], -1
	s_cbranch_vccz .LBB159_794
; %bb.791:
	s_and_b32 s0, 0xffff, s14
	v_cvt_f32_u32_e32 v3, s0
	v_readfirstlane_b32 s1, v3
	s_lshr_b32 s0, s1, 23
	s_cmpk_eq_i32 s0, 0xff
	v_mov_b32_e32 v3, 0xff
	s_cbranch_scc1 .LBB159_793
; %bb.792:
	s_bitcmp1_b32 s1, 22
	s_cselect_b64 s[8:9], -1, 0
	s_and_b32 s1, s1, 0x3fffff
	s_or_b32 s1, s0, s1
	s_cmp_lg_u32 s1, 0
	s_cselect_b64 s[10:11], -1, 0
	s_and_b64 s[8:9], s[8:9], s[10:11]
	v_cndmask_b32_e64 v3, 0, 1, s[8:9]
	v_add_u32_e32 v3, s0, v3
.LBB159_793:
	s_mov_b64 s[0:1], 0
	global_store_byte v[0:1], v3, off
.LBB159_794:
	s_mov_b64 s[8:9], 0
.LBB159_795:
	s_and_b64 vcc, exec, s[8:9]
	s_cbranch_vccz .LBB159_798
; %bb.796:
	v_cmp_eq_u16_e32 vcc, 29, v2
	s_mov_b64 s[0:1], -1
	s_cbranch_vccz .LBB159_798
; %bb.797:
	s_and_b32 s0, s14, 0xffff
	v_mov_b32_e32 v4, s0
	v_mov_b32_e32 v5, 0
	global_store_dwordx2 v[0:1], v[4:5], off
	s_mov_b64 s[0:1], 0
.LBB159_798:
	s_mov_b64 s[8:9], 0
.LBB159_799:
	s_and_b64 vcc, exec, s[8:9]
	s_cbranch_vccz .LBB159_857
; %bb.800:
	v_cmp_gt_i16_e32 vcc, 27, v2
	s_mov_b64 s[8:9], -1
	s_cbranch_vccnz .LBB159_806
; %bb.801:
	v_cmp_lt_i16_e32 vcc, 27, v2
	s_cbranch_vccz .LBB159_803
; %bb.802:
	s_and_b32 s8, 0xffff, s14
	v_mov_b32_e32 v3, s8
	global_store_dword v[0:1], v3, off
	s_mov_b64 s[8:9], 0
.LBB159_803:
	s_andn2_b64 vcc, exec, s[8:9]
	s_cbranch_vccnz .LBB159_805
; %bb.804:
	v_mov_b32_e32 v3, s14
	global_store_short v[0:1], v3, off
.LBB159_805:
	s_mov_b64 s[8:9], 0
.LBB159_806:
	s_andn2_b64 vcc, exec, s[8:9]
	s_cbranch_vccnz .LBB159_857
; %bb.807:
	s_and_b32 s8, 0xffff, s14
	v_cvt_f32_u32_e32 v3, s8
	s_mov_b32 s9, 0x437fffff
	v_mov_b32_e32 v5, 0x80
	v_cmp_lt_u32_e32 vcc, s9, v3
	v_readfirstlane_b32 s8, v3
	s_cbranch_vccnz .LBB159_856
; %bb.808:
	s_cmp_gt_u32 s8, 0x3bffffff
	s_cbranch_scc0 .LBB159_851
; %bb.809:
	s_bfe_u32 s9, s8, 0x10014
	s_add_i32 s8, s8, s9
	s_add_i32 s8, s8, 0x487ffff
	s_lshr_b32 s12, s8, 20
	s_mov_b64 s[10:11], 0
	s_mov_b64 s[8:9], -1
	s_branch .LBB159_852
.LBB159_810:
	s_mov_b64 s[4:5], 0
	s_mov_b64 s[0:1], -1
	s_branch .LBB159_947
.LBB159_811:
	s_mov_b64 s[4:5], 0
	s_branch .LBB159_825
.LBB159_812:
	s_mov_b64 s[4:5], 0
	s_branch .LBB159_821
.LBB159_813:
	s_trap 2
	s_or_b64 s[2:3], s[2:3], exec
	s_cbranch_execz .LBB159_732
	s_branch .LBB159_733
.LBB159_814:
	s_mov_b64 s[4:5], 0
.LBB159_815:
	s_and_b64 vcc, exec, s[12:13]
	s_cbranch_vccz .LBB159_820
; %bb.816:
	v_mov_b32_e32 v1, 44
	v_cmp_eq_u16_sdwa s[12:13], s15, v1 src0_sel:BYTE_0 src1_sel:DWORD
	s_mov_b64 s[4:5], -1
	s_and_b64 vcc, exec, s[12:13]
	s_cbranch_vccz .LBB159_820
; %bb.817:
	s_and_b32 s4, 0xffff, s14
	v_cvt_f32_u32_e32 v1, s4
	v_readfirstlane_b32 s5, v1
	s_lshr_b32 s4, s5, 23
	s_cmpk_eq_i32 s4, 0xff
	v_mov_b32_e32 v1, 0xff
	s_cbranch_scc1 .LBB159_819
; %bb.818:
	s_bitcmp1_b32 s5, 22
	s_cselect_b64 s[10:11], -1, 0
	s_and_b32 s5, s5, 0x3fffff
	s_or_b32 s5, s4, s5
	s_cmp_lg_u32 s5, 0
	s_cselect_b64 s[12:13], -1, 0
	s_and_b64 s[10:11], s[10:11], s[12:13]
	v_cndmask_b32_e64 v1, 0, 1, s[10:11]
	v_add_u32_e32 v1, s4, v1
.LBB159_819:
	s_mov_b64 s[4:5], 0
	s_mov_b64 s[10:11], -1
	global_store_byte v[2:3], v1, off
.LBB159_820:
	s_mov_b64 s[12:13], 0
.LBB159_821:
	s_and_b64 vcc, exec, s[12:13]
	s_cbranch_vccz .LBB159_824
; %bb.822:
	v_mov_b32_e32 v1, 29
	v_cmp_eq_u16_sdwa s[12:13], s15, v1 src0_sel:BYTE_0 src1_sel:DWORD
	s_mov_b64 s[4:5], -1
	s_and_b64 vcc, exec, s[12:13]
	s_cbranch_vccz .LBB159_824
; %bb.823:
	s_and_b32 s4, s14, 0xffff
	v_mov_b32_e32 v4, s4
	v_mov_b32_e32 v5, 0
	global_store_dwordx2 v[2:3], v[4:5], off
	s_mov_b64 s[4:5], 0
	s_mov_b64 s[10:11], -1
.LBB159_824:
	s_mov_b64 s[12:13], 0
.LBB159_825:
	s_and_b64 vcc, exec, s[12:13]
	s_cbranch_vccz .LBB159_843
; %bb.826:
	v_mov_b32_e32 v1, 27
	v_cmp_lt_i16_sdwa s[12:13], s15, v1 src0_sel:BYTE_0 src1_sel:DWORD
	s_mov_b64 s[10:11], -1
	s_and_b64 vcc, exec, s[12:13]
	s_cbranch_vccnz .LBB159_832
; %bb.827:
	v_cmp_gt_i16_sdwa s[12:13], s15, v1 src0_sel:BYTE_0 src1_sel:DWORD
	s_and_b64 vcc, exec, s[12:13]
	s_cbranch_vccz .LBB159_829
; %bb.828:
	s_and_b32 s10, 0xffff, s14
	v_mov_b32_e32 v1, s10
	s_mov_b64 s[10:11], 0
	global_store_dword v[2:3], v1, off
.LBB159_829:
	s_andn2_b64 vcc, exec, s[10:11]
	s_cbranch_vccnz .LBB159_831
; %bb.830:
	v_mov_b32_e32 v1, s14
	global_store_short v[2:3], v1, off
.LBB159_831:
	s_mov_b64 s[10:11], 0
.LBB159_832:
	s_andn2_b64 vcc, exec, s[10:11]
	s_cbranch_vccnz .LBB159_842
; %bb.833:
	s_and_b32 s10, 0xffff, s14
	v_cvt_f32_u32_e32 v1, s10
	s_mov_b32 s11, 0x437fffff
	v_mov_b32_e32 v5, 0x80
	v_cmp_lt_u32_e32 vcc, s11, v1
	v_readfirstlane_b32 s10, v1
	s_cbranch_vccnz .LBB159_841
; %bb.834:
	s_cmp_gt_u32 s10, 0x3bffffff
	s_cbranch_scc0 .LBB159_836
; %bb.835:
	s_bfe_u32 s11, s10, 0x10014
	s_add_i32 s10, s10, s11
	s_add_i32 s10, s10, 0x487ffff
	s_lshr_b32 s16, s10, 20
	s_mov_b64 s[12:13], 0
	s_mov_b64 s[10:11], -1
	s_branch .LBB159_837
.LBB159_836:
	s_mov_b64 s[12:13], -1
	s_mov_b64 s[10:11], 0
                                        ; implicit-def: $sgpr16
.LBB159_837:
	s_andn2_b64 vcc, exec, s[12:13]
	v_mov_b32_e32 v4, s16
                                        ; implicit-def: $sgpr12
	s_cbranch_vccnz .LBB159_839
; %bb.838:
	v_add_f32_e32 v1, 0x46000000, v1
	v_and_b32_e32 v4, 0xff, v1
	s_mov_b32 s12, 0
	v_cmp_ne_u32_e64 s[10:11], 0, v4
.LBB159_839:
	s_andn2_b64 vcc, exec, s[10:11]
	v_mov_b32_e32 v5, s12
	s_cbranch_vccnz .LBB159_841
; %bb.840:
	v_mov_b32_e32 v5, v4
.LBB159_841:
	global_store_byte v[2:3], v5, off
.LBB159_842:
	s_mov_b64 s[10:11], -1
.LBB159_843:
	s_mov_b64 s[12:13], 0
.LBB159_844:
	s_and_b64 vcc, exec, s[12:13]
	s_cbranch_vccz .LBB159_904
; %bb.845:
	v_mov_b32_e32 v1, 22
	v_cmp_gt_i16_sdwa s[12:13], s15, v1 src0_sel:BYTE_0 src1_sel:DWORD
	s_mov_b64 s[8:9], -1
	s_and_b64 vcc, exec, s[12:13]
	s_cbranch_vccz .LBB159_897
; %bb.846:
	v_mov_b32_e32 v1, 24
	v_cmp_lt_i16_sdwa s[10:11], s15, v1 src0_sel:BYTE_0 src1_sel:DWORD
	s_and_b64 vcc, exec, s[10:11]
	s_cbranch_vccnz .LBB159_884
; %bb.847:
	v_cmp_gt_i16_sdwa s[10:11], s15, v1 src0_sel:BYTE_0 src1_sel:DWORD
	s_and_b64 vcc, exec, s[10:11]
	s_cbranch_vccz .LBB159_871
; %bb.848:
	s_and_b32 s8, 0xffff, s14
	v_cvt_f32_u32_e32 v1, s8
	s_mov_b32 s9, 0x477fffff
	v_mov_b32_e32 v5, 0x80
	v_cmp_lt_u32_e32 vcc, s9, v1
	v_readfirstlane_b32 s8, v1
	s_cbranch_vccnz .LBB159_870
; %bb.849:
	s_cmp_gt_u32 s8, 0x37ffffff
	s_cbranch_scc0 .LBB159_865
; %bb.850:
	s_bfe_u32 s9, s8, 0x10015
	s_add_i32 s8, s8, s9
	s_add_i32 s8, s8, 0x88fffff
	s_lshr_b32 s12, s8, 21
	s_mov_b64 s[10:11], 0
	s_mov_b64 s[8:9], -1
	s_branch .LBB159_866
.LBB159_851:
	s_mov_b64 s[10:11], -1
	s_mov_b64 s[8:9], 0
                                        ; implicit-def: $sgpr12
.LBB159_852:
	s_andn2_b64 vcc, exec, s[10:11]
	v_mov_b32_e32 v4, s12
                                        ; implicit-def: $sgpr10
	s_cbranch_vccnz .LBB159_854
; %bb.853:
	v_add_f32_e32 v3, 0x46000000, v3
	v_and_b32_e32 v4, 0xff, v3
	s_mov_b32 s10, 0
	v_cmp_ne_u32_e64 s[8:9], 0, v4
.LBB159_854:
	s_andn2_b64 vcc, exec, s[8:9]
	v_mov_b32_e32 v5, s10
	s_cbranch_vccnz .LBB159_856
; %bb.855:
	v_mov_b32_e32 v5, v4
.LBB159_856:
	global_store_byte v[0:1], v5, off
.LBB159_857:
	s_mov_b64 s[8:9], 0
.LBB159_858:
	s_and_b64 vcc, exec, s[8:9]
	s_cbranch_vccz .LBB159_1031
; %bb.859:
	v_cmp_lt_i16_e32 vcc, 22, v2
	s_mov_b64 s[4:5], -1
	s_cbranch_vccz .LBB159_1024
; %bb.860:
	v_cmp_gt_i16_e32 vcc, 24, v2
	s_cbranch_vccnz .LBB159_1011
; %bb.861:
	v_cmp_lt_i16_e32 vcc, 24, v2
	s_cbranch_vccz .LBB159_998
; %bb.862:
	s_and_b32 s4, 0xffff, s14
	v_cvt_f32_u32_e32 v3, s4
	s_mov_b32 s5, 0x477fffff
	v_mov_b32_e32 v5, 0x80
	v_cmp_lt_u32_e32 vcc, s5, v3
	v_readfirstlane_b32 s4, v3
	s_cbranch_vccnz .LBB159_997
; %bb.863:
	s_cmp_gt_u32 s4, 0x37ffffff
	s_cbranch_scc0 .LBB159_992
; %bb.864:
	s_bfe_u32 s5, s4, 0x10015
	s_add_i32 s4, s4, s5
	s_add_i32 s4, s4, 0x88fffff
	s_lshr_b32 s10, s4, 21
	s_mov_b64 s[8:9], 0
	s_mov_b64 s[4:5], -1
	s_branch .LBB159_993
.LBB159_865:
	s_mov_b64 s[10:11], -1
	s_mov_b64 s[8:9], 0
                                        ; implicit-def: $sgpr12
.LBB159_866:
	s_andn2_b64 vcc, exec, s[10:11]
	v_mov_b32_e32 v4, s12
                                        ; implicit-def: $sgpr10
	s_cbranch_vccnz .LBB159_868
; %bb.867:
	v_add_f32_e32 v1, 0x42800000, v1
	v_and_b32_e32 v4, 0xff, v1
	s_mov_b32 s10, 0
	v_cmp_ne_u32_e64 s[8:9], 0, v4
.LBB159_868:
	s_andn2_b64 vcc, exec, s[8:9]
	v_mov_b32_e32 v5, s10
	s_cbranch_vccnz .LBB159_870
; %bb.869:
	v_mov_b32_e32 v5, v4
.LBB159_870:
	s_mov_b64 s[8:9], 0
	global_store_byte v[2:3], v5, off
.LBB159_871:
	s_and_b64 vcc, exec, s[8:9]
	s_cbranch_vccz .LBB159_883
; %bb.872:
	s_and_b32 s8, 0xffff, s14
	v_cvt_f32_u32_e32 v1, s8
	s_mov_b32 s8, 0x43f00000
	v_cmp_gt_u32_e32 vcc, s8, v1
	v_readfirstlane_b32 s10, v1
	s_cbranch_vccz .LBB159_875
; %bb.873:
	s_cmp_gt_u32 s10, 0x3c7fffff
	s_cbranch_scc0 .LBB159_876
; %bb.874:
	s_bfe_u32 s8, s10, 0x10014
	s_add_i32 s8, s10, s8
	s_add_i32 s8, s8, 0x407ffff
	s_lshr_b32 s9, s8, 20
	s_and_b32 s8, s8, 0xff00000
	s_cmp_lg_u32 s8, 0x7f00000
	s_cselect_b32 s11, s9, 0x7e
	s_mov_b64 s[8:9], 0
	s_branch .LBB159_877
.LBB159_875:
	s_mov_b64 s[8:9], -1
                                        ; implicit-def: $vgpr4
	s_branch .LBB159_880
.LBB159_876:
	s_mov_b64 s[8:9], -1
                                        ; implicit-def: $sgpr11
.LBB159_877:
	s_andn2_b64 vcc, exec, s[8:9]
	v_mov_b32_e32 v4, s11
	s_cbranch_vccnz .LBB159_879
; %bb.878:
	v_add_f32_e32 v4, 0x46800000, v1
.LBB159_879:
	s_mov_b64 s[8:9], 0
.LBB159_880:
	s_andn2_b64 vcc, exec, s[8:9]
	s_cbranch_vccnz .LBB159_882
; %bb.881:
	s_cmp_gt_u32 s10, 0x7f800000
	s_movk_i32 s8, 0x7f
	s_cselect_b32 s8, s8, 0x7e
	v_mov_b32_e32 v4, s8
.LBB159_882:
	global_store_byte v[2:3], v4, off
.LBB159_883:
	s_mov_b64 s[8:9], 0
.LBB159_884:
	s_andn2_b64 vcc, exec, s[8:9]
	s_cbranch_vccnz .LBB159_896
; %bb.885:
	s_and_b32 s8, 0xffff, s14
	v_cvt_f32_u32_e32 v1, s8
	s_mov_b32 s8, 0x47800000
	v_cmp_gt_u32_e32 vcc, s8, v1
	v_readfirstlane_b32 s10, v1
	s_cbranch_vccz .LBB159_888
; %bb.886:
	s_cmp_gt_u32 s10, 0x387fffff
	s_cbranch_scc0 .LBB159_889
; %bb.887:
	s_bfe_u32 s8, s10, 0x10015
	s_add_i32 s8, s10, s8
	s_add_i32 s8, s8, 0x80fffff
	s_lshr_b32 s11, s8, 21
	s_mov_b64 s[8:9], 0
	s_branch .LBB159_890
.LBB159_888:
	s_mov_b64 s[8:9], -1
                                        ; implicit-def: $vgpr4
	s_branch .LBB159_893
.LBB159_889:
	s_mov_b64 s[8:9], -1
                                        ; implicit-def: $sgpr11
.LBB159_890:
	s_andn2_b64 vcc, exec, s[8:9]
	v_mov_b32_e32 v4, s11
	s_cbranch_vccnz .LBB159_892
; %bb.891:
	v_add_f32_e32 v4, 0x43000000, v1
.LBB159_892:
	s_mov_b64 s[8:9], 0
.LBB159_893:
	s_andn2_b64 vcc, exec, s[8:9]
	s_cbranch_vccnz .LBB159_895
; %bb.894:
	s_cmp_gt_u32 s10, 0x7f800000
	s_movk_i32 s8, 0x7f
	s_cselect_b32 s8, s8, 0x7c
	v_mov_b32_e32 v4, s8
.LBB159_895:
	global_store_byte v[2:3], v4, off
.LBB159_896:
	s_mov_b64 s[8:9], 0
	s_mov_b64 s[10:11], -1
.LBB159_897:
	s_andn2_b64 vcc, exec, s[8:9]
	s_mov_b64 s[8:9], 0
	s_cbranch_vccnz .LBB159_904
; %bb.898:
	v_mov_b32_e32 v1, 14
	v_cmp_gt_i16_sdwa s[8:9], s15, v1 src0_sel:BYTE_0 src1_sel:DWORD
	s_mov_b64 s[12:13], -1
	s_and_b64 vcc, exec, s[8:9]
	s_cbranch_vccz .LBB159_902
; %bb.899:
	v_mov_b32_e32 v1, 15
	v_cmp_eq_u16_sdwa s[8:9], s15, v1 src0_sel:BYTE_0 src1_sel:DWORD
	s_mov_b64 s[4:5], -1
	s_and_b64 vcc, exec, s[8:9]
	s_cbranch_vccz .LBB159_901
; %bb.900:
	s_and_b32 s4, 0xffff, s14
	v_cvt_f32_u32_e32 v1, s4
	s_mov_b64 s[4:5], 0
	s_mov_b64 s[10:11], -1
	v_bfe_u32 v4, v1, 16, 1
	v_add_u32_e32 v1, v1, v4
	v_add_u32_e32 v1, 0x7fff, v1
	global_store_short_d16_hi v[2:3], v1, off
.LBB159_901:
	s_mov_b64 s[12:13], 0
.LBB159_902:
	s_mov_b64 s[8:9], 0
	s_and_b64 vcc, exec, s[12:13]
	s_cbranch_vccz .LBB159_904
; %bb.903:
	v_mov_b32_e32 v1, 11
	v_cmp_ne_u16_sdwa s[4:5], s15, v1 src0_sel:BYTE_0 src1_sel:DWORD
	s_mov_b64 s[8:9], -1
.LBB159_904:
	s_and_b64 vcc, exec, s[4:5]
	s_cbranch_vccnz .LBB159_991
; %bb.905:
	s_andn2_b64 vcc, exec, s[8:9]
	s_cbranch_vccnz .LBB159_907
.LBB159_906:
	v_cmp_ne_u16_e64 s[4:5], s14, 0
	v_cndmask_b32_e64 v1, 0, 1, s[4:5]
	s_mov_b64 s[10:11], -1
	global_store_byte v[2:3], v1, off
.LBB159_907:
	s_branch .LBB159_780
.LBB159_908:
	v_mov_b32_e32 v1, 5
	v_cmp_lt_i16_sdwa s[8:9], s15, v1 src0_sel:BYTE_0 src1_sel:DWORD
	s_mov_b64 s[4:5], -1
	s_and_b64 vcc, exec, s[8:9]
	s_cbranch_vccnz .LBB159_929
; %bb.909:
	v_mov_b32_e32 v1, 8
	v_cmp_lt_i16_sdwa s[8:9], s15, v1 src0_sel:BYTE_0 src1_sel:DWORD
	s_and_b64 vcc, exec, s[8:9]
	s_cbranch_vccnz .LBB159_919
; %bb.910:
	v_mov_b32_e32 v1, 9
	v_cmp_lt_i16_sdwa s[8:9], s15, v1 src0_sel:BYTE_0 src1_sel:DWORD
	s_and_b64 vcc, exec, s[8:9]
	s_cbranch_vccnz .LBB159_916
; %bb.911:
	v_cmp_gt_i16_sdwa s[8:9], s15, v1 src0_sel:BYTE_0 src1_sel:DWORD
	s_and_b64 vcc, exec, s[8:9]
	s_cbranch_vccz .LBB159_913
; %bb.912:
	s_and_b32 s4, 0xffff, s14
	v_mov_b32_e32 v6, 0
	v_cvt_f64_u32_e32 v[4:5], s4
	v_mov_b32_e32 v7, v6
	global_store_dwordx4 v[2:3], v[4:7], off
	s_mov_b64 s[4:5], 0
.LBB159_913:
	s_andn2_b64 vcc, exec, s[4:5]
	s_cbranch_vccnz .LBB159_915
; %bb.914:
	s_and_b32 s4, 0xffff, s14
	v_cvt_f32_u32_e32 v4, s4
	v_mov_b32_e32 v5, 0
	global_store_dwordx2 v[2:3], v[4:5], off
.LBB159_915:
	s_mov_b64 s[4:5], 0
.LBB159_916:
	s_andn2_b64 vcc, exec, s[4:5]
	s_cbranch_vccnz .LBB159_918
; %bb.917:
	v_cvt_f16_u16_e32 v1, s14
	global_store_dword v[2:3], v1, off
.LBB159_918:
	s_mov_b64 s[4:5], 0
.LBB159_919:
	s_andn2_b64 vcc, exec, s[4:5]
	s_cbranch_vccnz .LBB159_928
; %bb.920:
	v_mov_b32_e32 v1, 6
	v_cmp_lt_i16_sdwa s[8:9], s15, v1 src0_sel:BYTE_0 src1_sel:DWORD
	s_mov_b64 s[4:5], -1
	s_and_b64 vcc, exec, s[8:9]
	s_cbranch_vccnz .LBB159_926
; %bb.921:
	v_cmp_gt_i16_sdwa s[8:9], s15, v1 src0_sel:BYTE_0 src1_sel:DWORD
	s_and_b64 vcc, exec, s[8:9]
	s_cbranch_vccz .LBB159_923
; %bb.922:
	s_and_b32 s4, 0xffff, s14
	v_cvt_f64_u32_e32 v[4:5], s4
	global_store_dwordx2 v[2:3], v[4:5], off
	s_mov_b64 s[4:5], 0
.LBB159_923:
	s_andn2_b64 vcc, exec, s[4:5]
	s_cbranch_vccnz .LBB159_925
; %bb.924:
	s_and_b32 s4, 0xffff, s14
	v_cvt_f32_u32_e32 v1, s4
	global_store_dword v[2:3], v1, off
.LBB159_925:
	s_mov_b64 s[4:5], 0
.LBB159_926:
	s_andn2_b64 vcc, exec, s[4:5]
	s_cbranch_vccnz .LBB159_928
; %bb.927:
	v_cvt_f16_u16_e32 v1, s14
	global_store_short v[2:3], v1, off
.LBB159_928:
	s_mov_b64 s[4:5], 0
.LBB159_929:
	s_andn2_b64 vcc, exec, s[4:5]
	s_cbranch_vccnz .LBB159_945
; %bb.930:
	v_mov_b32_e32 v1, 2
	v_cmp_lt_i16_sdwa s[8:9], s15, v1 src0_sel:BYTE_0 src1_sel:DWORD
	s_mov_b64 s[4:5], -1
	s_and_b64 vcc, exec, s[8:9]
	s_cbranch_vccnz .LBB159_940
; %bb.931:
	v_mov_b32_e32 v1, 3
	v_cmp_lt_i16_sdwa s[8:9], s15, v1 src0_sel:BYTE_0 src1_sel:DWORD
	s_and_b64 vcc, exec, s[8:9]
	s_cbranch_vccnz .LBB159_937
; %bb.932:
	v_cmp_gt_i16_sdwa s[8:9], s15, v1 src0_sel:BYTE_0 src1_sel:DWORD
	s_and_b64 vcc, exec, s[8:9]
	s_cbranch_vccz .LBB159_934
; %bb.933:
	s_and_b32 s4, s14, 0xffff
	v_mov_b32_e32 v4, s4
	v_mov_b32_e32 v5, 0
	global_store_dwordx2 v[2:3], v[4:5], off
	s_mov_b64 s[4:5], 0
.LBB159_934:
	s_andn2_b64 vcc, exec, s[4:5]
	s_cbranch_vccnz .LBB159_936
; %bb.935:
	s_and_b32 s4, 0xffff, s14
	v_mov_b32_e32 v1, s4
	global_store_dword v[2:3], v1, off
.LBB159_936:
	s_mov_b64 s[4:5], 0
.LBB159_937:
	s_andn2_b64 vcc, exec, s[4:5]
	s_cbranch_vccnz .LBB159_939
; %bb.938:
	v_mov_b32_e32 v1, s14
	global_store_short v[2:3], v1, off
.LBB159_939:
	s_mov_b64 s[4:5], 0
.LBB159_940:
	s_andn2_b64 vcc, exec, s[4:5]
	s_cbranch_vccnz .LBB159_945
; %bb.941:
	v_mov_b32_e32 v1, 0
	v_cmp_gt_i16_sdwa s[8:9], s15, v1 src0_sel:BYTE_0 src1_sel:DWORD
	s_mov_b64 s[4:5], -1
	s_and_b64 vcc, exec, s[8:9]
	s_cbranch_vccz .LBB159_943
; %bb.942:
	v_mov_b32_e32 v1, s14
	global_store_byte v[2:3], v1, off
	s_mov_b64 s[4:5], 0
.LBB159_943:
	s_andn2_b64 vcc, exec, s[4:5]
	s_cbranch_vccnz .LBB159_945
; %bb.944:
	v_mov_b32_e32 v1, s14
	global_store_byte v[2:3], v1, off
.LBB159_945:
	s_branch .LBB159_781
.LBB159_946:
	s_mov_b64 s[0:1], 0
	s_mov_b64 s[4:5], 0
                                        ; implicit-def: $vgpr2
                                        ; implicit-def: $vgpr0_vgpr1
.LBB159_947:
	s_and_b64 s[44:45], s[4:5], exec
	s_andn2_b64 s[4:5], s[6:7], exec
	s_and_b64 s[2:3], s[2:3], exec
	s_and_b64 s[0:1], s[0:1], exec
	s_or_b64 s[6:7], s[4:5], s[2:3]
.LBB159_948:
	s_or_b64 exec, exec, s[24:25]
	s_and_saveexec_b64 s[2:3], s[6:7]
	s_cbranch_execz .LBB159_951
; %bb.949:
	; divergent unreachable
	s_or_b64 exec, exec, s[2:3]
	s_and_saveexec_b64 s[2:3], s[44:45]
	s_xor_b64 s[2:3], exec, s[2:3]
	s_cbranch_execnz .LBB159_952
.LBB159_950:
	s_or_b64 exec, exec, s[2:3]
	s_and_saveexec_b64 s[2:3], s[0:1]
	s_cbranch_execnz .LBB159_953
	s_branch .LBB159_990
.LBB159_951:
	s_or_b64 exec, exec, s[2:3]
	s_and_saveexec_b64 s[2:3], s[44:45]
	s_xor_b64 s[2:3], exec, s[2:3]
	s_cbranch_execz .LBB159_950
.LBB159_952:
	v_cmp_ne_u16_e64 s[4:5], s14, 0
	v_cndmask_b32_e64 v3, 0, 1, s[4:5]
	global_store_byte v[0:1], v3, off
	s_or_b64 exec, exec, s[2:3]
	s_and_saveexec_b64 s[2:3], s[0:1]
	s_cbranch_execz .LBB159_990
.LBB159_953:
	v_cmp_gt_i16_e32 vcc, 5, v2
	s_mov_b64 s[0:1], -1
	s_cbranch_vccnz .LBB159_974
; %bb.954:
	v_cmp_gt_i16_e32 vcc, 8, v2
	s_cbranch_vccnz .LBB159_964
; %bb.955:
	v_cmp_gt_i16_e32 vcc, 9, v2
	s_cbranch_vccnz .LBB159_961
; %bb.956:
	v_cmp_lt_i16_e32 vcc, 9, v2
	s_cbranch_vccz .LBB159_958
; %bb.957:
	s_and_b32 s0, 0xffff, s14
	v_mov_b32_e32 v6, 0
	v_cvt_f64_u32_e32 v[4:5], s0
	v_mov_b32_e32 v7, v6
	global_store_dwordx4 v[0:1], v[4:7], off
	s_mov_b64 s[0:1], 0
.LBB159_958:
	s_andn2_b64 vcc, exec, s[0:1]
	s_cbranch_vccnz .LBB159_960
; %bb.959:
	s_and_b32 s0, 0xffff, s14
	v_cvt_f32_u32_e32 v4, s0
	v_mov_b32_e32 v5, 0
	global_store_dwordx2 v[0:1], v[4:5], off
.LBB159_960:
	s_mov_b64 s[0:1], 0
.LBB159_961:
	s_andn2_b64 vcc, exec, s[0:1]
	s_cbranch_vccnz .LBB159_963
; %bb.962:
	v_cvt_f16_u16_e32 v3, s14
	global_store_dword v[0:1], v3, off
.LBB159_963:
	s_mov_b64 s[0:1], 0
.LBB159_964:
	s_andn2_b64 vcc, exec, s[0:1]
	s_cbranch_vccnz .LBB159_973
; %bb.965:
	v_cmp_gt_i16_e32 vcc, 6, v2
	s_mov_b64 s[0:1], -1
	s_cbranch_vccnz .LBB159_971
; %bb.966:
	v_cmp_lt_i16_e32 vcc, 6, v2
	s_cbranch_vccz .LBB159_968
; %bb.967:
	s_and_b32 s0, 0xffff, s14
	v_cvt_f64_u32_e32 v[4:5], s0
	global_store_dwordx2 v[0:1], v[4:5], off
	s_mov_b64 s[0:1], 0
.LBB159_968:
	s_andn2_b64 vcc, exec, s[0:1]
	s_cbranch_vccnz .LBB159_970
; %bb.969:
	s_and_b32 s0, 0xffff, s14
	v_cvt_f32_u32_e32 v3, s0
	global_store_dword v[0:1], v3, off
.LBB159_970:
	s_mov_b64 s[0:1], 0
.LBB159_971:
	s_andn2_b64 vcc, exec, s[0:1]
	s_cbranch_vccnz .LBB159_973
; %bb.972:
	v_cvt_f16_u16_e32 v3, s14
	global_store_short v[0:1], v3, off
.LBB159_973:
	s_mov_b64 s[0:1], 0
.LBB159_974:
	s_andn2_b64 vcc, exec, s[0:1]
	s_cbranch_vccnz .LBB159_990
; %bb.975:
	v_cmp_gt_i16_e32 vcc, 2, v2
	s_mov_b64 s[0:1], -1
	s_cbranch_vccnz .LBB159_985
; %bb.976:
	v_cmp_gt_i16_e32 vcc, 3, v2
	s_cbranch_vccnz .LBB159_982
; %bb.977:
	v_cmp_lt_i16_e32 vcc, 3, v2
	s_cbranch_vccz .LBB159_979
; %bb.978:
	s_and_b32 s0, s14, 0xffff
	v_mov_b32_e32 v4, s0
	v_mov_b32_e32 v5, 0
	global_store_dwordx2 v[0:1], v[4:5], off
	s_mov_b64 s[0:1], 0
.LBB159_979:
	s_andn2_b64 vcc, exec, s[0:1]
	s_cbranch_vccnz .LBB159_981
; %bb.980:
	s_and_b32 s0, 0xffff, s14
	v_mov_b32_e32 v3, s0
	global_store_dword v[0:1], v3, off
.LBB159_981:
	s_mov_b64 s[0:1], 0
.LBB159_982:
	s_andn2_b64 vcc, exec, s[0:1]
	s_cbranch_vccnz .LBB159_984
; %bb.983:
	v_mov_b32_e32 v3, s14
	global_store_short v[0:1], v3, off
.LBB159_984:
	s_mov_b64 s[0:1], 0
.LBB159_985:
	s_andn2_b64 vcc, exec, s[0:1]
	s_cbranch_vccnz .LBB159_990
; %bb.986:
	v_cmp_lt_i16_e32 vcc, 0, v2
	s_mov_b64 s[0:1], -1
	s_cbranch_vccz .LBB159_988
; %bb.987:
	v_mov_b32_e32 v2, s14
	global_store_byte v[0:1], v2, off
	s_mov_b64 s[0:1], 0
.LBB159_988:
	s_andn2_b64 vcc, exec, s[0:1]
	s_cbranch_vccnz .LBB159_990
; %bb.989:
	v_mov_b32_e32 v2, s14
	global_store_byte v[0:1], v2, off
	s_endpgm
.LBB159_990:
	s_endpgm
.LBB159_991:
	s_trap 2
	s_or_b64 s[2:3], s[2:3], exec
	s_cbranch_execz .LBB159_906
	s_branch .LBB159_907
.LBB159_992:
	s_mov_b64 s[8:9], -1
	s_mov_b64 s[4:5], 0
                                        ; implicit-def: $sgpr10
.LBB159_993:
	s_andn2_b64 vcc, exec, s[8:9]
	v_mov_b32_e32 v4, s10
                                        ; implicit-def: $sgpr8
	s_cbranch_vccnz .LBB159_995
; %bb.994:
	v_add_f32_e32 v3, 0x42800000, v3
	v_and_b32_e32 v4, 0xff, v3
	s_mov_b32 s8, 0
	v_cmp_ne_u32_e64 s[4:5], 0, v4
.LBB159_995:
	s_andn2_b64 vcc, exec, s[4:5]
	v_mov_b32_e32 v5, s8
	s_cbranch_vccnz .LBB159_997
; %bb.996:
	v_mov_b32_e32 v5, v4
.LBB159_997:
	s_mov_b64 s[4:5], 0
	global_store_byte v[0:1], v5, off
.LBB159_998:
	s_and_b64 vcc, exec, s[4:5]
	s_cbranch_vccz .LBB159_1010
; %bb.999:
	s_and_b32 s4, 0xffff, s14
	v_cvt_f32_u32_e32 v3, s4
	s_mov_b32 s4, 0x43f00000
	v_cmp_gt_u32_e32 vcc, s4, v3
	v_readfirstlane_b32 s8, v3
	s_cbranch_vccz .LBB159_1002
; %bb.1000:
	s_cmp_gt_u32 s8, 0x3c7fffff
	s_cbranch_scc0 .LBB159_1003
; %bb.1001:
	s_bfe_u32 s4, s8, 0x10014
	s_add_i32 s4, s8, s4
	s_add_i32 s4, s4, 0x407ffff
	s_lshr_b32 s5, s4, 20
	s_and_b32 s4, s4, 0xff00000
	s_cmp_lg_u32 s4, 0x7f00000
	s_cselect_b32 s9, s5, 0x7e
	s_mov_b64 s[4:5], 0
	s_branch .LBB159_1004
.LBB159_1002:
	s_mov_b64 s[4:5], -1
                                        ; implicit-def: $vgpr4
	s_branch .LBB159_1007
.LBB159_1003:
	s_mov_b64 s[4:5], -1
                                        ; implicit-def: $sgpr9
.LBB159_1004:
	s_andn2_b64 vcc, exec, s[4:5]
	v_mov_b32_e32 v4, s9
	s_cbranch_vccnz .LBB159_1006
; %bb.1005:
	v_add_f32_e32 v4, 0x46800000, v3
.LBB159_1006:
	s_mov_b64 s[4:5], 0
.LBB159_1007:
	s_andn2_b64 vcc, exec, s[4:5]
	s_cbranch_vccnz .LBB159_1009
; %bb.1008:
	s_cmp_gt_u32 s8, 0x7f800000
	s_movk_i32 s4, 0x7f
	s_cselect_b32 s4, s4, 0x7e
	v_mov_b32_e32 v4, s4
.LBB159_1009:
	global_store_byte v[0:1], v4, off
.LBB159_1010:
	s_mov_b64 s[4:5], 0
.LBB159_1011:
	s_andn2_b64 vcc, exec, s[4:5]
	s_cbranch_vccnz .LBB159_1023
; %bb.1012:
	s_and_b32 s4, 0xffff, s14
	v_cvt_f32_u32_e32 v3, s4
	s_mov_b32 s4, 0x47800000
	v_cmp_gt_u32_e32 vcc, s4, v3
	v_readfirstlane_b32 s8, v3
	s_cbranch_vccz .LBB159_1015
; %bb.1013:
	s_cmp_gt_u32 s8, 0x387fffff
	s_cbranch_scc0 .LBB159_1016
; %bb.1014:
	s_bfe_u32 s4, s8, 0x10015
	s_add_i32 s4, s8, s4
	s_add_i32 s4, s4, 0x80fffff
	s_lshr_b32 s9, s4, 21
	s_mov_b64 s[4:5], 0
	s_branch .LBB159_1017
.LBB159_1015:
	s_mov_b64 s[4:5], -1
                                        ; implicit-def: $vgpr4
	s_branch .LBB159_1020
.LBB159_1016:
	s_mov_b64 s[4:5], -1
                                        ; implicit-def: $sgpr9
.LBB159_1017:
	s_andn2_b64 vcc, exec, s[4:5]
	v_mov_b32_e32 v4, s9
	s_cbranch_vccnz .LBB159_1019
; %bb.1018:
	v_add_f32_e32 v4, 0x43000000, v3
.LBB159_1019:
	s_mov_b64 s[4:5], 0
.LBB159_1020:
	s_andn2_b64 vcc, exec, s[4:5]
	s_cbranch_vccnz .LBB159_1022
; %bb.1021:
	s_cmp_gt_u32 s8, 0x7f800000
	s_movk_i32 s4, 0x7f
	s_cselect_b32 s4, s4, 0x7c
	v_mov_b32_e32 v4, s4
.LBB159_1022:
	global_store_byte v[0:1], v4, off
.LBB159_1023:
	s_mov_b64 s[4:5], 0
.LBB159_1024:
	s_andn2_b64 vcc, exec, s[4:5]
	s_mov_b64 s[4:5], 0
	s_cbranch_vccnz .LBB159_1031
; %bb.1025:
	v_cmp_lt_i16_e32 vcc, 14, v2
	s_mov_b64 s[8:9], -1
	s_cbranch_vccz .LBB159_1029
; %bb.1026:
	v_cmp_eq_u16_e32 vcc, 15, v2
	s_mov_b64 s[0:1], -1
	s_cbranch_vccz .LBB159_1028
; %bb.1027:
	s_and_b32 s0, 0xffff, s14
	v_cvt_f32_u32_e32 v3, s0
	s_mov_b64 s[0:1], 0
	v_bfe_u32 v4, v3, 16, 1
	v_add_u32_e32 v3, v3, v4
	v_add_u32_e32 v3, 0x7fff, v3
	global_store_short_d16_hi v[0:1], v3, off
.LBB159_1028:
	s_mov_b64 s[8:9], 0
.LBB159_1029:
	s_and_b64 vcc, exec, s[8:9]
	s_cbranch_vccz .LBB159_1031
; %bb.1030:
	v_cmp_ne_u16_e64 s[0:1], 11, v2
	s_mov_b64 s[4:5], -1
.LBB159_1031:
	s_and_b64 vcc, exec, s[0:1]
	s_cbranch_vccnz .LBB159_1033
.LBB159_1032:
	s_mov_b64 s[0:1], 0
	s_branch .LBB159_947
.LBB159_1033:
	s_mov_b64 s[4:5], 0
	s_or_b64 s[2:3], s[2:3], exec
	s_trap 2
	s_branch .LBB159_1032
	.section	.rodata,"a",@progbits
	.p2align	6, 0x0
	.amdhsa_kernel _ZN2at6native32elementwise_kernel_manual_unrollILi128ELi4EZNS0_15gpu_kernel_implINS0_11FillFunctorItEEEEvRNS_18TensorIteratorBaseERKT_EUlibE0_EEviT1_
		.amdhsa_group_segment_fixed_size 0
		.amdhsa_private_segment_fixed_size 0
		.amdhsa_kernarg_size 288
		.amdhsa_user_sgpr_count 6
		.amdhsa_user_sgpr_private_segment_buffer 1
		.amdhsa_user_sgpr_dispatch_ptr 0
		.amdhsa_user_sgpr_queue_ptr 0
		.amdhsa_user_sgpr_kernarg_segment_ptr 1
		.amdhsa_user_sgpr_dispatch_id 0
		.amdhsa_user_sgpr_flat_scratch_init 0
		.amdhsa_user_sgpr_kernarg_preload_length 0
		.amdhsa_user_sgpr_kernarg_preload_offset 0
		.amdhsa_user_sgpr_private_segment_size 0
		.amdhsa_uses_dynamic_stack 0
		.amdhsa_system_sgpr_private_segment_wavefront_offset 0
		.amdhsa_system_sgpr_workgroup_id_x 1
		.amdhsa_system_sgpr_workgroup_id_y 0
		.amdhsa_system_sgpr_workgroup_id_z 0
		.amdhsa_system_sgpr_workgroup_info 0
		.amdhsa_system_vgpr_workitem_id 0
		.amdhsa_next_free_vgpr 24
		.amdhsa_next_free_sgpr 90
		.amdhsa_accum_offset 24
		.amdhsa_reserve_vcc 1
		.amdhsa_reserve_flat_scratch 0
		.amdhsa_float_round_mode_32 0
		.amdhsa_float_round_mode_16_64 0
		.amdhsa_float_denorm_mode_32 3
		.amdhsa_float_denorm_mode_16_64 3
		.amdhsa_dx10_clamp 1
		.amdhsa_ieee_mode 1
		.amdhsa_fp16_overflow 0
		.amdhsa_tg_split 0
		.amdhsa_exception_fp_ieee_invalid_op 0
		.amdhsa_exception_fp_denorm_src 0
		.amdhsa_exception_fp_ieee_div_zero 0
		.amdhsa_exception_fp_ieee_overflow 0
		.amdhsa_exception_fp_ieee_underflow 0
		.amdhsa_exception_fp_ieee_inexact 0
		.amdhsa_exception_int_div_zero 0
	.end_amdhsa_kernel
	.section	.text._ZN2at6native32elementwise_kernel_manual_unrollILi128ELi4EZNS0_15gpu_kernel_implINS0_11FillFunctorItEEEEvRNS_18TensorIteratorBaseERKT_EUlibE0_EEviT1_,"axG",@progbits,_ZN2at6native32elementwise_kernel_manual_unrollILi128ELi4EZNS0_15gpu_kernel_implINS0_11FillFunctorItEEEEvRNS_18TensorIteratorBaseERKT_EUlibE0_EEviT1_,comdat
.Lfunc_end159:
	.size	_ZN2at6native32elementwise_kernel_manual_unrollILi128ELi4EZNS0_15gpu_kernel_implINS0_11FillFunctorItEEEEvRNS_18TensorIteratorBaseERKT_EUlibE0_EEviT1_, .Lfunc_end159-_ZN2at6native32elementwise_kernel_manual_unrollILi128ELi4EZNS0_15gpu_kernel_implINS0_11FillFunctorItEEEEvRNS_18TensorIteratorBaseERKT_EUlibE0_EEviT1_
                                        ; -- End function
	.section	.AMDGPU.csdata,"",@progbits
; Kernel info:
; codeLenInByte = 18468
; NumSgprs: 94
; NumVgprs: 24
; NumAgprs: 0
; TotalNumVgprs: 24
; ScratchSize: 0
; MemoryBound: 0
; FloatMode: 240
; IeeeMode: 1
; LDSByteSize: 0 bytes/workgroup (compile time only)
; SGPRBlocks: 11
; VGPRBlocks: 2
; NumSGPRsForWavesPerEU: 94
; NumVGPRsForWavesPerEU: 24
; AccumOffset: 24
; Occupancy: 8
; WaveLimiterHint : 1
; COMPUTE_PGM_RSRC2:SCRATCH_EN: 0
; COMPUTE_PGM_RSRC2:USER_SGPR: 6
; COMPUTE_PGM_RSRC2:TRAP_HANDLER: 0
; COMPUTE_PGM_RSRC2:TGID_X_EN: 1
; COMPUTE_PGM_RSRC2:TGID_Y_EN: 0
; COMPUTE_PGM_RSRC2:TGID_Z_EN: 0
; COMPUTE_PGM_RSRC2:TIDIG_COMP_CNT: 0
; COMPUTE_PGM_RSRC3_GFX90A:ACCUM_OFFSET: 5
; COMPUTE_PGM_RSRC3_GFX90A:TG_SPLIT: 0
	.section	.text._ZN2at6native29vectorized_elementwise_kernelILi16ENS0_11FillFunctorIjEESt5arrayIPcLm1EEEEviT0_T1_,"axG",@progbits,_ZN2at6native29vectorized_elementwise_kernelILi16ENS0_11FillFunctorIjEESt5arrayIPcLm1EEEEviT0_T1_,comdat
	.protected	_ZN2at6native29vectorized_elementwise_kernelILi16ENS0_11FillFunctorIjEESt5arrayIPcLm1EEEEviT0_T1_ ; -- Begin function _ZN2at6native29vectorized_elementwise_kernelILi16ENS0_11FillFunctorIjEESt5arrayIPcLm1EEEEviT0_T1_
	.globl	_ZN2at6native29vectorized_elementwise_kernelILi16ENS0_11FillFunctorIjEESt5arrayIPcLm1EEEEviT0_T1_
	.p2align	8
	.type	_ZN2at6native29vectorized_elementwise_kernelILi16ENS0_11FillFunctorIjEESt5arrayIPcLm1EEEEviT0_T1_,@function
_ZN2at6native29vectorized_elementwise_kernelILi16ENS0_11FillFunctorIjEESt5arrayIPcLm1EEEEviT0_T1_: ; @_ZN2at6native29vectorized_elementwise_kernelILi16ENS0_11FillFunctorIjEESt5arrayIPcLm1EEEEviT0_T1_
; %bb.0:
	s_load_dwordx4 s[0:3], s[4:5], 0x0
	s_lshl_b32 s4, s6, 10
	s_mov_b64 s[6:7], -1
	s_waitcnt lgkmcnt(0)
	s_sub_i32 s0, s0, s4
	s_cmpk_gt_i32 s0, 0x3ff
	s_cbranch_scc0 .LBB160_2
; %bb.1:
	s_ashr_i32 s5, s4, 31
	s_lshl_b64 s[6:7], s[4:5], 2
	s_add_u32 s6, s2, s6
	s_addc_u32 s7, s3, s7
	v_lshlrev_b32_e32 v1, 4, v0
	v_mov_b32_e32 v2, s1
	v_mov_b32_e32 v3, s1
	;; [unrolled: 1-line block ×4, first 2 shown]
	global_store_dwordx4 v1, v[2:5], s[6:7]
	s_mov_b64 s[6:7], 0
.LBB160_2:
	s_andn2_b64 vcc, exec, s[6:7]
	s_cbranch_vccnz .LBB160_8
; %bb.3:
	v_cmp_gt_i32_e32 vcc, s0, v0
	s_and_saveexec_b64 s[6:7], vcc
	s_cbranch_execnz .LBB160_9
; %bb.4:
	s_or_b64 exec, exec, s[6:7]
	v_cmp_gt_i32_e32 vcc, s0, v0
	s_and_saveexec_b64 s[6:7], vcc
	s_cbranch_execnz .LBB160_10
.LBB160_5:
	s_or_b64 exec, exec, s[6:7]
	v_cmp_gt_i32_e32 vcc, s0, v0
	s_and_saveexec_b64 s[6:7], vcc
	s_cbranch_execnz .LBB160_11
.LBB160_6:
	s_or_b64 exec, exec, s[6:7]
	v_cmp_gt_i32_e32 vcc, s0, v0
	s_and_saveexec_b64 s[6:7], vcc
	s_cbranch_execz .LBB160_8
.LBB160_7:
	v_add_u32_e32 v0, s4, v0
	v_mov_b32_e32 v1, 0
	v_lshlrev_b64 v[0:1], 2, v[0:1]
	v_mov_b32_e32 v2, s3
	v_add_co_u32_e32 v0, vcc, s2, v0
	v_addc_co_u32_e32 v1, vcc, v2, v1, vcc
	v_mov_b32_e32 v2, s1
	global_store_dword v[0:1], v2, off
.LBB160_8:
	s_endpgm
.LBB160_9:
	v_or_b32_e32 v2, 0x100, v0
	v_or_b32_e32 v0, s4, v0
	v_mov_b32_e32 v1, 0
	v_lshlrev_b64 v[0:1], 2, v[0:1]
	v_mov_b32_e32 v3, s3
	v_add_co_u32_e32 v0, vcc, s2, v0
	v_addc_co_u32_e32 v1, vcc, v3, v1, vcc
	v_mov_b32_e32 v3, s1
	global_store_dword v[0:1], v3, off
	v_mov_b32_e32 v0, v2
	s_or_b64 exec, exec, s[6:7]
	v_cmp_gt_i32_e32 vcc, s0, v0
	s_and_saveexec_b64 s[6:7], vcc
	s_cbranch_execz .LBB160_5
.LBB160_10:
	v_add_u32_e32 v2, s4, v0
	v_mov_b32_e32 v3, 0
	v_lshlrev_b64 v[2:3], 2, v[2:3]
	v_mov_b32_e32 v1, s3
	v_add_co_u32_e32 v2, vcc, s2, v2
	v_addc_co_u32_e32 v3, vcc, v1, v3, vcc
	v_mov_b32_e32 v1, s1
	v_add_u32_e32 v0, 0x100, v0
	global_store_dword v[2:3], v1, off
	s_or_b64 exec, exec, s[6:7]
	v_cmp_gt_i32_e32 vcc, s0, v0
	s_and_saveexec_b64 s[6:7], vcc
	s_cbranch_execz .LBB160_6
.LBB160_11:
	v_add_u32_e32 v2, s4, v0
	v_mov_b32_e32 v3, 0
	v_lshlrev_b64 v[2:3], 2, v[2:3]
	v_mov_b32_e32 v1, s3
	v_add_co_u32_e32 v2, vcc, s2, v2
	v_addc_co_u32_e32 v3, vcc, v1, v3, vcc
	v_mov_b32_e32 v1, s1
	v_add_u32_e32 v0, 0x100, v0
	global_store_dword v[2:3], v1, off
	s_or_b64 exec, exec, s[6:7]
	v_cmp_gt_i32_e32 vcc, s0, v0
	s_and_saveexec_b64 s[6:7], vcc
	s_cbranch_execnz .LBB160_7
	s_branch .LBB160_8
	.section	.rodata,"a",@progbits
	.p2align	6, 0x0
	.amdhsa_kernel _ZN2at6native29vectorized_elementwise_kernelILi16ENS0_11FillFunctorIjEESt5arrayIPcLm1EEEEviT0_T1_
		.amdhsa_group_segment_fixed_size 0
		.amdhsa_private_segment_fixed_size 0
		.amdhsa_kernarg_size 16
		.amdhsa_user_sgpr_count 6
		.amdhsa_user_sgpr_private_segment_buffer 1
		.amdhsa_user_sgpr_dispatch_ptr 0
		.amdhsa_user_sgpr_queue_ptr 0
		.amdhsa_user_sgpr_kernarg_segment_ptr 1
		.amdhsa_user_sgpr_dispatch_id 0
		.amdhsa_user_sgpr_flat_scratch_init 0
		.amdhsa_user_sgpr_kernarg_preload_length 0
		.amdhsa_user_sgpr_kernarg_preload_offset 0
		.amdhsa_user_sgpr_private_segment_size 0
		.amdhsa_uses_dynamic_stack 0
		.amdhsa_system_sgpr_private_segment_wavefront_offset 0
		.amdhsa_system_sgpr_workgroup_id_x 1
		.amdhsa_system_sgpr_workgroup_id_y 0
		.amdhsa_system_sgpr_workgroup_id_z 0
		.amdhsa_system_sgpr_workgroup_info 0
		.amdhsa_system_vgpr_workitem_id 0
		.amdhsa_next_free_vgpr 6
		.amdhsa_next_free_sgpr 8
		.amdhsa_accum_offset 8
		.amdhsa_reserve_vcc 1
		.amdhsa_reserve_flat_scratch 0
		.amdhsa_float_round_mode_32 0
		.amdhsa_float_round_mode_16_64 0
		.amdhsa_float_denorm_mode_32 3
		.amdhsa_float_denorm_mode_16_64 3
		.amdhsa_dx10_clamp 1
		.amdhsa_ieee_mode 1
		.amdhsa_fp16_overflow 0
		.amdhsa_tg_split 0
		.amdhsa_exception_fp_ieee_invalid_op 0
		.amdhsa_exception_fp_denorm_src 0
		.amdhsa_exception_fp_ieee_div_zero 0
		.amdhsa_exception_fp_ieee_overflow 0
		.amdhsa_exception_fp_ieee_underflow 0
		.amdhsa_exception_fp_ieee_inexact 0
		.amdhsa_exception_int_div_zero 0
	.end_amdhsa_kernel
	.section	.text._ZN2at6native29vectorized_elementwise_kernelILi16ENS0_11FillFunctorIjEESt5arrayIPcLm1EEEEviT0_T1_,"axG",@progbits,_ZN2at6native29vectorized_elementwise_kernelILi16ENS0_11FillFunctorIjEESt5arrayIPcLm1EEEEviT0_T1_,comdat
.Lfunc_end160:
	.size	_ZN2at6native29vectorized_elementwise_kernelILi16ENS0_11FillFunctorIjEESt5arrayIPcLm1EEEEviT0_T1_, .Lfunc_end160-_ZN2at6native29vectorized_elementwise_kernelILi16ENS0_11FillFunctorIjEESt5arrayIPcLm1EEEEviT0_T1_
                                        ; -- End function
	.section	.AMDGPU.csdata,"",@progbits
; Kernel info:
; codeLenInByte = 392
; NumSgprs: 12
; NumVgprs: 6
; NumAgprs: 0
; TotalNumVgprs: 6
; ScratchSize: 0
; MemoryBound: 0
; FloatMode: 240
; IeeeMode: 1
; LDSByteSize: 0 bytes/workgroup (compile time only)
; SGPRBlocks: 1
; VGPRBlocks: 0
; NumSGPRsForWavesPerEU: 12
; NumVGPRsForWavesPerEU: 6
; AccumOffset: 8
; Occupancy: 8
; WaveLimiterHint : 0
; COMPUTE_PGM_RSRC2:SCRATCH_EN: 0
; COMPUTE_PGM_RSRC2:USER_SGPR: 6
; COMPUTE_PGM_RSRC2:TRAP_HANDLER: 0
; COMPUTE_PGM_RSRC2:TGID_X_EN: 1
; COMPUTE_PGM_RSRC2:TGID_Y_EN: 0
; COMPUTE_PGM_RSRC2:TGID_Z_EN: 0
; COMPUTE_PGM_RSRC2:TIDIG_COMP_CNT: 0
; COMPUTE_PGM_RSRC3_GFX90A:ACCUM_OFFSET: 1
; COMPUTE_PGM_RSRC3_GFX90A:TG_SPLIT: 0
	.section	.text._ZN2at6native29vectorized_elementwise_kernelILi8ENS0_11FillFunctorIjEESt5arrayIPcLm1EEEEviT0_T1_,"axG",@progbits,_ZN2at6native29vectorized_elementwise_kernelILi8ENS0_11FillFunctorIjEESt5arrayIPcLm1EEEEviT0_T1_,comdat
	.protected	_ZN2at6native29vectorized_elementwise_kernelILi8ENS0_11FillFunctorIjEESt5arrayIPcLm1EEEEviT0_T1_ ; -- Begin function _ZN2at6native29vectorized_elementwise_kernelILi8ENS0_11FillFunctorIjEESt5arrayIPcLm1EEEEviT0_T1_
	.globl	_ZN2at6native29vectorized_elementwise_kernelILi8ENS0_11FillFunctorIjEESt5arrayIPcLm1EEEEviT0_T1_
	.p2align	8
	.type	_ZN2at6native29vectorized_elementwise_kernelILi8ENS0_11FillFunctorIjEESt5arrayIPcLm1EEEEviT0_T1_,@function
_ZN2at6native29vectorized_elementwise_kernelILi8ENS0_11FillFunctorIjEESt5arrayIPcLm1EEEEviT0_T1_: ; @_ZN2at6native29vectorized_elementwise_kernelILi8ENS0_11FillFunctorIjEESt5arrayIPcLm1EEEEviT0_T1_
; %bb.0:
	s_load_dwordx4 s[0:3], s[4:5], 0x0
	s_lshl_b32 s4, s6, 10
	s_mov_b64 s[6:7], -1
	s_waitcnt lgkmcnt(0)
	s_sub_i32 s0, s0, s4
	s_cmpk_gt_i32 s0, 0x3ff
	s_cbranch_scc0 .LBB161_2
; %bb.1:
	s_ashr_i32 s5, s4, 31
	s_lshl_b64 s[6:7], s[4:5], 2
	s_add_u32 s6, s2, s6
	s_addc_u32 s7, s3, s7
	v_lshlrev_b32_e32 v1, 4, v0
	v_mov_b32_e32 v2, s1
	v_mov_b32_e32 v3, s1
	;; [unrolled: 1-line block ×4, first 2 shown]
	global_store_dwordx4 v1, v[2:5], s[6:7]
	s_mov_b64 s[6:7], 0
.LBB161_2:
	s_andn2_b64 vcc, exec, s[6:7]
	s_cbranch_vccnz .LBB161_8
; %bb.3:
	v_cmp_gt_i32_e32 vcc, s0, v0
	s_and_saveexec_b64 s[6:7], vcc
	s_cbranch_execnz .LBB161_9
; %bb.4:
	s_or_b64 exec, exec, s[6:7]
	v_cmp_gt_i32_e32 vcc, s0, v0
	s_and_saveexec_b64 s[6:7], vcc
	s_cbranch_execnz .LBB161_10
.LBB161_5:
	s_or_b64 exec, exec, s[6:7]
	v_cmp_gt_i32_e32 vcc, s0, v0
	s_and_saveexec_b64 s[6:7], vcc
	s_cbranch_execnz .LBB161_11
.LBB161_6:
	s_or_b64 exec, exec, s[6:7]
	v_cmp_gt_i32_e32 vcc, s0, v0
	s_and_saveexec_b64 s[6:7], vcc
	s_cbranch_execz .LBB161_8
.LBB161_7:
	v_add_u32_e32 v0, s4, v0
	v_mov_b32_e32 v1, 0
	v_lshlrev_b64 v[0:1], 2, v[0:1]
	v_mov_b32_e32 v2, s3
	v_add_co_u32_e32 v0, vcc, s2, v0
	v_addc_co_u32_e32 v1, vcc, v2, v1, vcc
	v_mov_b32_e32 v2, s1
	global_store_dword v[0:1], v2, off
.LBB161_8:
	s_endpgm
.LBB161_9:
	v_or_b32_e32 v2, 0x100, v0
	v_or_b32_e32 v0, s4, v0
	v_mov_b32_e32 v1, 0
	v_lshlrev_b64 v[0:1], 2, v[0:1]
	v_mov_b32_e32 v3, s3
	v_add_co_u32_e32 v0, vcc, s2, v0
	v_addc_co_u32_e32 v1, vcc, v3, v1, vcc
	v_mov_b32_e32 v3, s1
	global_store_dword v[0:1], v3, off
	v_mov_b32_e32 v0, v2
	s_or_b64 exec, exec, s[6:7]
	v_cmp_gt_i32_e32 vcc, s0, v0
	s_and_saveexec_b64 s[6:7], vcc
	s_cbranch_execz .LBB161_5
.LBB161_10:
	v_add_u32_e32 v2, s4, v0
	v_mov_b32_e32 v3, 0
	v_lshlrev_b64 v[2:3], 2, v[2:3]
	v_mov_b32_e32 v1, s3
	v_add_co_u32_e32 v2, vcc, s2, v2
	v_addc_co_u32_e32 v3, vcc, v1, v3, vcc
	v_mov_b32_e32 v1, s1
	v_add_u32_e32 v0, 0x100, v0
	global_store_dword v[2:3], v1, off
	s_or_b64 exec, exec, s[6:7]
	v_cmp_gt_i32_e32 vcc, s0, v0
	s_and_saveexec_b64 s[6:7], vcc
	s_cbranch_execz .LBB161_6
.LBB161_11:
	v_add_u32_e32 v2, s4, v0
	v_mov_b32_e32 v3, 0
	v_lshlrev_b64 v[2:3], 2, v[2:3]
	v_mov_b32_e32 v1, s3
	v_add_co_u32_e32 v2, vcc, s2, v2
	v_addc_co_u32_e32 v3, vcc, v1, v3, vcc
	v_mov_b32_e32 v1, s1
	v_add_u32_e32 v0, 0x100, v0
	global_store_dword v[2:3], v1, off
	s_or_b64 exec, exec, s[6:7]
	v_cmp_gt_i32_e32 vcc, s0, v0
	s_and_saveexec_b64 s[6:7], vcc
	s_cbranch_execnz .LBB161_7
	s_branch .LBB161_8
	.section	.rodata,"a",@progbits
	.p2align	6, 0x0
	.amdhsa_kernel _ZN2at6native29vectorized_elementwise_kernelILi8ENS0_11FillFunctorIjEESt5arrayIPcLm1EEEEviT0_T1_
		.amdhsa_group_segment_fixed_size 0
		.amdhsa_private_segment_fixed_size 0
		.amdhsa_kernarg_size 16
		.amdhsa_user_sgpr_count 6
		.amdhsa_user_sgpr_private_segment_buffer 1
		.amdhsa_user_sgpr_dispatch_ptr 0
		.amdhsa_user_sgpr_queue_ptr 0
		.amdhsa_user_sgpr_kernarg_segment_ptr 1
		.amdhsa_user_sgpr_dispatch_id 0
		.amdhsa_user_sgpr_flat_scratch_init 0
		.amdhsa_user_sgpr_kernarg_preload_length 0
		.amdhsa_user_sgpr_kernarg_preload_offset 0
		.amdhsa_user_sgpr_private_segment_size 0
		.amdhsa_uses_dynamic_stack 0
		.amdhsa_system_sgpr_private_segment_wavefront_offset 0
		.amdhsa_system_sgpr_workgroup_id_x 1
		.amdhsa_system_sgpr_workgroup_id_y 0
		.amdhsa_system_sgpr_workgroup_id_z 0
		.amdhsa_system_sgpr_workgroup_info 0
		.amdhsa_system_vgpr_workitem_id 0
		.amdhsa_next_free_vgpr 6
		.amdhsa_next_free_sgpr 8
		.amdhsa_accum_offset 8
		.amdhsa_reserve_vcc 1
		.amdhsa_reserve_flat_scratch 0
		.amdhsa_float_round_mode_32 0
		.amdhsa_float_round_mode_16_64 0
		.amdhsa_float_denorm_mode_32 3
		.amdhsa_float_denorm_mode_16_64 3
		.amdhsa_dx10_clamp 1
		.amdhsa_ieee_mode 1
		.amdhsa_fp16_overflow 0
		.amdhsa_tg_split 0
		.amdhsa_exception_fp_ieee_invalid_op 0
		.amdhsa_exception_fp_denorm_src 0
		.amdhsa_exception_fp_ieee_div_zero 0
		.amdhsa_exception_fp_ieee_overflow 0
		.amdhsa_exception_fp_ieee_underflow 0
		.amdhsa_exception_fp_ieee_inexact 0
		.amdhsa_exception_int_div_zero 0
	.end_amdhsa_kernel
	.section	.text._ZN2at6native29vectorized_elementwise_kernelILi8ENS0_11FillFunctorIjEESt5arrayIPcLm1EEEEviT0_T1_,"axG",@progbits,_ZN2at6native29vectorized_elementwise_kernelILi8ENS0_11FillFunctorIjEESt5arrayIPcLm1EEEEviT0_T1_,comdat
.Lfunc_end161:
	.size	_ZN2at6native29vectorized_elementwise_kernelILi8ENS0_11FillFunctorIjEESt5arrayIPcLm1EEEEviT0_T1_, .Lfunc_end161-_ZN2at6native29vectorized_elementwise_kernelILi8ENS0_11FillFunctorIjEESt5arrayIPcLm1EEEEviT0_T1_
                                        ; -- End function
	.section	.AMDGPU.csdata,"",@progbits
; Kernel info:
; codeLenInByte = 392
; NumSgprs: 12
; NumVgprs: 6
; NumAgprs: 0
; TotalNumVgprs: 6
; ScratchSize: 0
; MemoryBound: 0
; FloatMode: 240
; IeeeMode: 1
; LDSByteSize: 0 bytes/workgroup (compile time only)
; SGPRBlocks: 1
; VGPRBlocks: 0
; NumSGPRsForWavesPerEU: 12
; NumVGPRsForWavesPerEU: 6
; AccumOffset: 8
; Occupancy: 8
; WaveLimiterHint : 0
; COMPUTE_PGM_RSRC2:SCRATCH_EN: 0
; COMPUTE_PGM_RSRC2:USER_SGPR: 6
; COMPUTE_PGM_RSRC2:TRAP_HANDLER: 0
; COMPUTE_PGM_RSRC2:TGID_X_EN: 1
; COMPUTE_PGM_RSRC2:TGID_Y_EN: 0
; COMPUTE_PGM_RSRC2:TGID_Z_EN: 0
; COMPUTE_PGM_RSRC2:TIDIG_COMP_CNT: 0
; COMPUTE_PGM_RSRC3_GFX90A:ACCUM_OFFSET: 1
; COMPUTE_PGM_RSRC3_GFX90A:TG_SPLIT: 0
	.section	.text._ZN2at6native29vectorized_elementwise_kernelILi4ENS0_11FillFunctorIjEESt5arrayIPcLm1EEEEviT0_T1_,"axG",@progbits,_ZN2at6native29vectorized_elementwise_kernelILi4ENS0_11FillFunctorIjEESt5arrayIPcLm1EEEEviT0_T1_,comdat
	.protected	_ZN2at6native29vectorized_elementwise_kernelILi4ENS0_11FillFunctorIjEESt5arrayIPcLm1EEEEviT0_T1_ ; -- Begin function _ZN2at6native29vectorized_elementwise_kernelILi4ENS0_11FillFunctorIjEESt5arrayIPcLm1EEEEviT0_T1_
	.globl	_ZN2at6native29vectorized_elementwise_kernelILi4ENS0_11FillFunctorIjEESt5arrayIPcLm1EEEEviT0_T1_
	.p2align	8
	.type	_ZN2at6native29vectorized_elementwise_kernelILi4ENS0_11FillFunctorIjEESt5arrayIPcLm1EEEEviT0_T1_,@function
_ZN2at6native29vectorized_elementwise_kernelILi4ENS0_11FillFunctorIjEESt5arrayIPcLm1EEEEviT0_T1_: ; @_ZN2at6native29vectorized_elementwise_kernelILi4ENS0_11FillFunctorIjEESt5arrayIPcLm1EEEEviT0_T1_
; %bb.0:
	s_load_dwordx4 s[0:3], s[4:5], 0x0
	s_lshl_b32 s4, s6, 10
	s_mov_b64 s[6:7], -1
	s_waitcnt lgkmcnt(0)
	s_sub_i32 s0, s0, s4
	s_cmpk_gt_i32 s0, 0x3ff
	s_cbranch_scc0 .LBB162_2
; %bb.1:
	s_ashr_i32 s5, s4, 31
	s_lshl_b64 s[6:7], s[4:5], 2
	s_add_u32 s6, s2, s6
	s_addc_u32 s7, s3, s7
	v_lshlrev_b32_e32 v1, 4, v0
	v_mov_b32_e32 v2, s1
	v_mov_b32_e32 v3, s1
	;; [unrolled: 1-line block ×4, first 2 shown]
	global_store_dwordx4 v1, v[2:5], s[6:7]
	s_mov_b64 s[6:7], 0
.LBB162_2:
	s_andn2_b64 vcc, exec, s[6:7]
	s_cbranch_vccnz .LBB162_8
; %bb.3:
	v_cmp_gt_i32_e32 vcc, s0, v0
	s_and_saveexec_b64 s[6:7], vcc
	s_cbranch_execnz .LBB162_9
; %bb.4:
	s_or_b64 exec, exec, s[6:7]
	v_cmp_gt_i32_e32 vcc, s0, v0
	s_and_saveexec_b64 s[6:7], vcc
	s_cbranch_execnz .LBB162_10
.LBB162_5:
	s_or_b64 exec, exec, s[6:7]
	v_cmp_gt_i32_e32 vcc, s0, v0
	s_and_saveexec_b64 s[6:7], vcc
	s_cbranch_execnz .LBB162_11
.LBB162_6:
	s_or_b64 exec, exec, s[6:7]
	v_cmp_gt_i32_e32 vcc, s0, v0
	s_and_saveexec_b64 s[6:7], vcc
	s_cbranch_execz .LBB162_8
.LBB162_7:
	v_add_u32_e32 v0, s4, v0
	v_mov_b32_e32 v1, 0
	v_lshlrev_b64 v[0:1], 2, v[0:1]
	v_mov_b32_e32 v2, s3
	v_add_co_u32_e32 v0, vcc, s2, v0
	v_addc_co_u32_e32 v1, vcc, v2, v1, vcc
	v_mov_b32_e32 v2, s1
	global_store_dword v[0:1], v2, off
.LBB162_8:
	s_endpgm
.LBB162_9:
	v_or_b32_e32 v2, 0x100, v0
	v_or_b32_e32 v0, s4, v0
	v_mov_b32_e32 v1, 0
	v_lshlrev_b64 v[0:1], 2, v[0:1]
	v_mov_b32_e32 v3, s3
	v_add_co_u32_e32 v0, vcc, s2, v0
	v_addc_co_u32_e32 v1, vcc, v3, v1, vcc
	v_mov_b32_e32 v3, s1
	global_store_dword v[0:1], v3, off
	v_mov_b32_e32 v0, v2
	s_or_b64 exec, exec, s[6:7]
	v_cmp_gt_i32_e32 vcc, s0, v0
	s_and_saveexec_b64 s[6:7], vcc
	s_cbranch_execz .LBB162_5
.LBB162_10:
	v_add_u32_e32 v2, s4, v0
	v_mov_b32_e32 v3, 0
	v_lshlrev_b64 v[2:3], 2, v[2:3]
	v_mov_b32_e32 v1, s3
	v_add_co_u32_e32 v2, vcc, s2, v2
	v_addc_co_u32_e32 v3, vcc, v1, v3, vcc
	v_mov_b32_e32 v1, s1
	v_add_u32_e32 v0, 0x100, v0
	global_store_dword v[2:3], v1, off
	s_or_b64 exec, exec, s[6:7]
	v_cmp_gt_i32_e32 vcc, s0, v0
	s_and_saveexec_b64 s[6:7], vcc
	s_cbranch_execz .LBB162_6
.LBB162_11:
	v_add_u32_e32 v2, s4, v0
	v_mov_b32_e32 v3, 0
	v_lshlrev_b64 v[2:3], 2, v[2:3]
	v_mov_b32_e32 v1, s3
	v_add_co_u32_e32 v2, vcc, s2, v2
	v_addc_co_u32_e32 v3, vcc, v1, v3, vcc
	v_mov_b32_e32 v1, s1
	v_add_u32_e32 v0, 0x100, v0
	global_store_dword v[2:3], v1, off
	s_or_b64 exec, exec, s[6:7]
	v_cmp_gt_i32_e32 vcc, s0, v0
	s_and_saveexec_b64 s[6:7], vcc
	s_cbranch_execnz .LBB162_7
	s_branch .LBB162_8
	.section	.rodata,"a",@progbits
	.p2align	6, 0x0
	.amdhsa_kernel _ZN2at6native29vectorized_elementwise_kernelILi4ENS0_11FillFunctorIjEESt5arrayIPcLm1EEEEviT0_T1_
		.amdhsa_group_segment_fixed_size 0
		.amdhsa_private_segment_fixed_size 0
		.amdhsa_kernarg_size 16
		.amdhsa_user_sgpr_count 6
		.amdhsa_user_sgpr_private_segment_buffer 1
		.amdhsa_user_sgpr_dispatch_ptr 0
		.amdhsa_user_sgpr_queue_ptr 0
		.amdhsa_user_sgpr_kernarg_segment_ptr 1
		.amdhsa_user_sgpr_dispatch_id 0
		.amdhsa_user_sgpr_flat_scratch_init 0
		.amdhsa_user_sgpr_kernarg_preload_length 0
		.amdhsa_user_sgpr_kernarg_preload_offset 0
		.amdhsa_user_sgpr_private_segment_size 0
		.amdhsa_uses_dynamic_stack 0
		.amdhsa_system_sgpr_private_segment_wavefront_offset 0
		.amdhsa_system_sgpr_workgroup_id_x 1
		.amdhsa_system_sgpr_workgroup_id_y 0
		.amdhsa_system_sgpr_workgroup_id_z 0
		.amdhsa_system_sgpr_workgroup_info 0
		.amdhsa_system_vgpr_workitem_id 0
		.amdhsa_next_free_vgpr 6
		.amdhsa_next_free_sgpr 8
		.amdhsa_accum_offset 8
		.amdhsa_reserve_vcc 1
		.amdhsa_reserve_flat_scratch 0
		.amdhsa_float_round_mode_32 0
		.amdhsa_float_round_mode_16_64 0
		.amdhsa_float_denorm_mode_32 3
		.amdhsa_float_denorm_mode_16_64 3
		.amdhsa_dx10_clamp 1
		.amdhsa_ieee_mode 1
		.amdhsa_fp16_overflow 0
		.amdhsa_tg_split 0
		.amdhsa_exception_fp_ieee_invalid_op 0
		.amdhsa_exception_fp_denorm_src 0
		.amdhsa_exception_fp_ieee_div_zero 0
		.amdhsa_exception_fp_ieee_overflow 0
		.amdhsa_exception_fp_ieee_underflow 0
		.amdhsa_exception_fp_ieee_inexact 0
		.amdhsa_exception_int_div_zero 0
	.end_amdhsa_kernel
	.section	.text._ZN2at6native29vectorized_elementwise_kernelILi4ENS0_11FillFunctorIjEESt5arrayIPcLm1EEEEviT0_T1_,"axG",@progbits,_ZN2at6native29vectorized_elementwise_kernelILi4ENS0_11FillFunctorIjEESt5arrayIPcLm1EEEEviT0_T1_,comdat
.Lfunc_end162:
	.size	_ZN2at6native29vectorized_elementwise_kernelILi4ENS0_11FillFunctorIjEESt5arrayIPcLm1EEEEviT0_T1_, .Lfunc_end162-_ZN2at6native29vectorized_elementwise_kernelILi4ENS0_11FillFunctorIjEESt5arrayIPcLm1EEEEviT0_T1_
                                        ; -- End function
	.section	.AMDGPU.csdata,"",@progbits
; Kernel info:
; codeLenInByte = 392
; NumSgprs: 12
; NumVgprs: 6
; NumAgprs: 0
; TotalNumVgprs: 6
; ScratchSize: 0
; MemoryBound: 0
; FloatMode: 240
; IeeeMode: 1
; LDSByteSize: 0 bytes/workgroup (compile time only)
; SGPRBlocks: 1
; VGPRBlocks: 0
; NumSGPRsForWavesPerEU: 12
; NumVGPRsForWavesPerEU: 6
; AccumOffset: 8
; Occupancy: 8
; WaveLimiterHint : 0
; COMPUTE_PGM_RSRC2:SCRATCH_EN: 0
; COMPUTE_PGM_RSRC2:USER_SGPR: 6
; COMPUTE_PGM_RSRC2:TRAP_HANDLER: 0
; COMPUTE_PGM_RSRC2:TGID_X_EN: 1
; COMPUTE_PGM_RSRC2:TGID_Y_EN: 0
; COMPUTE_PGM_RSRC2:TGID_Z_EN: 0
; COMPUTE_PGM_RSRC2:TIDIG_COMP_CNT: 0
; COMPUTE_PGM_RSRC3_GFX90A:ACCUM_OFFSET: 1
; COMPUTE_PGM_RSRC3_GFX90A:TG_SPLIT: 0
	.section	.text._ZN2at6native29vectorized_elementwise_kernelILi2ENS0_11FillFunctorIjEESt5arrayIPcLm1EEEEviT0_T1_,"axG",@progbits,_ZN2at6native29vectorized_elementwise_kernelILi2ENS0_11FillFunctorIjEESt5arrayIPcLm1EEEEviT0_T1_,comdat
	.protected	_ZN2at6native29vectorized_elementwise_kernelILi2ENS0_11FillFunctorIjEESt5arrayIPcLm1EEEEviT0_T1_ ; -- Begin function _ZN2at6native29vectorized_elementwise_kernelILi2ENS0_11FillFunctorIjEESt5arrayIPcLm1EEEEviT0_T1_
	.globl	_ZN2at6native29vectorized_elementwise_kernelILi2ENS0_11FillFunctorIjEESt5arrayIPcLm1EEEEviT0_T1_
	.p2align	8
	.type	_ZN2at6native29vectorized_elementwise_kernelILi2ENS0_11FillFunctorIjEESt5arrayIPcLm1EEEEviT0_T1_,@function
_ZN2at6native29vectorized_elementwise_kernelILi2ENS0_11FillFunctorIjEESt5arrayIPcLm1EEEEviT0_T1_: ; @_ZN2at6native29vectorized_elementwise_kernelILi2ENS0_11FillFunctorIjEESt5arrayIPcLm1EEEEviT0_T1_
; %bb.0:
	s_load_dwordx4 s[0:3], s[4:5], 0x0
	s_lshl_b32 s4, s6, 10
	s_mov_b64 s[6:7], -1
	s_waitcnt lgkmcnt(0)
	s_sub_i32 s8, s0, s4
	s_cmpk_gt_i32 s8, 0x3ff
	s_cbranch_scc0 .LBB163_2
; %bb.1:
	s_ashr_i32 s5, s4, 31
	s_lshl_b64 s[6:7], s[4:5], 2
	s_add_u32 s6, s2, s6
	s_mov_b32 s0, s1
	s_addc_u32 s7, s3, s7
	v_lshlrev_b32_e32 v1, 3, v0
	v_pk_mov_b32 v[2:3], s[0:1], s[0:1] op_sel:[0,1]
	global_store_dwordx2 v1, v[2:3], s[6:7]
	global_store_dwordx2 v1, v[2:3], s[6:7] offset:2048
	s_mov_b64 s[6:7], 0
.LBB163_2:
	s_andn2_b64 vcc, exec, s[6:7]
	s_cbranch_vccnz .LBB163_8
; %bb.3:
	v_cmp_gt_i32_e32 vcc, s8, v0
	s_and_saveexec_b64 s[6:7], vcc
	s_cbranch_execnz .LBB163_9
; %bb.4:
	s_or_b64 exec, exec, s[6:7]
	v_cmp_gt_i32_e32 vcc, s8, v0
	s_and_saveexec_b64 s[6:7], vcc
	s_cbranch_execnz .LBB163_10
.LBB163_5:
	s_or_b64 exec, exec, s[6:7]
	v_cmp_gt_i32_e32 vcc, s8, v0
	s_and_saveexec_b64 s[6:7], vcc
	s_cbranch_execnz .LBB163_11
.LBB163_6:
	s_or_b64 exec, exec, s[6:7]
	v_cmp_gt_i32_e32 vcc, s8, v0
	s_and_saveexec_b64 s[6:7], vcc
	s_cbranch_execz .LBB163_8
.LBB163_7:
	v_add_u32_e32 v0, s4, v0
	v_mov_b32_e32 v1, 0
	v_lshlrev_b64 v[0:1], 2, v[0:1]
	v_mov_b32_e32 v2, s3
	v_add_co_u32_e32 v0, vcc, s2, v0
	v_addc_co_u32_e32 v1, vcc, v2, v1, vcc
	v_mov_b32_e32 v2, s1
	global_store_dword v[0:1], v2, off
.LBB163_8:
	s_endpgm
.LBB163_9:
	v_or_b32_e32 v2, 0x100, v0
	v_or_b32_e32 v0, s4, v0
	v_mov_b32_e32 v1, 0
	v_lshlrev_b64 v[0:1], 2, v[0:1]
	v_mov_b32_e32 v3, s3
	v_add_co_u32_e32 v0, vcc, s2, v0
	v_addc_co_u32_e32 v1, vcc, v3, v1, vcc
	v_mov_b32_e32 v3, s1
	global_store_dword v[0:1], v3, off
	v_mov_b32_e32 v0, v2
	s_or_b64 exec, exec, s[6:7]
	v_cmp_gt_i32_e32 vcc, s8, v0
	s_and_saveexec_b64 s[6:7], vcc
	s_cbranch_execz .LBB163_5
.LBB163_10:
	v_add_u32_e32 v2, s4, v0
	v_mov_b32_e32 v3, 0
	v_lshlrev_b64 v[2:3], 2, v[2:3]
	v_mov_b32_e32 v1, s3
	v_add_co_u32_e32 v2, vcc, s2, v2
	v_addc_co_u32_e32 v3, vcc, v1, v3, vcc
	v_mov_b32_e32 v1, s1
	v_add_u32_e32 v0, 0x100, v0
	global_store_dword v[2:3], v1, off
	s_or_b64 exec, exec, s[6:7]
	v_cmp_gt_i32_e32 vcc, s8, v0
	s_and_saveexec_b64 s[6:7], vcc
	s_cbranch_execz .LBB163_6
.LBB163_11:
	v_add_u32_e32 v2, s4, v0
	v_mov_b32_e32 v3, 0
	v_lshlrev_b64 v[2:3], 2, v[2:3]
	v_mov_b32_e32 v1, s3
	v_add_co_u32_e32 v2, vcc, s2, v2
	v_addc_co_u32_e32 v3, vcc, v1, v3, vcc
	v_mov_b32_e32 v1, s1
	v_add_u32_e32 v0, 0x100, v0
	global_store_dword v[2:3], v1, off
	s_or_b64 exec, exec, s[6:7]
	v_cmp_gt_i32_e32 vcc, s8, v0
	s_and_saveexec_b64 s[6:7], vcc
	s_cbranch_execnz .LBB163_7
	s_branch .LBB163_8
	.section	.rodata,"a",@progbits
	.p2align	6, 0x0
	.amdhsa_kernel _ZN2at6native29vectorized_elementwise_kernelILi2ENS0_11FillFunctorIjEESt5arrayIPcLm1EEEEviT0_T1_
		.amdhsa_group_segment_fixed_size 0
		.amdhsa_private_segment_fixed_size 0
		.amdhsa_kernarg_size 16
		.amdhsa_user_sgpr_count 6
		.amdhsa_user_sgpr_private_segment_buffer 1
		.amdhsa_user_sgpr_dispatch_ptr 0
		.amdhsa_user_sgpr_queue_ptr 0
		.amdhsa_user_sgpr_kernarg_segment_ptr 1
		.amdhsa_user_sgpr_dispatch_id 0
		.amdhsa_user_sgpr_flat_scratch_init 0
		.amdhsa_user_sgpr_kernarg_preload_length 0
		.amdhsa_user_sgpr_kernarg_preload_offset 0
		.amdhsa_user_sgpr_private_segment_size 0
		.amdhsa_uses_dynamic_stack 0
		.amdhsa_system_sgpr_private_segment_wavefront_offset 0
		.amdhsa_system_sgpr_workgroup_id_x 1
		.amdhsa_system_sgpr_workgroup_id_y 0
		.amdhsa_system_sgpr_workgroup_id_z 0
		.amdhsa_system_sgpr_workgroup_info 0
		.amdhsa_system_vgpr_workitem_id 0
		.amdhsa_next_free_vgpr 4
		.amdhsa_next_free_sgpr 9
		.amdhsa_accum_offset 4
		.amdhsa_reserve_vcc 1
		.amdhsa_reserve_flat_scratch 0
		.amdhsa_float_round_mode_32 0
		.amdhsa_float_round_mode_16_64 0
		.amdhsa_float_denorm_mode_32 3
		.amdhsa_float_denorm_mode_16_64 3
		.amdhsa_dx10_clamp 1
		.amdhsa_ieee_mode 1
		.amdhsa_fp16_overflow 0
		.amdhsa_tg_split 0
		.amdhsa_exception_fp_ieee_invalid_op 0
		.amdhsa_exception_fp_denorm_src 0
		.amdhsa_exception_fp_ieee_div_zero 0
		.amdhsa_exception_fp_ieee_overflow 0
		.amdhsa_exception_fp_ieee_underflow 0
		.amdhsa_exception_fp_ieee_inexact 0
		.amdhsa_exception_int_div_zero 0
	.end_amdhsa_kernel
	.section	.text._ZN2at6native29vectorized_elementwise_kernelILi2ENS0_11FillFunctorIjEESt5arrayIPcLm1EEEEviT0_T1_,"axG",@progbits,_ZN2at6native29vectorized_elementwise_kernelILi2ENS0_11FillFunctorIjEESt5arrayIPcLm1EEEEviT0_T1_,comdat
.Lfunc_end163:
	.size	_ZN2at6native29vectorized_elementwise_kernelILi2ENS0_11FillFunctorIjEESt5arrayIPcLm1EEEEviT0_T1_, .Lfunc_end163-_ZN2at6native29vectorized_elementwise_kernelILi2ENS0_11FillFunctorIjEESt5arrayIPcLm1EEEEviT0_T1_
                                        ; -- End function
	.section	.AMDGPU.csdata,"",@progbits
; Kernel info:
; codeLenInByte = 396
; NumSgprs: 13
; NumVgprs: 4
; NumAgprs: 0
; TotalNumVgprs: 4
; ScratchSize: 0
; MemoryBound: 0
; FloatMode: 240
; IeeeMode: 1
; LDSByteSize: 0 bytes/workgroup (compile time only)
; SGPRBlocks: 1
; VGPRBlocks: 0
; NumSGPRsForWavesPerEU: 13
; NumVGPRsForWavesPerEU: 4
; AccumOffset: 4
; Occupancy: 8
; WaveLimiterHint : 1
; COMPUTE_PGM_RSRC2:SCRATCH_EN: 0
; COMPUTE_PGM_RSRC2:USER_SGPR: 6
; COMPUTE_PGM_RSRC2:TRAP_HANDLER: 0
; COMPUTE_PGM_RSRC2:TGID_X_EN: 1
; COMPUTE_PGM_RSRC2:TGID_Y_EN: 0
; COMPUTE_PGM_RSRC2:TGID_Z_EN: 0
; COMPUTE_PGM_RSRC2:TIDIG_COMP_CNT: 0
; COMPUTE_PGM_RSRC3_GFX90A:ACCUM_OFFSET: 0
; COMPUTE_PGM_RSRC3_GFX90A:TG_SPLIT: 0
	.section	.text._ZN2at6native27unrolled_elementwise_kernelINS0_11FillFunctorIjEESt5arrayIPcLm1EELi4E23TrivialOffsetCalculatorILi0EjES7_ILi1EjENS0_6memory15LoadWithoutCastENSA_16StoreWithoutCastEEEviT_T0_T2_T3_T4_T5_,"axG",@progbits,_ZN2at6native27unrolled_elementwise_kernelINS0_11FillFunctorIjEESt5arrayIPcLm1EELi4E23TrivialOffsetCalculatorILi0EjES7_ILi1EjENS0_6memory15LoadWithoutCastENSA_16StoreWithoutCastEEEviT_T0_T2_T3_T4_T5_,comdat
	.protected	_ZN2at6native27unrolled_elementwise_kernelINS0_11FillFunctorIjEESt5arrayIPcLm1EELi4E23TrivialOffsetCalculatorILi0EjES7_ILi1EjENS0_6memory15LoadWithoutCastENSA_16StoreWithoutCastEEEviT_T0_T2_T3_T4_T5_ ; -- Begin function _ZN2at6native27unrolled_elementwise_kernelINS0_11FillFunctorIjEESt5arrayIPcLm1EELi4E23TrivialOffsetCalculatorILi0EjES7_ILi1EjENS0_6memory15LoadWithoutCastENSA_16StoreWithoutCastEEEviT_T0_T2_T3_T4_T5_
	.globl	_ZN2at6native27unrolled_elementwise_kernelINS0_11FillFunctorIjEESt5arrayIPcLm1EELi4E23TrivialOffsetCalculatorILi0EjES7_ILi1EjENS0_6memory15LoadWithoutCastENSA_16StoreWithoutCastEEEviT_T0_T2_T3_T4_T5_
	.p2align	8
	.type	_ZN2at6native27unrolled_elementwise_kernelINS0_11FillFunctorIjEESt5arrayIPcLm1EELi4E23TrivialOffsetCalculatorILi0EjES7_ILi1EjENS0_6memory15LoadWithoutCastENSA_16StoreWithoutCastEEEviT_T0_T2_T3_T4_T5_,@function
_ZN2at6native27unrolled_elementwise_kernelINS0_11FillFunctorIjEESt5arrayIPcLm1EELi4E23TrivialOffsetCalculatorILi0EjES7_ILi1EjENS0_6memory15LoadWithoutCastENSA_16StoreWithoutCastEEEviT_T0_T2_T3_T4_T5_: ; @_ZN2at6native27unrolled_elementwise_kernelINS0_11FillFunctorIjEESt5arrayIPcLm1EELi4E23TrivialOffsetCalculatorILi0EjES7_ILi1EjENS0_6memory15LoadWithoutCastENSA_16StoreWithoutCastEEEviT_T0_T2_T3_T4_T5_
; %bb.0:
	s_load_dwordx4 s[0:3], s[4:5], 0x0
	s_lshl_b32 s6, s6, 10
	s_waitcnt lgkmcnt(0)
	s_sub_i32 s0, s0, s6
	v_cmp_gt_i32_e32 vcc, s0, v0
	s_and_saveexec_b64 s[4:5], vcc
	s_cbranch_execnz .LBB164_5
; %bb.1:
	s_or_b64 exec, exec, s[4:5]
	v_cmp_gt_i32_e32 vcc, s0, v0
	s_and_saveexec_b64 s[4:5], vcc
	s_cbranch_execnz .LBB164_6
.LBB164_2:
	s_or_b64 exec, exec, s[4:5]
	v_cmp_gt_i32_e32 vcc, s0, v0
	s_and_saveexec_b64 s[4:5], vcc
	s_cbranch_execnz .LBB164_7
.LBB164_3:
	s_or_b64 exec, exec, s[4:5]
	v_cmp_gt_i32_e32 vcc, s0, v0
	s_and_saveexec_b64 s[4:5], vcc
	s_cbranch_execnz .LBB164_8
.LBB164_4:
	s_endpgm
.LBB164_5:
	v_or_b32_e32 v2, 0x100, v0
	v_or_b32_e32 v0, s6, v0
	v_mov_b32_e32 v1, 0
	v_lshlrev_b64 v[0:1], 2, v[0:1]
	v_mov_b32_e32 v4, s3
	v_add_co_u32_e32 v0, vcc, s2, v0
	v_mov_b32_e32 v3, s1
	v_addc_co_u32_e32 v1, vcc, v4, v1, vcc
	global_store_dword v[0:1], v3, off
	v_mov_b32_e32 v0, v2
	s_or_b64 exec, exec, s[4:5]
	v_cmp_gt_i32_e32 vcc, s0, v0
	s_and_saveexec_b64 s[4:5], vcc
	s_cbranch_execz .LBB164_2
.LBB164_6:
	v_add_u32_e32 v2, 0x100, v0
	v_add_u32_e32 v0, s6, v0
	v_mov_b32_e32 v1, 0
	v_lshlrev_b64 v[0:1], 2, v[0:1]
	v_mov_b32_e32 v4, s3
	v_add_co_u32_e32 v0, vcc, s2, v0
	v_mov_b32_e32 v3, s1
	v_addc_co_u32_e32 v1, vcc, v4, v1, vcc
	global_store_dword v[0:1], v3, off
	v_mov_b32_e32 v0, v2
	s_or_b64 exec, exec, s[4:5]
	v_cmp_gt_i32_e32 vcc, s0, v0
	s_and_saveexec_b64 s[4:5], vcc
	s_cbranch_execz .LBB164_3
.LBB164_7:
	v_add_u32_e32 v2, 0x100, v0
	v_add_u32_e32 v0, s6, v0
	v_mov_b32_e32 v1, 0
	v_lshlrev_b64 v[0:1], 2, v[0:1]
	v_mov_b32_e32 v4, s3
	v_add_co_u32_e32 v0, vcc, s2, v0
	v_mov_b32_e32 v3, s1
	v_addc_co_u32_e32 v1, vcc, v4, v1, vcc
	global_store_dword v[0:1], v3, off
	v_mov_b32_e32 v0, v2
	s_or_b64 exec, exec, s[4:5]
	v_cmp_gt_i32_e32 vcc, s0, v0
	s_and_saveexec_b64 s[4:5], vcc
	s_cbranch_execz .LBB164_4
.LBB164_8:
	v_add_u32_e32 v0, s6, v0
	v_mov_b32_e32 v1, 0
	v_lshlrev_b64 v[0:1], 2, v[0:1]
	v_mov_b32_e32 v3, s3
	v_add_co_u32_e32 v0, vcc, s2, v0
	v_mov_b32_e32 v2, s1
	v_addc_co_u32_e32 v1, vcc, v3, v1, vcc
	global_store_dword v[0:1], v2, off
	s_endpgm
	.section	.rodata,"a",@progbits
	.p2align	6, 0x0
	.amdhsa_kernel _ZN2at6native27unrolled_elementwise_kernelINS0_11FillFunctorIjEESt5arrayIPcLm1EELi4E23TrivialOffsetCalculatorILi0EjES7_ILi1EjENS0_6memory15LoadWithoutCastENSA_16StoreWithoutCastEEEviT_T0_T2_T3_T4_T5_
		.amdhsa_group_segment_fixed_size 0
		.amdhsa_private_segment_fixed_size 0
		.amdhsa_kernarg_size 20
		.amdhsa_user_sgpr_count 6
		.amdhsa_user_sgpr_private_segment_buffer 1
		.amdhsa_user_sgpr_dispatch_ptr 0
		.amdhsa_user_sgpr_queue_ptr 0
		.amdhsa_user_sgpr_kernarg_segment_ptr 1
		.amdhsa_user_sgpr_dispatch_id 0
		.amdhsa_user_sgpr_flat_scratch_init 0
		.amdhsa_user_sgpr_kernarg_preload_length 0
		.amdhsa_user_sgpr_kernarg_preload_offset 0
		.amdhsa_user_sgpr_private_segment_size 0
		.amdhsa_uses_dynamic_stack 0
		.amdhsa_system_sgpr_private_segment_wavefront_offset 0
		.amdhsa_system_sgpr_workgroup_id_x 1
		.amdhsa_system_sgpr_workgroup_id_y 0
		.amdhsa_system_sgpr_workgroup_id_z 0
		.amdhsa_system_sgpr_workgroup_info 0
		.amdhsa_system_vgpr_workitem_id 0
		.amdhsa_next_free_vgpr 5
		.amdhsa_next_free_sgpr 7
		.amdhsa_accum_offset 8
		.amdhsa_reserve_vcc 1
		.amdhsa_reserve_flat_scratch 0
		.amdhsa_float_round_mode_32 0
		.amdhsa_float_round_mode_16_64 0
		.amdhsa_float_denorm_mode_32 3
		.amdhsa_float_denorm_mode_16_64 3
		.amdhsa_dx10_clamp 1
		.amdhsa_ieee_mode 1
		.amdhsa_fp16_overflow 0
		.amdhsa_tg_split 0
		.amdhsa_exception_fp_ieee_invalid_op 0
		.amdhsa_exception_fp_denorm_src 0
		.amdhsa_exception_fp_ieee_div_zero 0
		.amdhsa_exception_fp_ieee_overflow 0
		.amdhsa_exception_fp_ieee_underflow 0
		.amdhsa_exception_fp_ieee_inexact 0
		.amdhsa_exception_int_div_zero 0
	.end_amdhsa_kernel
	.section	.text._ZN2at6native27unrolled_elementwise_kernelINS0_11FillFunctorIjEESt5arrayIPcLm1EELi4E23TrivialOffsetCalculatorILi0EjES7_ILi1EjENS0_6memory15LoadWithoutCastENSA_16StoreWithoutCastEEEviT_T0_T2_T3_T4_T5_,"axG",@progbits,_ZN2at6native27unrolled_elementwise_kernelINS0_11FillFunctorIjEESt5arrayIPcLm1EELi4E23TrivialOffsetCalculatorILi0EjES7_ILi1EjENS0_6memory15LoadWithoutCastENSA_16StoreWithoutCastEEEviT_T0_T2_T3_T4_T5_,comdat
.Lfunc_end164:
	.size	_ZN2at6native27unrolled_elementwise_kernelINS0_11FillFunctorIjEESt5arrayIPcLm1EELi4E23TrivialOffsetCalculatorILi0EjES7_ILi1EjENS0_6memory15LoadWithoutCastENSA_16StoreWithoutCastEEEviT_T0_T2_T3_T4_T5_, .Lfunc_end164-_ZN2at6native27unrolled_elementwise_kernelINS0_11FillFunctorIjEESt5arrayIPcLm1EELi4E23TrivialOffsetCalculatorILi0EjES7_ILi1EjENS0_6memory15LoadWithoutCastENSA_16StoreWithoutCastEEEviT_T0_T2_T3_T4_T5_
                                        ; -- End function
	.section	.AMDGPU.csdata,"",@progbits
; Kernel info:
; codeLenInByte = 332
; NumSgprs: 11
; NumVgprs: 5
; NumAgprs: 0
; TotalNumVgprs: 5
; ScratchSize: 0
; MemoryBound: 0
; FloatMode: 240
; IeeeMode: 1
; LDSByteSize: 0 bytes/workgroup (compile time only)
; SGPRBlocks: 1
; VGPRBlocks: 0
; NumSGPRsForWavesPerEU: 11
; NumVGPRsForWavesPerEU: 5
; AccumOffset: 8
; Occupancy: 8
; WaveLimiterHint : 0
; COMPUTE_PGM_RSRC2:SCRATCH_EN: 0
; COMPUTE_PGM_RSRC2:USER_SGPR: 6
; COMPUTE_PGM_RSRC2:TRAP_HANDLER: 0
; COMPUTE_PGM_RSRC2:TGID_X_EN: 1
; COMPUTE_PGM_RSRC2:TGID_Y_EN: 0
; COMPUTE_PGM_RSRC2:TGID_Z_EN: 0
; COMPUTE_PGM_RSRC2:TIDIG_COMP_CNT: 0
; COMPUTE_PGM_RSRC3_GFX90A:ACCUM_OFFSET: 1
; COMPUTE_PGM_RSRC3_GFX90A:TG_SPLIT: 0
	.section	.text._ZN2at6native32elementwise_kernel_manual_unrollILi128ELi4EZNS0_22gpu_kernel_impl_nocastINS0_11FillFunctorIjEEEEvRNS_18TensorIteratorBaseERKT_EUlibE_EEviT1_,"axG",@progbits,_ZN2at6native32elementwise_kernel_manual_unrollILi128ELi4EZNS0_22gpu_kernel_impl_nocastINS0_11FillFunctorIjEEEEvRNS_18TensorIteratorBaseERKT_EUlibE_EEviT1_,comdat
	.protected	_ZN2at6native32elementwise_kernel_manual_unrollILi128ELi4EZNS0_22gpu_kernel_impl_nocastINS0_11FillFunctorIjEEEEvRNS_18TensorIteratorBaseERKT_EUlibE_EEviT1_ ; -- Begin function _ZN2at6native32elementwise_kernel_manual_unrollILi128ELi4EZNS0_22gpu_kernel_impl_nocastINS0_11FillFunctorIjEEEEvRNS_18TensorIteratorBaseERKT_EUlibE_EEviT1_
	.globl	_ZN2at6native32elementwise_kernel_manual_unrollILi128ELi4EZNS0_22gpu_kernel_impl_nocastINS0_11FillFunctorIjEEEEvRNS_18TensorIteratorBaseERKT_EUlibE_EEviT1_
	.p2align	8
	.type	_ZN2at6native32elementwise_kernel_manual_unrollILi128ELi4EZNS0_22gpu_kernel_impl_nocastINS0_11FillFunctorIjEEEEvRNS_18TensorIteratorBaseERKT_EUlibE_EEviT1_,@function
_ZN2at6native32elementwise_kernel_manual_unrollILi128ELi4EZNS0_22gpu_kernel_impl_nocastINS0_11FillFunctorIjEEEEvRNS_18TensorIteratorBaseERKT_EUlibE_EEviT1_: ; @_ZN2at6native32elementwise_kernel_manual_unrollILi128ELi4EZNS0_22gpu_kernel_impl_nocastINS0_11FillFunctorIjEEEEvRNS_18TensorIteratorBaseERKT_EUlibE_EEviT1_
; %bb.0:
	s_load_dword s48, s[4:5], 0x0
	s_load_dword s33, s[4:5], 0x8
	s_or_b32 s4, s4, 8
	v_lshl_or_b32 v4, s6, 9, v0
	v_or_b32_e32 v8, 0x180, v4
	s_waitcnt lgkmcnt(0)
	v_cmp_le_i32_e32 vcc, s48, v8
	s_add_i32 s46, s33, -1
	s_cmp_gt_u32 s46, 1
	s_cselect_b64 s[6:7], -1, 0
	s_and_saveexec_b64 s[0:1], vcc
	s_xor_b64 s[24:25], exec, s[0:1]
	s_cbranch_execz .LBB165_7
; %bb.1:
	s_load_dwordx4 s[0:3], s[4:5], 0x4
	s_load_dwordx2 s[30:31], s[4:5], 0x14
	s_load_dwordx2 s[28:29], s[4:5], 0xc4
	;; [unrolled: 1-line block ×3, first 2 shown]
	s_load_dword s47, s[4:5], 0x110
	s_cmp_lg_u32 s33, 0
	s_cselect_b64 s[38:39], -1, 0
	s_add_u32 s36, s4, 0xc4
	s_addc_u32 s37, s5, 0
	s_min_u32 s49, s46, 15
	s_cmp_gt_u32 s33, 1
	s_cselect_b64 s[34:35], -1, 0
	v_cmp_gt_i32_e32 vcc, s48, v4
	s_and_saveexec_b64 s[40:41], vcc
	s_cbranch_execz .LBB165_14
; %bb.2:
	s_andn2_b64 vcc, exec, s[6:7]
	s_cbranch_vccnz .LBB165_21
; %bb.3:
	s_andn2_b64 vcc, exec, s[38:39]
	s_cbranch_vccnz .LBB165_69
; %bb.4:
	s_add_i32 s51, s49, 1
	s_mov_b32 s50, 0
	s_cmp_eq_u32 s46, 2
	v_mov_b32_e32 v0, 0
	s_cbranch_scc1 .LBB165_71
; %bb.5:
	s_and_b32 s50, s51, 28
	s_mov_b32 s52, 0
	v_mov_b32_e32 v0, 0
	s_mov_b64 s[42:43], s[4:5]
	s_mov_b64 s[44:45], s[36:37]
	v_mov_b32_e32 v2, v4
.LBB165_6:                              ; =>This Inner Loop Header: Depth=1
	s_load_dwordx8 s[8:15], s[42:43], 0x4
	s_load_dwordx4 s[16:19], s[42:43], 0x24
	s_load_dwordx4 s[20:23], s[44:45], 0x0
	s_add_u32 s42, s42, 48
	s_addc_u32 s43, s43, 0
	s_waitcnt lgkmcnt(0)
	v_mul_hi_u32 v1, s9, v2
	v_add_u32_e32 v1, v2, v1
	v_lshrrev_b32_e32 v1, s10, v1
	v_mul_lo_u32 v3, v1, s8
	v_mul_hi_u32 v5, s12, v1
	v_sub_u32_e32 v2, v2, v3
	v_add_u32_e32 v3, v1, v5
	v_lshrrev_b32_e32 v3, s13, v3
	v_mul_lo_u32 v5, v3, s11
	v_mul_hi_u32 v6, s15, v3
	v_sub_u32_e32 v1, v1, v5
	v_add_u32_e32 v5, v3, v6
	v_mul_lo_u32 v2, v2, s20
	v_mul_lo_u32 v1, v1, s21
	v_lshrrev_b32_e32 v5, s16, v5
	v_add3_u32 v0, v2, v0, v1
	v_mul_hi_u32 v2, s18, v5
	v_add_u32_e32 v2, v5, v2
	v_mul_lo_u32 v1, v5, s14
	v_lshrrev_b32_e32 v2, s19, v2
	s_add_i32 s52, s52, 4
	v_sub_u32_e32 v1, v3, v1
	v_mul_lo_u32 v3, v2, s17
	s_add_u32 s44, s44, 16
	v_sub_u32_e32 v3, v5, v3
	s_addc_u32 s45, s45, 0
	v_mul_lo_u32 v1, v1, s22
	v_mul_lo_u32 v3, v3, s23
	s_cmp_lg_u32 s50, s52
	v_add3_u32 v0, v1, v0, v3
	s_cbranch_scc1 .LBB165_6
	s_branch .LBB165_72
.LBB165_7:
	s_andn2_saveexec_b64 s[0:1], s[24:25]
	s_cbranch_execz .LBB165_97
.LBB165_8:
	v_cndmask_b32_e64 v0, 0, 1, s[6:7]
	v_cmp_ne_u32_e64 s[0:1], 1, v0
	s_andn2_b64 vcc, exec, s[6:7]
	s_cbranch_vccnz .LBB165_20
; %bb.9:
	s_mov_b32 s24, 0
	s_cmp_eq_u32 s33, 0
	v_mov_b32_e32 v0, 0
	s_cbranch_scc1 .LBB165_26
; %bb.10:
	s_min_u32 s25, s46, 15
	s_add_i32 s25, s25, 1
	s_cmp_eq_u32 s46, 2
	v_mov_b32_e32 v0, 0
	s_cbranch_scc1 .LBB165_23
; %bb.11:
	s_add_u32 s2, s4, 0xc4
	s_addc_u32 s3, s5, 0
	s_and_b32 s24, s25, 28
	s_mov_b32 s26, 0
	v_mov_b32_e32 v0, 0
	s_mov_b64 s[6:7], s[4:5]
	v_mov_b32_e32 v2, v4
.LBB165_12:                             ; =>This Inner Loop Header: Depth=1
	s_load_dwordx8 s[8:15], s[6:7], 0x4
	s_load_dwordx4 s[16:19], s[6:7], 0x24
	s_load_dwordx4 s[20:23], s[2:3], 0x0
	s_add_u32 s6, s6, 48
	s_addc_u32 s7, s7, 0
	s_waitcnt lgkmcnt(0)
	v_mul_hi_u32 v1, s9, v2
	v_add_u32_e32 v1, v2, v1
	v_lshrrev_b32_e32 v1, s10, v1
	v_mul_lo_u32 v3, v1, s8
	v_mul_hi_u32 v5, s12, v1
	v_sub_u32_e32 v2, v2, v3
	v_add_u32_e32 v3, v1, v5
	v_lshrrev_b32_e32 v3, s13, v3
	v_mul_lo_u32 v5, v3, s11
	v_mul_hi_u32 v6, s15, v3
	v_sub_u32_e32 v1, v1, v5
	v_add_u32_e32 v5, v3, v6
	v_mul_lo_u32 v2, v2, s20
	v_mul_lo_u32 v1, v1, s21
	v_lshrrev_b32_e32 v5, s16, v5
	v_add3_u32 v0, v2, v0, v1
	v_mul_hi_u32 v2, s18, v5
	v_add_u32_e32 v2, v5, v2
	v_mul_lo_u32 v1, v5, s14
	v_lshrrev_b32_e32 v2, s19, v2
	s_add_i32 s26, s26, 4
	v_sub_u32_e32 v1, v3, v1
	v_mul_lo_u32 v3, v2, s17
	s_add_u32 s2, s2, 16
	v_sub_u32_e32 v3, v5, v3
	s_addc_u32 s3, s3, 0
	v_mul_lo_u32 v1, v1, s22
	v_mul_lo_u32 v3, v3, s23
	s_cmp_lg_u32 s24, s26
	v_add3_u32 v0, v1, v0, v3
	s_cbranch_scc1 .LBB165_12
; %bb.13:
	s_and_b32 s8, s25, 3
	s_cmp_eq_u32 s8, 0
	s_cbranch_scc0 .LBB165_24
	s_branch .LBB165_26
.LBB165_14:
	s_or_b64 exec, exec, s[40:41]
	v_cmp_gt_i32_e32 vcc, s48, v4
	s_and_saveexec_b64 s[40:41], vcc
	s_cbranch_execz .LBB165_79
.LBB165_15:
	s_andn2_b64 vcc, exec, s[6:7]
	s_cbranch_vccnz .LBB165_22
; %bb.16:
	s_andn2_b64 vcc, exec, s[38:39]
	s_cbranch_vccnz .LBB165_70
; %bb.17:
	s_add_i32 s51, s49, 1
	s_mov_b32 s50, 0
	s_cmp_eq_u32 s46, 2
	v_mov_b32_e32 v0, 0
	s_cbranch_scc1 .LBB165_87
; %bb.18:
	s_and_b32 s50, s51, 28
	s_mov_b32 s52, 0
	v_mov_b32_e32 v0, 0
	s_mov_b64 s[42:43], s[4:5]
	s_mov_b64 s[44:45], s[36:37]
	v_mov_b32_e32 v2, v4
.LBB165_19:                             ; =>This Inner Loop Header: Depth=1
	s_load_dwordx8 s[8:15], s[42:43], 0x4
	s_load_dwordx4 s[16:19], s[42:43], 0x24
	s_load_dwordx4 s[20:23], s[44:45], 0x0
	s_add_u32 s42, s42, 48
	s_addc_u32 s43, s43, 0
	s_waitcnt lgkmcnt(0)
	v_mul_hi_u32 v1, s9, v2
	v_add_u32_e32 v1, v2, v1
	v_lshrrev_b32_e32 v1, s10, v1
	v_mul_lo_u32 v3, v1, s8
	v_mul_hi_u32 v5, s12, v1
	v_sub_u32_e32 v2, v2, v3
	v_add_u32_e32 v3, v1, v5
	v_lshrrev_b32_e32 v3, s13, v3
	v_mul_lo_u32 v5, v3, s11
	v_mul_hi_u32 v6, s15, v3
	v_sub_u32_e32 v1, v1, v5
	v_add_u32_e32 v5, v3, v6
	v_mul_lo_u32 v2, v2, s20
	v_mul_lo_u32 v1, v1, s21
	v_lshrrev_b32_e32 v5, s16, v5
	v_add3_u32 v0, v2, v0, v1
	v_mul_hi_u32 v2, s18, v5
	v_add_u32_e32 v2, v5, v2
	v_mul_lo_u32 v1, v5, s14
	v_lshrrev_b32_e32 v2, s19, v2
	s_add_i32 s52, s52, 4
	v_sub_u32_e32 v1, v3, v1
	v_mul_lo_u32 v3, v2, s17
	s_add_u32 s44, s44, 16
	v_sub_u32_e32 v3, v5, v3
	s_addc_u32 s45, s45, 0
	v_mul_lo_u32 v1, v1, s22
	v_mul_lo_u32 v3, v3, s23
	s_cmp_eq_u32 s50, s52
	v_add3_u32 v0, v1, v0, v3
	s_cbranch_scc0 .LBB165_19
	s_branch .LBB165_88
.LBB165_20:
                                        ; implicit-def: $vgpr0
	s_branch .LBB165_27
.LBB165_21:
                                        ; implicit-def: $vgpr0
	s_branch .LBB165_76
.LBB165_22:
                                        ; implicit-def: $vgpr0
	s_branch .LBB165_92
.LBB165_23:
	v_mov_b32_e32 v2, v4
	s_and_b32 s8, s25, 3
	s_cmp_eq_u32 s8, 0
	s_cbranch_scc1 .LBB165_26
.LBB165_24:
	s_lshl_b32 s2, s24, 2
	s_add_u32 s2, s2, s4
	s_addc_u32 s3, 0, s5
	s_add_u32 s2, s2, 0xc4
	s_addc_u32 s3, s3, 0
	s_mul_i32 s6, s24, 12
	s_add_u32 s6, s4, s6
	s_addc_u32 s7, 0, s5
.LBB165_25:                             ; =>This Inner Loop Header: Depth=1
	s_load_dwordx2 s[10:11], s[6:7], 0x4
	s_load_dword s9, s[6:7], 0xc
	s_load_dword s12, s[2:3], 0x0
	s_add_u32 s6, s6, 12
	s_addc_u32 s7, s7, 0
	s_waitcnt lgkmcnt(0)
	v_mul_hi_u32 v1, s11, v2
	v_add_u32_e32 v1, v2, v1
	v_lshrrev_b32_e32 v1, s9, v1
	s_add_u32 s2, s2, 4
	v_mul_lo_u32 v3, v1, s10
	s_addc_u32 s3, s3, 0
	s_add_i32 s8, s8, -1
	v_sub_u32_e32 v3, v2, v3
	s_cmp_lg_u32 s8, 0
	v_mov_b32_e32 v2, v1
	v_mad_u64_u32 v[0:1], s[10:11], v3, s12, v[0:1]
	s_cbranch_scc1 .LBB165_25
.LBB165_26:
	s_cbranch_execnz .LBB165_29
.LBB165_27:
	s_load_dwordx4 s[8:11], s[4:5], 0x4
	s_load_dword s2, s[4:5], 0xc4
	s_cmp_lt_u32 s33, 2
	s_waitcnt lgkmcnt(0)
	v_mul_hi_u32 v0, s9, v4
	v_add_u32_e32 v0, v4, v0
	v_lshrrev_b32_e32 v1, s10, v0
	v_mul_lo_u32 v0, v1, s8
	v_sub_u32_e32 v0, v4, v0
	v_mul_lo_u32 v0, v0, s2
	s_cbranch_scc1 .LBB165_29
; %bb.28:
	s_load_dwordx4 s[8:11], s[4:5], 0x10
	s_load_dword s2, s[4:5], 0xc8
	s_waitcnt lgkmcnt(0)
	v_mul_hi_u32 v2, s9, v1
	v_add_u32_e32 v2, v1, v2
	v_lshrrev_b32_e32 v2, s10, v2
	v_mul_lo_u32 v2, v2, s8
	v_sub_u32_e32 v1, v1, v2
	v_mad_u64_u32 v[0:1], s[2:3], v1, s2, v[0:1]
.LBB165_29:
	s_and_b64 vcc, exec, s[0:1]
	v_add_u32_e32 v1, 0x80, v4
	s_cbranch_vccnz .LBB165_35
; %bb.30:
	s_mov_b32 s24, 0
	s_cmp_eq_u32 s33, 0
	v_mov_b32_e32 v2, 0
	s_cbranch_scc1 .LBB165_39
; %bb.31:
	s_min_u32 s25, s46, 15
	s_add_i32 s25, s25, 1
	s_cmp_eq_u32 s46, 2
	v_mov_b32_e32 v2, 0
	s_cbranch_scc1 .LBB165_36
; %bb.32:
	s_add_u32 s2, s4, 0xc4
	s_addc_u32 s3, s5, 0
	s_and_b32 s24, s25, 28
	s_mov_b32 s26, 0
	v_mov_b32_e32 v2, 0
	s_mov_b64 s[6:7], s[4:5]
	v_mov_b32_e32 v5, v1
.LBB165_33:                             ; =>This Inner Loop Header: Depth=1
	s_load_dwordx8 s[8:15], s[6:7], 0x4
	s_load_dwordx4 s[16:19], s[6:7], 0x24
	s_load_dwordx4 s[20:23], s[2:3], 0x0
	s_add_u32 s6, s6, 48
	s_addc_u32 s7, s7, 0
	s_waitcnt lgkmcnt(0)
	v_mul_hi_u32 v3, s9, v5
	v_add_u32_e32 v3, v5, v3
	v_lshrrev_b32_e32 v3, s10, v3
	v_mul_lo_u32 v6, v3, s8
	v_mul_hi_u32 v7, s12, v3
	v_sub_u32_e32 v5, v5, v6
	v_add_u32_e32 v6, v3, v7
	v_lshrrev_b32_e32 v6, s13, v6
	v_mul_lo_u32 v7, v6, s11
	v_mul_hi_u32 v9, s15, v6
	v_sub_u32_e32 v3, v3, v7
	v_add_u32_e32 v7, v6, v9
	v_mul_lo_u32 v5, v5, s20
	v_mul_lo_u32 v3, v3, s21
	v_lshrrev_b32_e32 v7, s16, v7
	v_add3_u32 v2, v5, v2, v3
	v_mul_hi_u32 v5, s18, v7
	v_add_u32_e32 v5, v7, v5
	v_mul_lo_u32 v3, v7, s14
	v_lshrrev_b32_e32 v5, s19, v5
	s_add_i32 s26, s26, 4
	v_sub_u32_e32 v3, v6, v3
	v_mul_lo_u32 v6, v5, s17
	s_add_u32 s2, s2, 16
	v_sub_u32_e32 v6, v7, v6
	s_addc_u32 s3, s3, 0
	v_mul_lo_u32 v3, v3, s22
	v_mul_lo_u32 v6, v6, s23
	s_cmp_lg_u32 s24, s26
	v_add3_u32 v2, v3, v2, v6
	s_cbranch_scc1 .LBB165_33
; %bb.34:
	s_and_b32 s8, s25, 3
	s_cmp_eq_u32 s8, 0
	s_cbranch_scc0 .LBB165_37
	s_branch .LBB165_39
.LBB165_35:
                                        ; implicit-def: $vgpr2
	s_branch .LBB165_40
.LBB165_36:
	v_mov_b32_e32 v5, v1
	s_and_b32 s8, s25, 3
	s_cmp_eq_u32 s8, 0
	s_cbranch_scc1 .LBB165_39
.LBB165_37:
	s_lshl_b32 s2, s24, 2
	s_add_u32 s2, s2, s4
	s_addc_u32 s3, 0, s5
	s_add_u32 s2, s2, 0xc4
	s_addc_u32 s3, s3, 0
	s_mul_i32 s6, s24, 12
	s_add_u32 s6, s4, s6
	s_addc_u32 s7, 0, s5
.LBB165_38:                             ; =>This Inner Loop Header: Depth=1
	s_load_dwordx2 s[10:11], s[6:7], 0x4
	s_load_dword s9, s[6:7], 0xc
	s_load_dword s12, s[2:3], 0x0
	s_add_u32 s6, s6, 12
	s_addc_u32 s7, s7, 0
	s_waitcnt lgkmcnt(0)
	v_mul_hi_u32 v3, s11, v5
	v_add_u32_e32 v3, v5, v3
	v_lshrrev_b32_e32 v3, s9, v3
	s_add_u32 s2, s2, 4
	v_mul_lo_u32 v6, v3, s10
	s_addc_u32 s3, s3, 0
	s_add_i32 s8, s8, -1
	v_sub_u32_e32 v6, v5, v6
	s_cmp_lg_u32 s8, 0
	v_mov_b32_e32 v5, v3
	v_mad_u64_u32 v[2:3], s[10:11], v6, s12, v[2:3]
	s_cbranch_scc1 .LBB165_38
.LBB165_39:
	s_cbranch_execnz .LBB165_42
.LBB165_40:
	s_load_dwordx4 s[8:11], s[4:5], 0x4
	s_load_dword s2, s[4:5], 0xc4
	s_cmp_lt_u32 s33, 2
	s_waitcnt lgkmcnt(0)
	v_mul_hi_u32 v2, s9, v1
	v_add_u32_e32 v2, v1, v2
	v_lshrrev_b32_e32 v3, s10, v2
	v_mul_lo_u32 v2, v3, s8
	v_sub_u32_e32 v1, v1, v2
	v_mul_lo_u32 v2, v1, s2
	s_cbranch_scc1 .LBB165_42
; %bb.41:
	s_load_dwordx4 s[8:11], s[4:5], 0x10
	s_load_dword s2, s[4:5], 0xc8
	s_waitcnt lgkmcnt(0)
	v_mul_hi_u32 v1, s9, v3
	v_add_u32_e32 v1, v3, v1
	v_lshrrev_b32_e32 v1, s10, v1
	v_mul_lo_u32 v1, v1, s8
	v_sub_u32_e32 v1, v3, v1
	v_mad_u64_u32 v[2:3], s[2:3], v1, s2, v[2:3]
.LBB165_42:
	s_and_b64 vcc, exec, s[0:1]
	v_add_u32_e32 v1, 0x100, v4
	s_cbranch_vccnz .LBB165_48
; %bb.43:
	s_mov_b32 s24, 0
	s_cmp_eq_u32 s33, 0
	v_mov_b32_e32 v4, 0
	s_cbranch_scc1 .LBB165_52
; %bb.44:
	s_min_u32 s25, s46, 15
	s_add_i32 s25, s25, 1
	s_cmp_eq_u32 s46, 2
	v_mov_b32_e32 v4, 0
	s_cbranch_scc1 .LBB165_49
; %bb.45:
	s_add_u32 s2, s4, 0xc4
	s_addc_u32 s3, s5, 0
	s_and_b32 s24, s25, 28
	s_mov_b32 s26, 0
	v_mov_b32_e32 v4, 0
	s_mov_b64 s[6:7], s[4:5]
	v_mov_b32_e32 v3, v1
.LBB165_46:                             ; =>This Inner Loop Header: Depth=1
	s_load_dwordx8 s[8:15], s[6:7], 0x4
	s_load_dwordx4 s[16:19], s[6:7], 0x24
	s_load_dwordx4 s[20:23], s[2:3], 0x0
	s_add_u32 s6, s6, 48
	s_addc_u32 s7, s7, 0
	s_waitcnt lgkmcnt(0)
	v_mul_hi_u32 v5, s9, v3
	v_add_u32_e32 v5, v3, v5
	v_lshrrev_b32_e32 v5, s10, v5
	v_mul_lo_u32 v6, v5, s8
	v_mul_hi_u32 v7, s12, v5
	v_sub_u32_e32 v3, v3, v6
	v_add_u32_e32 v6, v5, v7
	v_lshrrev_b32_e32 v6, s13, v6
	v_mul_lo_u32 v7, v6, s11
	v_mul_hi_u32 v9, s15, v6
	v_sub_u32_e32 v5, v5, v7
	v_add_u32_e32 v7, v6, v9
	v_mul_lo_u32 v3, v3, s20
	v_mul_lo_u32 v5, v5, s21
	v_lshrrev_b32_e32 v7, s16, v7
	v_add3_u32 v4, v3, v4, v5
	v_mul_lo_u32 v3, v7, s14
	v_mul_hi_u32 v5, s18, v7
	v_sub_u32_e32 v3, v6, v3
	v_add_u32_e32 v5, v7, v5
	v_mul_lo_u32 v6, v3, s22
	v_lshrrev_b32_e32 v3, s19, v5
	s_add_i32 s26, s26, 4
	v_mul_lo_u32 v5, v3, s17
	s_add_u32 s2, s2, 16
	v_sub_u32_e32 v5, v7, v5
	s_addc_u32 s3, s3, 0
	v_mul_lo_u32 v5, v5, s23
	s_cmp_lg_u32 s24, s26
	v_add3_u32 v4, v6, v4, v5
	s_cbranch_scc1 .LBB165_46
; %bb.47:
	s_and_b32 s8, s25, 3
	s_cmp_eq_u32 s8, 0
	s_cbranch_scc0 .LBB165_50
	s_branch .LBB165_52
.LBB165_48:
                                        ; implicit-def: $vgpr4
	s_branch .LBB165_53
.LBB165_49:
	v_mov_b32_e32 v3, v1
	s_and_b32 s8, s25, 3
	s_cmp_eq_u32 s8, 0
	s_cbranch_scc1 .LBB165_52
.LBB165_50:
	s_lshl_b32 s2, s24, 2
	s_add_u32 s2, s2, s4
	s_addc_u32 s3, 0, s5
	s_add_u32 s2, s2, 0xc4
	s_addc_u32 s3, s3, 0
	s_mul_i32 s6, s24, 12
	s_add_u32 s6, s4, s6
	s_addc_u32 s7, 0, s5
.LBB165_51:                             ; =>This Inner Loop Header: Depth=1
	s_load_dwordx2 s[10:11], s[6:7], 0x4
	s_load_dword s9, s[6:7], 0xc
	s_load_dword s12, s[2:3], 0x0
	s_add_u32 s6, s6, 12
	s_addc_u32 s7, s7, 0
	s_waitcnt lgkmcnt(0)
	v_mul_hi_u32 v5, s11, v3
	v_add_u32_e32 v5, v3, v5
	v_lshrrev_b32_e32 v5, s9, v5
	s_add_u32 s2, s2, 4
	v_mul_lo_u32 v6, v5, s10
	s_addc_u32 s3, s3, 0
	s_add_i32 s8, s8, -1
	v_sub_u32_e32 v6, v3, v6
	s_cmp_lg_u32 s8, 0
	v_mov_b32_e32 v3, v5
	v_mad_u64_u32 v[4:5], s[10:11], v6, s12, v[4:5]
	s_cbranch_scc1 .LBB165_51
.LBB165_52:
	s_cbranch_execnz .LBB165_55
.LBB165_53:
	s_load_dwordx4 s[8:11], s[4:5], 0x4
	s_load_dword s2, s[4:5], 0xc4
	s_cmp_lt_u32 s33, 2
	s_waitcnt lgkmcnt(0)
	v_mul_hi_u32 v3, s9, v1
	v_add_u32_e32 v3, v1, v3
	v_lshrrev_b32_e32 v3, s10, v3
	v_mul_lo_u32 v4, v3, s8
	v_sub_u32_e32 v1, v1, v4
	v_mul_lo_u32 v4, v1, s2
	s_cbranch_scc1 .LBB165_55
; %bb.54:
	s_load_dwordx4 s[8:11], s[4:5], 0x10
	s_load_dword s2, s[4:5], 0xc8
	s_waitcnt lgkmcnt(0)
	v_mul_hi_u32 v1, s9, v3
	v_add_u32_e32 v1, v3, v1
	v_lshrrev_b32_e32 v1, s10, v1
	v_mul_lo_u32 v1, v1, s8
	v_sub_u32_e32 v1, v3, v1
	v_mad_u64_u32 v[4:5], s[2:3], v1, s2, v[4:5]
.LBB165_55:
	s_and_b64 vcc, exec, s[0:1]
	s_cbranch_vccnz .LBB165_61
; %bb.56:
	s_mov_b32 s22, 0
	s_cmp_eq_u32 s33, 0
	v_mov_b32_e32 v6, 0
	s_cbranch_scc1 .LBB165_65
; %bb.57:
	s_min_u32 s23, s46, 15
	s_add_i32 s23, s23, 1
	s_cmp_eq_u32 s46, 2
	v_mov_b32_e32 v6, 0
	s_cbranch_scc1 .LBB165_62
; %bb.58:
	s_add_u32 s6, s4, 0xc4
	s_addc_u32 s7, s5, 0
	s_and_b32 s22, s23, 28
	s_mov_b32 s24, 0
	v_mov_b32_e32 v6, 0
	s_mov_b64 s[20:21], s[4:5]
	v_mov_b32_e32 v1, v8
.LBB165_59:                             ; =>This Inner Loop Header: Depth=1
	s_load_dwordx8 s[8:15], s[20:21], 0x4
	s_load_dwordx4 s[0:3], s[20:21], 0x24
	s_load_dwordx4 s[16:19], s[6:7], 0x0
	s_add_u32 s20, s20, 48
	s_addc_u32 s21, s21, 0
	s_waitcnt lgkmcnt(0)
	v_mul_hi_u32 v3, s9, v1
	v_add_u32_e32 v3, v1, v3
	v_lshrrev_b32_e32 v3, s10, v3
	v_mul_lo_u32 v5, v3, s8
	v_mul_hi_u32 v7, s12, v3
	v_sub_u32_e32 v1, v1, v5
	v_add_u32_e32 v5, v3, v7
	v_lshrrev_b32_e32 v5, s13, v5
	v_mul_lo_u32 v7, v5, s11
	v_mul_hi_u32 v9, s15, v5
	v_sub_u32_e32 v3, v3, v7
	v_add_u32_e32 v7, v5, v9
	v_mul_lo_u32 v1, v1, s16
	v_mul_lo_u32 v3, v3, s17
	v_lshrrev_b32_e32 v7, s0, v7
	v_add3_u32 v3, v1, v6, v3
	v_mul_lo_u32 v1, v7, s14
	v_mul_hi_u32 v6, s2, v7
	v_sub_u32_e32 v1, v5, v1
	v_add_u32_e32 v5, v7, v6
	v_mul_lo_u32 v6, v1, s18
	v_lshrrev_b32_e32 v1, s3, v5
	s_add_i32 s24, s24, 4
	v_mul_lo_u32 v5, v1, s1
	s_add_u32 s6, s6, 16
	v_sub_u32_e32 v5, v7, v5
	s_addc_u32 s7, s7, 0
	v_mul_lo_u32 v5, v5, s19
	s_cmp_lg_u32 s22, s24
	v_add3_u32 v6, v6, v3, v5
	s_cbranch_scc1 .LBB165_59
; %bb.60:
	s_and_b32 s6, s23, 3
	s_cmp_eq_u32 s6, 0
	s_cbranch_scc0 .LBB165_63
	s_branch .LBB165_65
.LBB165_61:
                                        ; implicit-def: $vgpr6
	s_branch .LBB165_66
.LBB165_62:
	v_mov_b32_e32 v1, v8
	s_and_b32 s6, s23, 3
	s_cmp_eq_u32 s6, 0
	s_cbranch_scc1 .LBB165_65
.LBB165_63:
	s_lshl_b32 s0, s22, 2
	s_add_u32 s0, s0, s4
	s_addc_u32 s1, 0, s5
	s_add_u32 s0, s0, 0xc4
	s_addc_u32 s1, s1, 0
	s_mul_i32 s2, s22, 12
	s_add_u32 s2, s4, s2
	s_addc_u32 s3, 0, s5
.LBB165_64:                             ; =>This Inner Loop Header: Depth=1
	s_load_dwordx2 s[8:9], s[2:3], 0x4
	s_load_dword s7, s[2:3], 0xc
	s_load_dword s10, s[0:1], 0x0
	s_add_u32 s2, s2, 12
	s_addc_u32 s3, s3, 0
	s_waitcnt lgkmcnt(0)
	v_mul_hi_u32 v3, s9, v1
	v_add_u32_e32 v3, v1, v3
	v_lshrrev_b32_e32 v3, s7, v3
	s_add_u32 s0, s0, 4
	v_mul_lo_u32 v5, v3, s8
	s_addc_u32 s1, s1, 0
	s_add_i32 s6, s6, -1
	v_sub_u32_e32 v5, v1, v5
	s_cmp_lg_u32 s6, 0
	v_mov_b32_e32 v1, v3
	v_mad_u64_u32 v[6:7], s[8:9], v5, s10, v[6:7]
	s_cbranch_scc1 .LBB165_64
.LBB165_65:
	s_cbranch_execnz .LBB165_68
.LBB165_66:
	s_load_dwordx4 s[0:3], s[4:5], 0x4
	s_waitcnt lgkmcnt(0)
	s_load_dword s3, s[4:5], 0xc4
	s_cmp_lt_u32 s33, 2
	v_mul_hi_u32 v1, s1, v8
	v_add_u32_e32 v1, v8, v1
	v_lshrrev_b32_e32 v1, s2, v1
	v_mul_lo_u32 v3, v1, s0
	v_sub_u32_e32 v3, v8, v3
	s_waitcnt lgkmcnt(0)
	v_mul_lo_u32 v6, v3, s3
	s_cbranch_scc1 .LBB165_68
; %bb.67:
	s_load_dwordx4 s[0:3], s[4:5], 0x10
	s_waitcnt lgkmcnt(0)
	s_load_dword s3, s[4:5], 0xc8
	v_mul_hi_u32 v3, s1, v1
	v_add_u32_e32 v3, v1, v3
	v_lshrrev_b32_e32 v3, s2, v3
	v_mul_lo_u32 v3, v3, s0
	v_sub_u32_e32 v1, v1, v3
	s_waitcnt lgkmcnt(0)
	v_mad_u64_u32 v[6:7], s[0:1], v1, s3, v[6:7]
.LBB165_68:
	s_load_dword s2, s[4:5], 0x110
	s_load_dwordx2 s[0:1], s[4:5], 0x108
	s_waitcnt lgkmcnt(0)
	v_mov_b32_e32 v1, s2
	s_nop 0
	global_store_dword v0, v1, s[0:1]
	global_store_dword v2, v1, s[0:1]
	;; [unrolled: 1-line block ×4, first 2 shown]
	s_endpgm
.LBB165_69:
	v_mov_b32_e32 v0, 0
	s_branch .LBB165_75
.LBB165_70:
	v_mov_b32_e32 v0, 0
	s_branch .LBB165_91
.LBB165_71:
	v_mov_b32_e32 v2, v4
.LBB165_72:
	s_and_b32 s12, s51, 3
	s_cmp_eq_u32 s12, 0
	s_cbranch_scc1 .LBB165_75
; %bb.73:
	s_lshl_b32 s8, s50, 2
	s_add_u32 s8, s8, s4
	s_addc_u32 s9, s5, 0
	s_add_u32 s8, s8, 0xc4
	s_addc_u32 s9, s9, 0
	s_mul_i32 s10, s50, 12
	s_add_u32 s10, s4, s10
	s_addc_u32 s11, s5, 0
.LBB165_74:                             ; =>This Inner Loop Header: Depth=1
	s_load_dwordx2 s[14:15], s[10:11], 0x4
	s_load_dword s13, s[10:11], 0xc
	s_load_dword s16, s[8:9], 0x0
	s_add_u32 s10, s10, 12
	s_addc_u32 s11, s11, 0
	s_waitcnt lgkmcnt(0)
	v_mul_hi_u32 v1, s15, v2
	v_add_u32_e32 v1, v2, v1
	v_lshrrev_b32_e32 v1, s13, v1
	s_add_u32 s8, s8, 4
	v_mul_lo_u32 v3, v1, s14
	s_addc_u32 s9, s9, 0
	s_add_i32 s12, s12, -1
	v_sub_u32_e32 v3, v2, v3
	s_cmp_lg_u32 s12, 0
	v_mov_b32_e32 v2, v1
	v_mad_u64_u32 v[0:1], s[14:15], v3, s16, v[0:1]
	s_cbranch_scc1 .LBB165_74
.LBB165_75:
	s_cbranch_execnz .LBB165_78
.LBB165_76:
	s_waitcnt lgkmcnt(0)
	v_mul_hi_u32 v0, s1, v4
	v_add_u32_e32 v0, v4, v0
	v_lshrrev_b32_e32 v1, s2, v0
	v_mul_lo_u32 v0, v1, s0
	v_sub_u32_e32 v0, v4, v0
	s_andn2_b64 vcc, exec, s[34:35]
	v_mul_lo_u32 v0, v0, s28
	s_cbranch_vccnz .LBB165_78
; %bb.77:
	v_mul_hi_u32 v2, s30, v1
	v_add_u32_e32 v2, v1, v2
	v_lshrrev_b32_e32 v2, s31, v2
	v_mul_lo_u32 v2, v2, s3
	v_sub_u32_e32 v1, v1, v2
	v_mad_u64_u32 v[0:1], s[8:9], v1, s29, v[0:1]
.LBB165_78:
	s_waitcnt lgkmcnt(0)
	v_mov_b32_e32 v1, s47
	v_add_u32_e32 v4, 0x80, v4
	global_store_dword v0, v1, s[26:27]
	s_or_b64 exec, exec, s[40:41]
	v_cmp_gt_i32_e32 vcc, s48, v4
	s_and_saveexec_b64 s[40:41], vcc
	s_cbranch_execnz .LBB165_15
.LBB165_79:
	s_or_b64 exec, exec, s[40:41]
	v_cmp_gt_i32_e32 vcc, s48, v4
	s_and_saveexec_b64 s[40:41], vcc
	s_cbranch_execz .LBB165_95
.LBB165_80:
	s_andn2_b64 vcc, exec, s[6:7]
	s_cbranch_vccnz .LBB165_85
; %bb.81:
	s_andn2_b64 vcc, exec, s[38:39]
	s_cbranch_vccnz .LBB165_86
; %bb.82:
	s_add_i32 s51, s49, 1
	s_mov_b32 s50, 0
	s_cmp_eq_u32 s46, 2
	v_mov_b32_e32 v0, 0
	s_cbranch_scc1 .LBB165_98
; %bb.83:
	s_and_b32 s50, s51, 28
	s_mov_b32 s52, 0
	v_mov_b32_e32 v0, 0
	s_mov_b64 s[42:43], s[4:5]
	s_mov_b64 s[44:45], s[36:37]
	v_mov_b32_e32 v2, v4
.LBB165_84:                             ; =>This Inner Loop Header: Depth=1
	s_load_dwordx8 s[8:15], s[42:43], 0x4
	s_load_dwordx4 s[16:19], s[42:43], 0x24
	s_load_dwordx4 s[20:23], s[44:45], 0x0
	s_add_u32 s42, s42, 48
	s_addc_u32 s43, s43, 0
	s_waitcnt lgkmcnt(0)
	v_mul_hi_u32 v1, s9, v2
	v_add_u32_e32 v1, v2, v1
	v_lshrrev_b32_e32 v1, s10, v1
	v_mul_lo_u32 v3, v1, s8
	v_mul_hi_u32 v5, s12, v1
	v_sub_u32_e32 v2, v2, v3
	v_add_u32_e32 v3, v1, v5
	v_lshrrev_b32_e32 v3, s13, v3
	v_mul_lo_u32 v5, v3, s11
	v_mul_hi_u32 v6, s15, v3
	v_sub_u32_e32 v1, v1, v5
	v_add_u32_e32 v5, v3, v6
	v_mul_lo_u32 v2, v2, s20
	v_mul_lo_u32 v1, v1, s21
	v_lshrrev_b32_e32 v5, s16, v5
	v_add3_u32 v0, v2, v0, v1
	v_mul_hi_u32 v2, s18, v5
	v_add_u32_e32 v2, v5, v2
	v_mul_lo_u32 v1, v5, s14
	v_lshrrev_b32_e32 v2, s19, v2
	s_add_i32 s52, s52, 4
	v_sub_u32_e32 v1, v3, v1
	v_mul_lo_u32 v3, v2, s17
	s_add_u32 s44, s44, 16
	v_sub_u32_e32 v3, v5, v3
	s_addc_u32 s45, s45, 0
	v_mul_lo_u32 v1, v1, s22
	v_mul_lo_u32 v3, v3, s23
	s_cmp_eq_u32 s50, s52
	v_add3_u32 v0, v1, v0, v3
	s_cbranch_scc0 .LBB165_84
	s_branch .LBB165_99
.LBB165_85:
                                        ; implicit-def: $vgpr0
	s_branch .LBB165_103
.LBB165_86:
	v_mov_b32_e32 v0, 0
	s_branch .LBB165_102
.LBB165_87:
	v_mov_b32_e32 v2, v4
.LBB165_88:
	s_and_b32 s12, s51, 3
	s_cmp_eq_u32 s12, 0
	s_cbranch_scc1 .LBB165_91
; %bb.89:
	s_lshl_b32 s8, s50, 2
	s_add_u32 s8, s8, s4
	s_addc_u32 s9, s5, 0
	s_add_u32 s8, s8, 0xc4
	s_addc_u32 s9, s9, 0
	s_mul_i32 s10, s50, 12
	s_add_u32 s10, s4, s10
	s_addc_u32 s11, s5, 0
.LBB165_90:                             ; =>This Inner Loop Header: Depth=1
	s_load_dwordx2 s[14:15], s[10:11], 0x4
	s_load_dword s13, s[10:11], 0xc
	s_load_dword s16, s[8:9], 0x0
	s_add_u32 s10, s10, 12
	s_addc_u32 s11, s11, 0
	s_waitcnt lgkmcnt(0)
	v_mul_hi_u32 v1, s15, v2
	v_add_u32_e32 v1, v2, v1
	v_lshrrev_b32_e32 v1, s13, v1
	s_add_u32 s8, s8, 4
	v_mul_lo_u32 v3, v1, s14
	s_addc_u32 s9, s9, 0
	s_add_i32 s12, s12, -1
	v_sub_u32_e32 v3, v2, v3
	s_cmp_lg_u32 s12, 0
	v_mov_b32_e32 v2, v1
	v_mad_u64_u32 v[0:1], s[14:15], v3, s16, v[0:1]
	s_cbranch_scc1 .LBB165_90
.LBB165_91:
	s_cbranch_execnz .LBB165_94
.LBB165_92:
	s_waitcnt lgkmcnt(0)
	v_mul_hi_u32 v0, s1, v4
	v_add_u32_e32 v0, v4, v0
	v_lshrrev_b32_e32 v1, s2, v0
	v_mul_lo_u32 v0, v1, s0
	v_sub_u32_e32 v0, v4, v0
	s_andn2_b64 vcc, exec, s[34:35]
	v_mul_lo_u32 v0, v0, s28
	s_cbranch_vccnz .LBB165_94
; %bb.93:
	v_mul_hi_u32 v2, s30, v1
	v_add_u32_e32 v2, v1, v2
	v_lshrrev_b32_e32 v2, s31, v2
	v_mul_lo_u32 v2, v2, s3
	v_sub_u32_e32 v1, v1, v2
	v_mad_u64_u32 v[0:1], s[8:9], v1, s29, v[0:1]
.LBB165_94:
	s_waitcnt lgkmcnt(0)
	v_mov_b32_e32 v1, s47
	v_add_u32_e32 v4, 0x80, v4
	global_store_dword v0, v1, s[26:27]
	s_or_b64 exec, exec, s[40:41]
	v_cmp_gt_i32_e32 vcc, s48, v4
	s_and_saveexec_b64 s[40:41], vcc
	s_cbranch_execnz .LBB165_80
.LBB165_95:
	s_or_b64 exec, exec, s[40:41]
	v_cmp_gt_i32_e32 vcc, s48, v4
	s_and_saveexec_b64 s[40:41], vcc
	s_cbranch_execnz .LBB165_106
.LBB165_96:
	s_or_b64 exec, exec, s[40:41]
                                        ; implicit-def: $vgpr8
                                        ; implicit-def: $vgpr4
	s_waitcnt lgkmcnt(0)
	s_andn2_saveexec_b64 s[0:1], s[24:25]
	s_cbranch_execnz .LBB165_8
.LBB165_97:
	s_endpgm
.LBB165_98:
	v_mov_b32_e32 v2, v4
.LBB165_99:
	s_and_b32 s12, s51, 3
	s_cmp_eq_u32 s12, 0
	s_cbranch_scc1 .LBB165_102
; %bb.100:
	s_lshl_b32 s8, s50, 2
	s_add_u32 s8, s8, s4
	s_addc_u32 s9, s5, 0
	s_add_u32 s8, s8, 0xc4
	s_addc_u32 s9, s9, 0
	s_mul_i32 s10, s50, 12
	s_add_u32 s10, s4, s10
	s_addc_u32 s11, s5, 0
.LBB165_101:                            ; =>This Inner Loop Header: Depth=1
	s_load_dwordx2 s[14:15], s[10:11], 0x4
	s_load_dword s13, s[10:11], 0xc
	s_load_dword s16, s[8:9], 0x0
	s_add_u32 s10, s10, 12
	s_addc_u32 s11, s11, 0
	s_waitcnt lgkmcnt(0)
	v_mul_hi_u32 v1, s15, v2
	v_add_u32_e32 v1, v2, v1
	v_lshrrev_b32_e32 v1, s13, v1
	s_add_u32 s8, s8, 4
	v_mul_lo_u32 v3, v1, s14
	s_addc_u32 s9, s9, 0
	s_add_i32 s12, s12, -1
	v_sub_u32_e32 v3, v2, v3
	s_cmp_lg_u32 s12, 0
	v_mov_b32_e32 v2, v1
	v_mad_u64_u32 v[0:1], s[14:15], v3, s16, v[0:1]
	s_cbranch_scc1 .LBB165_101
.LBB165_102:
	s_cbranch_execnz .LBB165_105
.LBB165_103:
	s_waitcnt lgkmcnt(0)
	v_mul_hi_u32 v0, s1, v4
	v_add_u32_e32 v0, v4, v0
	v_lshrrev_b32_e32 v1, s2, v0
	v_mul_lo_u32 v0, v1, s0
	v_sub_u32_e32 v0, v4, v0
	s_andn2_b64 vcc, exec, s[34:35]
	v_mul_lo_u32 v0, v0, s28
	s_cbranch_vccnz .LBB165_105
; %bb.104:
	v_mul_hi_u32 v2, s30, v1
	v_add_u32_e32 v2, v1, v2
	v_lshrrev_b32_e32 v2, s31, v2
	v_mul_lo_u32 v2, v2, s3
	v_sub_u32_e32 v1, v1, v2
	v_mad_u64_u32 v[0:1], s[8:9], v1, s29, v[0:1]
.LBB165_105:
	s_waitcnt lgkmcnt(0)
	v_mov_b32_e32 v1, s47
	v_add_u32_e32 v4, 0x80, v4
	global_store_dword v0, v1, s[26:27]
	s_or_b64 exec, exec, s[40:41]
	v_cmp_gt_i32_e32 vcc, s48, v4
	s_and_saveexec_b64 s[40:41], vcc
	s_cbranch_execz .LBB165_96
.LBB165_106:
	s_andn2_b64 vcc, exec, s[6:7]
	s_cbranch_vccnz .LBB165_111
; %bb.107:
	s_andn2_b64 vcc, exec, s[38:39]
	s_cbranch_vccnz .LBB165_112
; %bb.108:
	s_add_i32 s49, s49, 1
	s_mov_b32 s42, 0
	s_cmp_eq_u32 s46, 2
	v_mov_b32_e32 v0, 0
	s_cbranch_scc1 .LBB165_113
; %bb.109:
	s_and_b32 s42, s49, 28
	s_mov_b32 s43, 0
	v_mov_b32_e32 v0, 0
	s_mov_b64 s[38:39], s[4:5]
	v_mov_b32_e32 v2, v4
.LBB165_110:                            ; =>This Inner Loop Header: Depth=1
	s_load_dwordx8 s[8:15], s[38:39], 0x4
	s_load_dwordx4 s[16:19], s[38:39], 0x24
	s_load_dwordx4 s[20:23], s[36:37], 0x0
	s_add_u32 s38, s38, 48
	s_addc_u32 s39, s39, 0
	s_waitcnt lgkmcnt(0)
	v_mul_hi_u32 v1, s9, v2
	v_add_u32_e32 v1, v2, v1
	v_lshrrev_b32_e32 v1, s10, v1
	v_mul_lo_u32 v3, v1, s8
	v_mul_hi_u32 v5, s12, v1
	v_sub_u32_e32 v2, v2, v3
	v_add_u32_e32 v3, v1, v5
	v_lshrrev_b32_e32 v3, s13, v3
	v_mul_lo_u32 v5, v3, s11
	v_mul_hi_u32 v6, s15, v3
	v_sub_u32_e32 v1, v1, v5
	v_add_u32_e32 v5, v3, v6
	v_mul_lo_u32 v2, v2, s20
	v_mul_lo_u32 v1, v1, s21
	v_lshrrev_b32_e32 v5, s16, v5
	v_add3_u32 v0, v2, v0, v1
	v_mul_hi_u32 v2, s18, v5
	v_add_u32_e32 v2, v5, v2
	v_mul_lo_u32 v1, v5, s14
	v_lshrrev_b32_e32 v2, s19, v2
	s_add_i32 s43, s43, 4
	v_sub_u32_e32 v1, v3, v1
	v_mul_lo_u32 v3, v2, s17
	s_add_u32 s36, s36, 16
	v_sub_u32_e32 v3, v5, v3
	s_addc_u32 s37, s37, 0
	v_mul_lo_u32 v1, v1, s22
	v_mul_lo_u32 v3, v3, s23
	s_cmp_eq_u32 s42, s43
	v_add3_u32 v0, v1, v0, v3
	s_cbranch_scc0 .LBB165_110
	s_branch .LBB165_114
.LBB165_111:
                                        ; implicit-def: $vgpr0
	s_branch .LBB165_118
.LBB165_112:
	v_mov_b32_e32 v0, 0
	s_branch .LBB165_117
.LBB165_113:
	v_mov_b32_e32 v2, v4
.LBB165_114:
	s_and_b32 s12, s49, 3
	s_cmp_eq_u32 s12, 0
	s_cbranch_scc1 .LBB165_117
; %bb.115:
	s_lshl_b32 s8, s42, 2
	s_add_u32 s8, s8, s4
	s_addc_u32 s9, s5, 0
	s_add_u32 s8, s8, 0xc4
	s_addc_u32 s9, s9, 0
	s_mul_i32 s10, s42, 12
	s_add_u32 s10, s4, s10
	s_addc_u32 s11, s5, 0
.LBB165_116:                            ; =>This Inner Loop Header: Depth=1
	s_load_dwordx2 s[14:15], s[10:11], 0x4
	s_load_dword s13, s[10:11], 0xc
	s_load_dword s16, s[8:9], 0x0
	s_add_u32 s10, s10, 12
	s_addc_u32 s11, s11, 0
	s_waitcnt lgkmcnt(0)
	v_mul_hi_u32 v1, s15, v2
	v_add_u32_e32 v1, v2, v1
	v_lshrrev_b32_e32 v1, s13, v1
	s_add_u32 s8, s8, 4
	v_mul_lo_u32 v3, v1, s14
	s_addc_u32 s9, s9, 0
	s_add_i32 s12, s12, -1
	v_sub_u32_e32 v3, v2, v3
	s_cmp_lg_u32 s12, 0
	v_mov_b32_e32 v2, v1
	v_mad_u64_u32 v[0:1], s[14:15], v3, s16, v[0:1]
	s_cbranch_scc1 .LBB165_116
.LBB165_117:
	s_cbranch_execnz .LBB165_120
.LBB165_118:
	s_waitcnt lgkmcnt(0)
	v_mul_hi_u32 v0, s1, v4
	v_add_u32_e32 v0, v4, v0
	v_lshrrev_b32_e32 v1, s2, v0
	v_mul_lo_u32 v0, v1, s0
	v_sub_u32_e32 v0, v4, v0
	s_andn2_b64 vcc, exec, s[34:35]
	v_mul_lo_u32 v0, v0, s28
	s_cbranch_vccnz .LBB165_120
; %bb.119:
	v_mul_hi_u32 v2, s30, v1
	v_add_u32_e32 v2, v1, v2
	v_lshrrev_b32_e32 v2, s31, v2
	v_mul_lo_u32 v2, v2, s3
	v_sub_u32_e32 v1, v1, v2
	v_mad_u64_u32 v[0:1], s[0:1], v1, s29, v[0:1]
.LBB165_120:
	s_waitcnt lgkmcnt(0)
	v_mov_b32_e32 v1, s47
	global_store_dword v0, v1, s[26:27]
	s_or_b64 exec, exec, s[40:41]
                                        ; implicit-def: $vgpr8
                                        ; implicit-def: $vgpr4
	s_andn2_saveexec_b64 s[0:1], s[24:25]
	s_cbranch_execz .LBB165_97
	s_branch .LBB165_8
	.section	.rodata,"a",@progbits
	.p2align	6, 0x0
	.amdhsa_kernel _ZN2at6native32elementwise_kernel_manual_unrollILi128ELi4EZNS0_22gpu_kernel_impl_nocastINS0_11FillFunctorIjEEEEvRNS_18TensorIteratorBaseERKT_EUlibE_EEviT1_
		.amdhsa_group_segment_fixed_size 0
		.amdhsa_private_segment_fixed_size 0
		.amdhsa_kernarg_size 288
		.amdhsa_user_sgpr_count 6
		.amdhsa_user_sgpr_private_segment_buffer 1
		.amdhsa_user_sgpr_dispatch_ptr 0
		.amdhsa_user_sgpr_queue_ptr 0
		.amdhsa_user_sgpr_kernarg_segment_ptr 1
		.amdhsa_user_sgpr_dispatch_id 0
		.amdhsa_user_sgpr_flat_scratch_init 0
		.amdhsa_user_sgpr_kernarg_preload_length 0
		.amdhsa_user_sgpr_kernarg_preload_offset 0
		.amdhsa_user_sgpr_private_segment_size 0
		.amdhsa_uses_dynamic_stack 0
		.amdhsa_system_sgpr_private_segment_wavefront_offset 0
		.amdhsa_system_sgpr_workgroup_id_x 1
		.amdhsa_system_sgpr_workgroup_id_y 0
		.amdhsa_system_sgpr_workgroup_id_z 0
		.amdhsa_system_sgpr_workgroup_info 0
		.amdhsa_system_vgpr_workitem_id 0
		.amdhsa_next_free_vgpr 10
		.amdhsa_next_free_sgpr 53
		.amdhsa_accum_offset 12
		.amdhsa_reserve_vcc 1
		.amdhsa_reserve_flat_scratch 0
		.amdhsa_float_round_mode_32 0
		.amdhsa_float_round_mode_16_64 0
		.amdhsa_float_denorm_mode_32 3
		.amdhsa_float_denorm_mode_16_64 3
		.amdhsa_dx10_clamp 1
		.amdhsa_ieee_mode 1
		.amdhsa_fp16_overflow 0
		.amdhsa_tg_split 0
		.amdhsa_exception_fp_ieee_invalid_op 0
		.amdhsa_exception_fp_denorm_src 0
		.amdhsa_exception_fp_ieee_div_zero 0
		.amdhsa_exception_fp_ieee_overflow 0
		.amdhsa_exception_fp_ieee_underflow 0
		.amdhsa_exception_fp_ieee_inexact 0
		.amdhsa_exception_int_div_zero 0
	.end_amdhsa_kernel
	.section	.text._ZN2at6native32elementwise_kernel_manual_unrollILi128ELi4EZNS0_22gpu_kernel_impl_nocastINS0_11FillFunctorIjEEEEvRNS_18TensorIteratorBaseERKT_EUlibE_EEviT1_,"axG",@progbits,_ZN2at6native32elementwise_kernel_manual_unrollILi128ELi4EZNS0_22gpu_kernel_impl_nocastINS0_11FillFunctorIjEEEEvRNS_18TensorIteratorBaseERKT_EUlibE_EEviT1_,comdat
.Lfunc_end165:
	.size	_ZN2at6native32elementwise_kernel_manual_unrollILi128ELi4EZNS0_22gpu_kernel_impl_nocastINS0_11FillFunctorIjEEEEvRNS_18TensorIteratorBaseERKT_EUlibE_EEviT1_, .Lfunc_end165-_ZN2at6native32elementwise_kernel_manual_unrollILi128ELi4EZNS0_22gpu_kernel_impl_nocastINS0_11FillFunctorIjEEEEvRNS_18TensorIteratorBaseERKT_EUlibE_EEviT1_
                                        ; -- End function
	.section	.AMDGPU.csdata,"",@progbits
; Kernel info:
; codeLenInByte = 4928
; NumSgprs: 57
; NumVgprs: 10
; NumAgprs: 0
; TotalNumVgprs: 10
; ScratchSize: 0
; MemoryBound: 0
; FloatMode: 240
; IeeeMode: 1
; LDSByteSize: 0 bytes/workgroup (compile time only)
; SGPRBlocks: 7
; VGPRBlocks: 1
; NumSGPRsForWavesPerEU: 57
; NumVGPRsForWavesPerEU: 10
; AccumOffset: 12
; Occupancy: 8
; WaveLimiterHint : 1
; COMPUTE_PGM_RSRC2:SCRATCH_EN: 0
; COMPUTE_PGM_RSRC2:USER_SGPR: 6
; COMPUTE_PGM_RSRC2:TRAP_HANDLER: 0
; COMPUTE_PGM_RSRC2:TGID_X_EN: 1
; COMPUTE_PGM_RSRC2:TGID_Y_EN: 0
; COMPUTE_PGM_RSRC2:TGID_Z_EN: 0
; COMPUTE_PGM_RSRC2:TIDIG_COMP_CNT: 0
; COMPUTE_PGM_RSRC3_GFX90A:ACCUM_OFFSET: 2
; COMPUTE_PGM_RSRC3_GFX90A:TG_SPLIT: 0
	.section	.text._ZN2at6native32elementwise_kernel_manual_unrollILi128ELi4EZNS0_15gpu_kernel_implINS0_11FillFunctorIjEEEEvRNS_18TensorIteratorBaseERKT_EUlibE_EEviT1_,"axG",@progbits,_ZN2at6native32elementwise_kernel_manual_unrollILi128ELi4EZNS0_15gpu_kernel_implINS0_11FillFunctorIjEEEEvRNS_18TensorIteratorBaseERKT_EUlibE_EEviT1_,comdat
	.protected	_ZN2at6native32elementwise_kernel_manual_unrollILi128ELi4EZNS0_15gpu_kernel_implINS0_11FillFunctorIjEEEEvRNS_18TensorIteratorBaseERKT_EUlibE_EEviT1_ ; -- Begin function _ZN2at6native32elementwise_kernel_manual_unrollILi128ELi4EZNS0_15gpu_kernel_implINS0_11FillFunctorIjEEEEvRNS_18TensorIteratorBaseERKT_EUlibE_EEviT1_
	.globl	_ZN2at6native32elementwise_kernel_manual_unrollILi128ELi4EZNS0_15gpu_kernel_implINS0_11FillFunctorIjEEEEvRNS_18TensorIteratorBaseERKT_EUlibE_EEviT1_
	.p2align	8
	.type	_ZN2at6native32elementwise_kernel_manual_unrollILi128ELi4EZNS0_15gpu_kernel_implINS0_11FillFunctorIjEEEEvRNS_18TensorIteratorBaseERKT_EUlibE_EEviT1_,@function
_ZN2at6native32elementwise_kernel_manual_unrollILi128ELi4EZNS0_15gpu_kernel_implINS0_11FillFunctorIjEEEEvRNS_18TensorIteratorBaseERKT_EUlibE_EEviT1_: ; @_ZN2at6native32elementwise_kernel_manual_unrollILi128ELi4EZNS0_15gpu_kernel_implINS0_11FillFunctorIjEEEEvRNS_18TensorIteratorBaseERKT_EUlibE_EEviT1_
; %bb.0:
	s_load_dword s50, s[4:5], 0x0
	s_load_dwordx4 s[20:23], s[4:5], 0x8
	s_load_dword s33, s[4:5], 0x18
	v_lshl_or_b32 v22, s6, 9, v0
	v_or_b32_e32 v0, 0x180, v22
	s_waitcnt lgkmcnt(0)
	v_cmp_le_i32_e32 vcc, s50, v0
	s_mov_b64 s[18:19], 0
	s_mov_b64 s[0:1], 0
	s_and_saveexec_b64 s[2:3], vcc
	s_xor_b64 s[24:25], exec, s[2:3]
	s_cbranch_execz .LBB166_404
; %bb.1:
	v_cvt_f32_u32_e32 v4, s23
	s_movk_i32 s0, 0xff
	s_mov_b32 s2, 0x47800000
	v_mov_b32_e32 v3, 0x7e
	v_and_b32_e32 v1, 0x400000, v4
	v_lshrrev_b32_e32 v0, 23, v4
	v_cmp_ne_u32_e32 vcc, 0, v1
	v_and_b32_e32 v1, 0x3fffff, v4
	v_or_b32_e32 v1, v0, v1
	v_cmp_eq_u32_e64 s[16:17], s0, v0
	v_cmp_ne_u32_e64 s[0:1], 0, v1
	s_and_b64 s[0:1], vcc, s[0:1]
	v_cndmask_b32_e64 v1, 0, 1, s[0:1]
	s_mov_b32 s0, 0x43800000
	v_cmp_gt_u32_e64 s[14:15], s0, v4
	s_mov_b32 s0, 0x3bffffff
	v_add_f32_e32 v20, 0x46000000, v4
	v_add_u32_e32 v21, v0, v1
	v_cmp_lt_u32_e64 s[12:13], s0, v4
	v_bfe_u32 v0, v4, 20, 1
	v_readfirstlane_b32 s0, v20
	v_add_u32_e32 v0, v4, v0
	s_and_b32 s0, s0, 0xff
	v_cmp_gt_u32_e64 s[10:11], s2, v4
	s_mov_b32 s2, 0x37ffffff
	v_add_f32_e32 v17, 0x42800000, v4
	v_add_u32_e32 v1, 0x487ffff, v0
	s_cmp_lg_u32 s0, 0
	v_cmp_lt_u32_e64 s[8:9], s2, v4
	v_readfirstlane_b32 s2, v17
	v_lshrrev_b32_e32 v19, 20, v1
	s_cselect_b64 s[30:31], -1, 0
	v_bfe_u32 v1, v4, 21, 1
	s_and_b32 s2, s2, 0xff
	v_add_u32_e32 v1, v4, v1
	s_cmp_lg_u32 s2, 0
	s_mov_b32 s2, 0x43efffff
	v_add_u32_e32 v2, 0x88fffff, v1
	v_cmp_lt_u32_e64 s[4:5], s2, v4
	s_mov_b32 s2, 0x3c800000
	v_add_u32_e32 v0, 0x407ffff, v0
	v_lshrrev_b32_e32 v16, 21, v2
	v_cmp_gt_u32_e64 s[6:7], s2, v4
	v_lshrrev_b32_e32 v2, 20, v0
	v_and_b32_e32 v0, 0xff00000, v0
	s_mov_b32 s2, 0x7f00000
	v_cmp_ne_u32_e32 vcc, s2, v0
	v_add_u32_e32 v0, 0x80fffff, v1
	s_mov_b32 s34, 0x7f800000
	v_cndmask_b32_e32 v14, v3, v2, vcc
	v_lshrrev_b32_e32 v11, 21, v0
	v_mov_b32_e32 v0, 0x7f
	v_cmp_lt_u32_e32 vcc, s34, v4
	v_mov_b32_e32 v1, 0x7c
	v_cndmask_b32_e32 v18, v3, v0, vcc
	v_cndmask_b32_e32 v13, v1, v0, vcc
	v_bfe_u32 v0, v4, 16, 1
	v_cvt_f16_f32_e32 v8, v4
	s_cselect_b64 s[28:29], -1, 0
	v_add_u32_e32 v0, v4, v0
	s_cmp_lg_u32 s23, 0
	s_mov_b32 s0, 0x477fffff
	s_mov_b32 s2, 0x38800000
	v_add_u32_e32 v0, 0x7fff, v0
	s_cselect_b64 s[34:35], -1, 0
	s_mov_b32 s27, 0
	s_mov_b32 s26, s23
	v_cmp_lt_u32_e64 s[0:1], s0, v4
	v_add_f32_e32 v15, 0x46800000, v4
	v_cmp_gt_u32_e64 s[2:3], s2, v4
	v_add_f32_e32 v12, 0x43000000, v4
	v_lshrrev_b32_e32 v10, 16, v0
	v_cndmask_b32_e64 v9, 0, 1, s[34:35]
	v_cvt_f64_u32_e32 v[0:1], s23
	v_cmp_gt_i32_e32 vcc, s50, v22
	s_mov_b64 s[38:39], -1
	s_mov_b64 s[40:41], 0
	s_mov_b64 s[34:35], 0
	s_and_saveexec_b64 s[36:37], vcc
	s_cbranch_execz .LBB166_100
; %bb.2:
	v_mul_lo_u32 v2, v22, s22
	v_ashrrev_i32_e32 v3, 31, v2
	v_mov_b32_e32 v5, s21
	v_add_co_u32_e32 v6, vcc, s20, v2
	v_mov_b32_e32 v2, 11
	v_addc_co_u32_e32 v7, vcc, v5, v3, vcc
	v_cmp_lt_i16_sdwa s[34:35], s33, v2 src0_sel:BYTE_0 src1_sel:DWORD
	s_and_b64 vcc, exec, s[34:35]
	s_cbranch_vccnz .LBB166_9
; %bb.3:
	v_mov_b32_e32 v2, 25
	v_cmp_gt_i16_sdwa s[34:35], s33, v2 src0_sel:BYTE_0 src1_sel:DWORD
	s_and_b64 vcc, exec, s[34:35]
	s_cbranch_vccz .LBB166_12
; %bb.4:
	v_mov_b32_e32 v2, 28
	v_cmp_gt_i16_sdwa s[34:35], s33, v2 src0_sel:BYTE_0 src1_sel:DWORD
	s_and_b64 vcc, exec, s[34:35]
	s_cbranch_vccz .LBB166_13
; %bb.5:
	v_mov_b32_e32 v2, 43
	v_cmp_gt_i16_sdwa s[34:35], s33, v2 src0_sel:BYTE_0 src1_sel:DWORD
	s_and_b64 vcc, exec, s[34:35]
	s_cbranch_vccz .LBB166_14
; %bb.6:
	v_mov_b32_e32 v2, 45
	v_cmp_gt_i16_sdwa s[34:35], s33, v2 src0_sel:BYTE_0 src1_sel:DWORD
	s_and_b64 vcc, exec, s[34:35]
	s_cbranch_vccz .LBB166_15
; %bb.7:
	v_mov_b32_e32 v2, 46
	v_cmp_eq_u16_sdwa s[38:39], s33, v2 src0_sel:BYTE_0 src1_sel:DWORD
	s_mov_b64 s[42:43], 0
	s_mov_b64 s[34:35], -1
	s_and_b64 vcc, exec, s[38:39]
	s_mov_b64 s[38:39], 0
	s_cbranch_vccz .LBB166_16
; %bb.8:
	global_store_dword v[6:7], v10, off
	s_mov_b64 s[38:39], -1
	s_mov_b64 s[34:35], 0
	s_branch .LBB166_16
.LBB166_9:
	s_mov_b64 s[34:35], 0
	s_mov_b64 s[38:39], 0
	s_cbranch_execnz .LBB166_60
.LBB166_10:
	s_andn2_b64 vcc, exec, s[38:39]
	s_cbranch_vccnz .LBB166_98
.LBB166_11:
	v_add_u32_e32 v22, 0x80, v22
	s_mov_b64 s[38:39], -1
	s_branch .LBB166_99
.LBB166_12:
	s_mov_b64 s[34:35], 0
	s_mov_b64 s[38:39], 0
	s_cbranch_execnz .LBB166_38
	s_branch .LBB166_59
.LBB166_13:
	s_mov_b64 s[42:43], -1
	s_mov_b64 s[34:35], 0
	s_mov_b64 s[38:39], 0
	s_branch .LBB166_24
.LBB166_14:
	s_mov_b64 s[42:43], -1
	s_mov_b64 s[34:35], 0
	s_mov_b64 s[38:39], 0
	s_branch .LBB166_20
.LBB166_15:
	s_mov_b64 s[42:43], -1
	s_mov_b64 s[34:35], 0
	s_mov_b64 s[38:39], 0
.LBB166_16:
	s_and_b64 vcc, exec, s[42:43]
	s_cbranch_vccz .LBB166_19
; %bb.17:
	v_mov_b32_e32 v2, 44
	v_cmp_eq_u16_sdwa s[42:43], s33, v2 src0_sel:BYTE_0 src1_sel:DWORD
	s_mov_b64 s[34:35], -1
	s_and_b64 vcc, exec, s[42:43]
	s_cbranch_vccz .LBB166_19
; %bb.18:
	v_mov_b32_e32 v2, 0xff
	v_cndmask_b32_e64 v2, v21, v2, s[16:17]
	global_store_byte v[6:7], v2, off
	s_mov_b64 s[38:39], -1
	s_mov_b64 s[34:35], 0
.LBB166_19:
	s_mov_b64 s[42:43], 0
.LBB166_20:
	s_and_b64 vcc, exec, s[42:43]
	s_cbranch_vccz .LBB166_23
; %bb.21:
	v_mov_b32_e32 v2, 29
	v_cmp_eq_u16_sdwa s[42:43], s33, v2 src0_sel:BYTE_0 src1_sel:DWORD
	s_mov_b64 s[34:35], -1
	s_and_b64 vcc, exec, s[42:43]
	s_cbranch_vccz .LBB166_23
; %bb.22:
	v_pk_mov_b32 v[2:3], s[26:27], s[26:27] op_sel:[0,1]
	global_store_dwordx2 v[6:7], v[2:3], off
	s_mov_b64 s[38:39], -1
	s_mov_b64 s[34:35], 0
.LBB166_23:
	s_mov_b64 s[42:43], 0
.LBB166_24:
	s_and_b64 vcc, exec, s[42:43]
	s_cbranch_vccz .LBB166_37
; %bb.25:
	v_mov_b32_e32 v2, 27
	v_cmp_lt_i16_sdwa s[42:43], s33, v2 src0_sel:BYTE_0 src1_sel:DWORD
	s_mov_b64 s[38:39], -1
	s_and_b64 vcc, exec, s[42:43]
	s_cbranch_vccnz .LBB166_31
; %bb.26:
	v_cmp_gt_i16_sdwa s[42:43], s33, v2 src0_sel:BYTE_0 src1_sel:DWORD
	s_and_b64 vcc, exec, s[42:43]
	s_cbranch_vccz .LBB166_28
; %bb.27:
	v_mov_b32_e32 v2, s23
	s_mov_b64 s[38:39], 0
	global_store_dword v[6:7], v2, off
.LBB166_28:
	s_andn2_b64 vcc, exec, s[38:39]
	s_cbranch_vccnz .LBB166_30
; %bb.29:
	v_mov_b32_e32 v2, s23
	global_store_short v[6:7], v2, off
.LBB166_30:
	s_mov_b64 s[38:39], 0
.LBB166_31:
	s_andn2_b64 vcc, exec, s[38:39]
	s_cbranch_vccnz .LBB166_36
; %bb.32:
	s_andn2_b64 vcc, exec, s[14:15]
	v_mov_b32_e32 v2, 0x80
	s_cbranch_vccnz .LBB166_35
; %bb.33:
	s_or_b64 s[38:39], s[12:13], s[30:31]
	s_andn2_b64 vcc, exec, s[38:39]
	v_mov_b32_e32 v2, 0
	s_cbranch_vccnz .LBB166_35
; %bb.34:
	v_cndmask_b32_e64 v2, v20, v19, s[12:13]
.LBB166_35:
	global_store_byte v[6:7], v2, off
.LBB166_36:
	s_mov_b64 s[38:39], -1
.LBB166_37:
	s_branch .LBB166_59
.LBB166_38:
	v_mov_b32_e32 v2, 22
	v_cmp_gt_i16_sdwa s[44:45], s33, v2 src0_sel:BYTE_0 src1_sel:DWORD
	s_mov_b64 s[42:43], -1
	s_and_b64 vcc, exec, s[44:45]
	s_cbranch_vccz .LBB166_51
; %bb.39:
	v_mov_b32_e32 v2, 24
	v_cmp_lt_i16_sdwa s[42:43], s33, v2 src0_sel:BYTE_0 src1_sel:DWORD
	s_mov_b64 s[38:39], -1
	s_and_b64 vcc, exec, s[42:43]
	s_cbranch_vccnz .LBB166_48
; %bb.40:
	v_cmp_gt_i16_sdwa s[42:43], s33, v2 src0_sel:BYTE_0 src1_sel:DWORD
	s_and_b64 vcc, exec, s[42:43]
	s_cbranch_vccz .LBB166_45
; %bb.41:
	s_andn2_b64 vcc, exec, s[10:11]
	v_mov_b32_e32 v2, 0x80
	s_cbranch_vccnz .LBB166_44
; %bb.42:
	s_or_b64 s[38:39], s[8:9], s[28:29]
	s_andn2_b64 vcc, exec, s[38:39]
	v_mov_b32_e32 v2, 0
	s_cbranch_vccnz .LBB166_44
; %bb.43:
	v_cndmask_b32_e64 v2, v17, v16, s[8:9]
.LBB166_44:
	s_mov_b64 s[38:39], 0
	global_store_byte v[6:7], v2, off
.LBB166_45:
	s_and_b64 vcc, exec, s[38:39]
	s_cbranch_vccz .LBB166_47
; %bb.46:
	v_cndmask_b32_e64 v2, v14, v15, s[6:7]
	v_cndmask_b32_e64 v2, v2, v18, s[4:5]
	global_store_byte v[6:7], v2, off
.LBB166_47:
	s_mov_b64 s[38:39], 0
.LBB166_48:
	s_andn2_b64 vcc, exec, s[38:39]
	s_cbranch_vccnz .LBB166_50
; %bb.49:
	v_cndmask_b32_e64 v2, v11, v12, s[2:3]
	v_cndmask_b32_e64 v2, v2, v13, s[0:1]
	global_store_byte v[6:7], v2, off
.LBB166_50:
	s_mov_b64 s[42:43], 0
	s_mov_b64 s[38:39], -1
.LBB166_51:
	s_andn2_b64 vcc, exec, s[42:43]
	s_cbranch_vccnz .LBB166_59
; %bb.52:
	v_mov_b32_e32 v2, 14
	v_cmp_gt_i16_sdwa s[44:45], s33, v2 src0_sel:BYTE_0 src1_sel:DWORD
	s_mov_b64 s[42:43], -1
	s_and_b64 vcc, exec, s[44:45]
	s_cbranch_vccz .LBB166_56
; %bb.53:
	v_mov_b32_e32 v2, 15
	v_cmp_eq_u16_sdwa s[42:43], s33, v2 src0_sel:BYTE_0 src1_sel:DWORD
	s_mov_b64 s[34:35], -1
	s_and_b64 vcc, exec, s[42:43]
	s_cbranch_vccz .LBB166_55
; %bb.54:
	global_store_short v[6:7], v10, off
	s_mov_b64 s[38:39], -1
	s_mov_b64 s[34:35], 0
.LBB166_55:
	s_mov_b64 s[42:43], 0
.LBB166_56:
	s_and_b64 vcc, exec, s[42:43]
	s_cbranch_vccz .LBB166_59
; %bb.57:
	v_mov_b32_e32 v2, 11
	v_cmp_eq_u16_sdwa s[42:43], s33, v2 src0_sel:BYTE_0 src1_sel:DWORD
	s_mov_b64 s[34:35], -1
	s_and_b64 vcc, exec, s[42:43]
	s_cbranch_vccz .LBB166_59
; %bb.58:
	s_mov_b64 s[38:39], -1
	s_mov_b64 s[34:35], 0
	global_store_byte v[6:7], v9, off
.LBB166_59:
	s_branch .LBB166_10
.LBB166_60:
	v_mov_b32_e32 v2, 5
	v_cmp_lt_i16_sdwa s[42:43], s33, v2 src0_sel:BYTE_0 src1_sel:DWORD
	s_mov_b64 s[38:39], -1
	s_and_b64 vcc, exec, s[42:43]
	s_cbranch_vccnz .LBB166_81
; %bb.61:
	v_mov_b32_e32 v2, 8
	v_cmp_lt_i16_sdwa s[42:43], s33, v2 src0_sel:BYTE_0 src1_sel:DWORD
	s_and_b64 vcc, exec, s[42:43]
	s_cbranch_vccnz .LBB166_71
; %bb.62:
	v_mov_b32_e32 v2, 9
	v_cmp_lt_i16_sdwa s[42:43], s33, v2 src0_sel:BYTE_0 src1_sel:DWORD
	s_and_b64 vcc, exec, s[42:43]
	s_cbranch_vccnz .LBB166_68
; %bb.63:
	v_cmp_gt_i16_sdwa s[42:43], s33, v2 src0_sel:BYTE_0 src1_sel:DWORD
	s_and_b64 vcc, exec, s[42:43]
	s_cbranch_vccz .LBB166_65
; %bb.64:
	v_mov_b32_e32 v2, 0
	v_mov_b32_e32 v3, v2
	global_store_dwordx4 v[6:7], v[0:3], off
	s_mov_b64 s[38:39], 0
.LBB166_65:
	s_andn2_b64 vcc, exec, s[38:39]
	s_cbranch_vccnz .LBB166_67
; %bb.66:
	v_mov_b32_e32 v5, 0
	global_store_dwordx2 v[6:7], v[4:5], off
.LBB166_67:
	s_mov_b64 s[38:39], 0
.LBB166_68:
	s_andn2_b64 vcc, exec, s[38:39]
	s_cbranch_vccnz .LBB166_70
; %bb.69:
	global_store_dword v[6:7], v8, off
.LBB166_70:
	s_mov_b64 s[38:39], 0
.LBB166_71:
	s_andn2_b64 vcc, exec, s[38:39]
	s_cbranch_vccnz .LBB166_80
; %bb.72:
	v_mov_b32_e32 v2, 6
	v_cmp_lt_i16_sdwa s[42:43], s33, v2 src0_sel:BYTE_0 src1_sel:DWORD
	s_mov_b64 s[38:39], -1
	s_and_b64 vcc, exec, s[42:43]
	s_cbranch_vccnz .LBB166_78
; %bb.73:
	v_cmp_gt_i16_sdwa s[42:43], s33, v2 src0_sel:BYTE_0 src1_sel:DWORD
	s_and_b64 vcc, exec, s[42:43]
	s_cbranch_vccz .LBB166_75
; %bb.74:
	global_store_dwordx2 v[6:7], v[0:1], off
	s_mov_b64 s[38:39], 0
.LBB166_75:
	s_andn2_b64 vcc, exec, s[38:39]
	s_cbranch_vccnz .LBB166_77
; %bb.76:
	global_store_dword v[6:7], v4, off
.LBB166_77:
	s_mov_b64 s[38:39], 0
.LBB166_78:
	s_andn2_b64 vcc, exec, s[38:39]
	s_cbranch_vccnz .LBB166_80
; %bb.79:
	global_store_short v[6:7], v8, off
.LBB166_80:
	s_mov_b64 s[38:39], 0
.LBB166_81:
	s_andn2_b64 vcc, exec, s[38:39]
	s_cbranch_vccnz .LBB166_97
; %bb.82:
	v_mov_b32_e32 v2, 2
	v_cmp_lt_i16_sdwa s[42:43], s33, v2 src0_sel:BYTE_0 src1_sel:DWORD
	s_mov_b64 s[38:39], -1
	s_and_b64 vcc, exec, s[42:43]
	s_cbranch_vccnz .LBB166_92
; %bb.83:
	v_mov_b32_e32 v2, 3
	v_cmp_lt_i16_sdwa s[42:43], s33, v2 src0_sel:BYTE_0 src1_sel:DWORD
	s_and_b64 vcc, exec, s[42:43]
	s_cbranch_vccnz .LBB166_89
; %bb.84:
	v_cmp_gt_i16_sdwa s[42:43], s33, v2 src0_sel:BYTE_0 src1_sel:DWORD
	s_and_b64 vcc, exec, s[42:43]
	s_cbranch_vccz .LBB166_86
; %bb.85:
	v_pk_mov_b32 v[2:3], s[26:27], s[26:27] op_sel:[0,1]
	global_store_dwordx2 v[6:7], v[2:3], off
	s_mov_b64 s[38:39], 0
.LBB166_86:
	s_andn2_b64 vcc, exec, s[38:39]
	s_cbranch_vccnz .LBB166_88
; %bb.87:
	v_mov_b32_e32 v2, s23
	global_store_dword v[6:7], v2, off
.LBB166_88:
	s_mov_b64 s[38:39], 0
.LBB166_89:
	s_andn2_b64 vcc, exec, s[38:39]
	s_cbranch_vccnz .LBB166_91
; %bb.90:
	v_mov_b32_e32 v2, s23
	global_store_short v[6:7], v2, off
.LBB166_91:
	s_mov_b64 s[38:39], 0
.LBB166_92:
	s_andn2_b64 vcc, exec, s[38:39]
	s_cbranch_vccnz .LBB166_97
; %bb.93:
	v_mov_b32_e32 v2, 0
	v_cmp_gt_i16_sdwa s[42:43], s33, v2 src0_sel:BYTE_0 src1_sel:DWORD
	s_mov_b64 s[38:39], -1
	s_and_b64 vcc, exec, s[42:43]
	s_cbranch_vccz .LBB166_95
; %bb.94:
	v_mov_b32_e32 v2, s23
	global_store_byte v[6:7], v2, off
	s_mov_b64 s[38:39], 0
.LBB166_95:
	s_andn2_b64 vcc, exec, s[38:39]
	s_cbranch_vccnz .LBB166_97
; %bb.96:
	v_mov_b32_e32 v2, s23
	global_store_byte v[6:7], v2, off
.LBB166_97:
	s_branch .LBB166_11
.LBB166_98:
	s_mov_b64 s[38:39], 0
                                        ; implicit-def: $vgpr22
.LBB166_99:
	s_and_b64 s[34:35], s[34:35], exec
	s_orn2_b64 s[38:39], s[38:39], exec
.LBB166_100:
	s_or_b64 exec, exec, s[36:37]
	s_mov_b64 s[42:43], 0
                                        ; implicit-def: $vgpr23
                                        ; implicit-def: $vgpr6_vgpr7
	s_and_saveexec_b64 s[36:37], s[38:39]
	s_cbranch_execz .LBB166_109
; %bb.101:
	v_cmp_gt_i32_e32 vcc, s50, v22
	s_mov_b64 s[44:45], -1
	s_mov_b64 s[38:39], s[34:35]
	s_and_saveexec_b64 s[40:41], vcc
	s_cbranch_execz .LBB166_204
; %bb.102:
	v_mul_lo_u32 v2, v22, s22
	v_ashrrev_i32_e32 v3, 31, v2
	v_mov_b32_e32 v5, s21
	v_add_co_u32_e32 v6, vcc, s20, v2
	v_mov_b32_e32 v2, 11
	v_addc_co_u32_e32 v7, vcc, v5, v3, vcc
	v_cmp_lt_i16_sdwa s[38:39], s33, v2 src0_sel:BYTE_0 src1_sel:DWORD
	s_and_b64 vcc, exec, s[38:39]
	s_cbranch_vccnz .LBB166_112
; %bb.103:
	v_mov_b32_e32 v2, 25
	v_cmp_gt_i16_sdwa s[38:39], s33, v2 src0_sel:BYTE_0 src1_sel:DWORD
	s_and_b64 vcc, exec, s[38:39]
	s_cbranch_vccz .LBB166_115
; %bb.104:
	v_mov_b32_e32 v2, 28
	v_cmp_gt_i16_sdwa s[38:39], s33, v2 src0_sel:BYTE_0 src1_sel:DWORD
	s_and_b64 vcc, exec, s[38:39]
	s_cbranch_vccz .LBB166_116
	;; [unrolled: 5-line block ×4, first 2 shown]
; %bb.107:
	v_mov_b32_e32 v2, 46
	v_cmp_eq_u16_sdwa s[42:43], s33, v2 src0_sel:BYTE_0 src1_sel:DWORD
	s_mov_b64 s[44:45], 0
	s_mov_b64 s[38:39], -1
	s_and_b64 vcc, exec, s[42:43]
	s_mov_b64 s[42:43], 0
	s_cbranch_vccz .LBB166_119
; %bb.108:
	global_store_dword v[6:7], v10, off
	s_mov_b64 s[42:43], -1
	s_mov_b64 s[38:39], 0
	s_branch .LBB166_119
.LBB166_109:
	s_or_b64 exec, exec, s[36:37]
	s_mov_b64 s[0:1], 0
	s_and_saveexec_b64 s[2:3], s[34:35]
	s_cbranch_execnz .LBB166_364
.LBB166_110:
	s_or_b64 exec, exec, s[2:3]
	s_and_saveexec_b64 s[2:3], s[40:41]
	s_xor_b64 s[2:3], exec, s[2:3]
	s_cbranch_execz .LBB166_365
.LBB166_111:
	global_store_byte v[6:7], v9, off
	s_or_b64 exec, exec, s[2:3]
	s_and_saveexec_b64 s[2:3], s[42:43]
	s_xor_b64 s[2:3], exec, s[2:3]
	s_cbranch_execz .LBB166_403
	s_branch .LBB166_366
.LBB166_112:
	s_mov_b64 s[38:39], s[34:35]
	s_and_b64 vcc, exec, s[44:45]
	s_cbranch_vccnz .LBB166_164
.LBB166_113:
	s_andn2_b64 vcc, exec, s[42:43]
	s_cbranch_vccnz .LBB166_202
.LBB166_114:
	v_add_u32_e32 v22, 0x80, v22
	s_mov_b64 s[42:43], -1
	s_branch .LBB166_203
.LBB166_115:
	s_mov_b64 s[38:39], s[34:35]
	s_branch .LBB166_141
.LBB166_116:
	s_mov_b64 s[38:39], s[34:35]
	s_branch .LBB166_127
.LBB166_117:
	s_mov_b64 s[38:39], s[34:35]
	s_branch .LBB166_123
.LBB166_118:
	s_mov_b64 s[38:39], s[34:35]
.LBB166_119:
	s_and_b64 vcc, exec, s[44:45]
	s_cbranch_vccz .LBB166_122
; %bb.120:
	v_mov_b32_e32 v2, 44
	v_cmp_eq_u16_sdwa s[44:45], s33, v2 src0_sel:BYTE_0 src1_sel:DWORD
	s_mov_b64 s[38:39], -1
	s_and_b64 vcc, exec, s[44:45]
	s_cbranch_vccz .LBB166_122
; %bb.121:
	v_mov_b32_e32 v2, 0xff
	v_cndmask_b32_e64 v2, v21, v2, s[16:17]
	s_mov_b64 s[42:43], -1
	s_mov_b64 s[38:39], 0
	global_store_byte v[6:7], v2, off
.LBB166_122:
	s_mov_b64 s[44:45], 0
.LBB166_123:
	s_and_b64 vcc, exec, s[44:45]
	s_cbranch_vccz .LBB166_126
; %bb.124:
	v_mov_b32_e32 v2, 29
	v_cmp_eq_u16_sdwa s[44:45], s33, v2 src0_sel:BYTE_0 src1_sel:DWORD
	s_mov_b64 s[38:39], -1
	s_and_b64 vcc, exec, s[44:45]
	s_cbranch_vccz .LBB166_126
; %bb.125:
	v_pk_mov_b32 v[2:3], s[26:27], s[26:27] op_sel:[0,1]
	global_store_dwordx2 v[6:7], v[2:3], off
	s_mov_b64 s[42:43], -1
	s_mov_b64 s[38:39], 0
.LBB166_126:
	s_mov_b64 s[44:45], 0
.LBB166_127:
	s_and_b64 vcc, exec, s[44:45]
	s_cbranch_vccz .LBB166_140
; %bb.128:
	v_mov_b32_e32 v2, 27
	v_cmp_lt_i16_sdwa s[44:45], s33, v2 src0_sel:BYTE_0 src1_sel:DWORD
	s_mov_b64 s[42:43], -1
	s_and_b64 vcc, exec, s[44:45]
	s_cbranch_vccnz .LBB166_134
; %bb.129:
	v_cmp_gt_i16_sdwa s[44:45], s33, v2 src0_sel:BYTE_0 src1_sel:DWORD
	s_and_b64 vcc, exec, s[44:45]
	s_cbranch_vccz .LBB166_131
; %bb.130:
	v_mov_b32_e32 v2, s23
	s_mov_b64 s[42:43], 0
	global_store_dword v[6:7], v2, off
.LBB166_131:
	s_andn2_b64 vcc, exec, s[42:43]
	s_cbranch_vccnz .LBB166_133
; %bb.132:
	v_mov_b32_e32 v2, s23
	global_store_short v[6:7], v2, off
.LBB166_133:
	s_mov_b64 s[42:43], 0
.LBB166_134:
	s_andn2_b64 vcc, exec, s[42:43]
	s_cbranch_vccnz .LBB166_139
; %bb.135:
	s_andn2_b64 vcc, exec, s[14:15]
	v_mov_b32_e32 v2, 0x80
	s_cbranch_vccnz .LBB166_138
; %bb.136:
	s_or_b64 s[42:43], s[12:13], s[30:31]
	s_andn2_b64 vcc, exec, s[42:43]
	v_mov_b32_e32 v2, 0
	s_cbranch_vccnz .LBB166_138
; %bb.137:
	v_cndmask_b32_e64 v2, v20, v19, s[12:13]
.LBB166_138:
	global_store_byte v[6:7], v2, off
.LBB166_139:
	s_mov_b64 s[42:43], -1
.LBB166_140:
	s_mov_b64 s[44:45], 0
.LBB166_141:
	s_and_b64 vcc, exec, s[44:45]
	s_cbranch_vccz .LBB166_163
; %bb.142:
	v_mov_b32_e32 v2, 22
	v_cmp_gt_i16_sdwa s[46:47], s33, v2 src0_sel:BYTE_0 src1_sel:DWORD
	s_mov_b64 s[44:45], -1
	s_and_b64 vcc, exec, s[46:47]
	s_cbranch_vccz .LBB166_155
; %bb.143:
	v_mov_b32_e32 v2, 24
	v_cmp_lt_i16_sdwa s[44:45], s33, v2 src0_sel:BYTE_0 src1_sel:DWORD
	s_mov_b64 s[42:43], -1
	s_and_b64 vcc, exec, s[44:45]
	s_cbranch_vccnz .LBB166_152
; %bb.144:
	v_cmp_gt_i16_sdwa s[44:45], s33, v2 src0_sel:BYTE_0 src1_sel:DWORD
	s_and_b64 vcc, exec, s[44:45]
	s_cbranch_vccz .LBB166_149
; %bb.145:
	s_andn2_b64 vcc, exec, s[10:11]
	v_mov_b32_e32 v2, 0x80
	s_cbranch_vccnz .LBB166_148
; %bb.146:
	s_or_b64 s[42:43], s[8:9], s[28:29]
	s_andn2_b64 vcc, exec, s[42:43]
	v_mov_b32_e32 v2, 0
	s_cbranch_vccnz .LBB166_148
; %bb.147:
	v_cndmask_b32_e64 v2, v17, v16, s[8:9]
.LBB166_148:
	s_mov_b64 s[42:43], 0
	global_store_byte v[6:7], v2, off
.LBB166_149:
	s_and_b64 vcc, exec, s[42:43]
	s_cbranch_vccz .LBB166_151
; %bb.150:
	v_cndmask_b32_e64 v2, v14, v15, s[6:7]
	v_cndmask_b32_e64 v2, v2, v18, s[4:5]
	global_store_byte v[6:7], v2, off
.LBB166_151:
	s_mov_b64 s[42:43], 0
.LBB166_152:
	s_andn2_b64 vcc, exec, s[42:43]
	s_cbranch_vccnz .LBB166_154
; %bb.153:
	v_cndmask_b32_e64 v2, v11, v12, s[2:3]
	v_cndmask_b32_e64 v2, v2, v13, s[0:1]
	global_store_byte v[6:7], v2, off
.LBB166_154:
	s_mov_b64 s[44:45], 0
	s_mov_b64 s[42:43], -1
.LBB166_155:
	s_andn2_b64 vcc, exec, s[44:45]
	s_cbranch_vccnz .LBB166_163
; %bb.156:
	v_mov_b32_e32 v2, 14
	v_cmp_gt_i16_sdwa s[46:47], s33, v2 src0_sel:BYTE_0 src1_sel:DWORD
	s_mov_b64 s[44:45], -1
	s_and_b64 vcc, exec, s[46:47]
	s_cbranch_vccz .LBB166_160
; %bb.157:
	v_mov_b32_e32 v2, 15
	v_cmp_eq_u16_sdwa s[44:45], s33, v2 src0_sel:BYTE_0 src1_sel:DWORD
	s_mov_b64 s[38:39], -1
	s_and_b64 vcc, exec, s[44:45]
	s_cbranch_vccz .LBB166_159
; %bb.158:
	global_store_short v[6:7], v10, off
	s_mov_b64 s[42:43], -1
	s_mov_b64 s[38:39], 0
.LBB166_159:
	s_mov_b64 s[44:45], 0
.LBB166_160:
	s_and_b64 vcc, exec, s[44:45]
	s_cbranch_vccz .LBB166_163
; %bb.161:
	v_mov_b32_e32 v2, 11
	v_cmp_eq_u16_sdwa s[44:45], s33, v2 src0_sel:BYTE_0 src1_sel:DWORD
	s_mov_b64 s[38:39], -1
	s_and_b64 vcc, exec, s[44:45]
	s_cbranch_vccz .LBB166_163
; %bb.162:
	s_mov_b64 s[42:43], -1
	s_mov_b64 s[38:39], 0
	global_store_byte v[6:7], v9, off
.LBB166_163:
	s_branch .LBB166_113
.LBB166_164:
	v_mov_b32_e32 v2, 5
	v_cmp_lt_i16_sdwa s[44:45], s33, v2 src0_sel:BYTE_0 src1_sel:DWORD
	s_mov_b64 s[42:43], -1
	s_and_b64 vcc, exec, s[44:45]
	s_cbranch_vccnz .LBB166_185
; %bb.165:
	v_mov_b32_e32 v2, 8
	v_cmp_lt_i16_sdwa s[44:45], s33, v2 src0_sel:BYTE_0 src1_sel:DWORD
	s_and_b64 vcc, exec, s[44:45]
	s_cbranch_vccnz .LBB166_175
; %bb.166:
	v_mov_b32_e32 v2, 9
	v_cmp_lt_i16_sdwa s[44:45], s33, v2 src0_sel:BYTE_0 src1_sel:DWORD
	s_and_b64 vcc, exec, s[44:45]
	s_cbranch_vccnz .LBB166_172
; %bb.167:
	v_cmp_gt_i16_sdwa s[44:45], s33, v2 src0_sel:BYTE_0 src1_sel:DWORD
	s_and_b64 vcc, exec, s[44:45]
	s_cbranch_vccz .LBB166_169
; %bb.168:
	v_mov_b32_e32 v2, 0
	v_mov_b32_e32 v3, v2
	s_mov_b64 s[42:43], 0
	global_store_dwordx4 v[6:7], v[0:3], off
.LBB166_169:
	s_andn2_b64 vcc, exec, s[42:43]
	s_cbranch_vccnz .LBB166_171
; %bb.170:
	v_mov_b32_e32 v5, 0
	global_store_dwordx2 v[6:7], v[4:5], off
.LBB166_171:
	s_mov_b64 s[42:43], 0
.LBB166_172:
	s_andn2_b64 vcc, exec, s[42:43]
	s_cbranch_vccnz .LBB166_174
; %bb.173:
	global_store_dword v[6:7], v8, off
.LBB166_174:
	s_mov_b64 s[42:43], 0
.LBB166_175:
	s_andn2_b64 vcc, exec, s[42:43]
	s_cbranch_vccnz .LBB166_184
; %bb.176:
	v_mov_b32_e32 v2, 6
	v_cmp_lt_i16_sdwa s[44:45], s33, v2 src0_sel:BYTE_0 src1_sel:DWORD
	s_mov_b64 s[42:43], -1
	s_and_b64 vcc, exec, s[44:45]
	s_cbranch_vccnz .LBB166_182
; %bb.177:
	v_cmp_gt_i16_sdwa s[44:45], s33, v2 src0_sel:BYTE_0 src1_sel:DWORD
	s_and_b64 vcc, exec, s[44:45]
	s_cbranch_vccz .LBB166_179
; %bb.178:
	s_mov_b64 s[42:43], 0
	global_store_dwordx2 v[6:7], v[0:1], off
.LBB166_179:
	s_andn2_b64 vcc, exec, s[42:43]
	s_cbranch_vccnz .LBB166_181
; %bb.180:
	global_store_dword v[6:7], v4, off
.LBB166_181:
	s_mov_b64 s[42:43], 0
.LBB166_182:
	s_andn2_b64 vcc, exec, s[42:43]
	s_cbranch_vccnz .LBB166_184
; %bb.183:
	global_store_short v[6:7], v8, off
.LBB166_184:
	s_mov_b64 s[42:43], 0
.LBB166_185:
	s_andn2_b64 vcc, exec, s[42:43]
	s_cbranch_vccnz .LBB166_201
; %bb.186:
	v_mov_b32_e32 v2, 2
	v_cmp_lt_i16_sdwa s[44:45], s33, v2 src0_sel:BYTE_0 src1_sel:DWORD
	s_mov_b64 s[42:43], -1
	s_and_b64 vcc, exec, s[44:45]
	s_cbranch_vccnz .LBB166_196
; %bb.187:
	v_mov_b32_e32 v2, 3
	v_cmp_lt_i16_sdwa s[44:45], s33, v2 src0_sel:BYTE_0 src1_sel:DWORD
	s_and_b64 vcc, exec, s[44:45]
	s_cbranch_vccnz .LBB166_193
; %bb.188:
	v_cmp_gt_i16_sdwa s[44:45], s33, v2 src0_sel:BYTE_0 src1_sel:DWORD
	s_and_b64 vcc, exec, s[44:45]
	s_cbranch_vccz .LBB166_190
; %bb.189:
	v_pk_mov_b32 v[2:3], s[26:27], s[26:27] op_sel:[0,1]
	s_mov_b64 s[42:43], 0
	global_store_dwordx2 v[6:7], v[2:3], off
.LBB166_190:
	s_andn2_b64 vcc, exec, s[42:43]
	s_cbranch_vccnz .LBB166_192
; %bb.191:
	v_mov_b32_e32 v2, s23
	global_store_dword v[6:7], v2, off
.LBB166_192:
	s_mov_b64 s[42:43], 0
.LBB166_193:
	s_andn2_b64 vcc, exec, s[42:43]
	s_cbranch_vccnz .LBB166_195
; %bb.194:
	v_mov_b32_e32 v2, s23
	global_store_short v[6:7], v2, off
.LBB166_195:
	s_mov_b64 s[42:43], 0
.LBB166_196:
	s_andn2_b64 vcc, exec, s[42:43]
	s_cbranch_vccnz .LBB166_201
; %bb.197:
	v_mov_b32_e32 v2, 0
	v_cmp_gt_i16_sdwa s[44:45], s33, v2 src0_sel:BYTE_0 src1_sel:DWORD
	s_mov_b64 s[42:43], -1
	s_and_b64 vcc, exec, s[44:45]
	s_cbranch_vccz .LBB166_199
; %bb.198:
	v_mov_b32_e32 v2, s23
	s_mov_b64 s[42:43], 0
	global_store_byte v[6:7], v2, off
.LBB166_199:
	s_andn2_b64 vcc, exec, s[42:43]
	s_cbranch_vccnz .LBB166_201
; %bb.200:
	v_mov_b32_e32 v2, s23
	global_store_byte v[6:7], v2, off
.LBB166_201:
	s_branch .LBB166_114
.LBB166_202:
	s_mov_b64 s[42:43], 0
                                        ; implicit-def: $vgpr22
.LBB166_203:
	s_andn2_b64 s[44:45], s[34:35], exec
	s_and_b64 s[38:39], s[38:39], exec
	s_or_b64 s[38:39], s[44:45], s[38:39]
	s_orn2_b64 s[44:45], s[42:43], exec
.LBB166_204:
	s_or_b64 exec, exec, s[40:41]
	s_mov_b64 s[46:47], 0
	s_mov_b64 s[42:43], 0
                                        ; implicit-def: $vgpr23
                                        ; implicit-def: $vgpr6_vgpr7
	s_and_saveexec_b64 s[40:41], s[44:45]
	s_cbranch_execz .LBB166_363
; %bb.205:
	v_cmp_gt_i32_e32 vcc, s50, v22
	s_mov_b64 s[48:49], -1
	s_mov_b64 s[44:45], s[38:39]
	s_and_saveexec_b64 s[42:43], vcc
	s_cbranch_execz .LBB166_306
; %bb.206:
	v_mul_lo_u32 v2, v22, s22
	v_ashrrev_i32_e32 v3, 31, v2
	v_mov_b32_e32 v5, s21
	v_add_co_u32_e32 v6, vcc, s20, v2
	v_mov_b32_e32 v2, 11
	v_addc_co_u32_e32 v7, vcc, v5, v3, vcc
	v_cmp_lt_i16_sdwa s[44:45], s33, v2 src0_sel:BYTE_0 src1_sel:DWORD
	s_and_b64 vcc, exec, s[44:45]
	s_cbranch_vccnz .LBB166_213
; %bb.207:
	v_mov_b32_e32 v2, 25
	v_cmp_gt_i16_sdwa s[44:45], s33, v2 src0_sel:BYTE_0 src1_sel:DWORD
	s_and_b64 vcc, exec, s[44:45]
	s_cbranch_vccz .LBB166_214
; %bb.208:
	v_mov_b32_e32 v2, 28
	v_cmp_gt_i16_sdwa s[44:45], s33, v2 src0_sel:BYTE_0 src1_sel:DWORD
	s_and_b64 vcc, exec, s[44:45]
	s_cbranch_vccz .LBB166_215
	;; [unrolled: 5-line block ×4, first 2 shown]
; %bb.211:
	v_mov_b32_e32 v2, 46
	v_cmp_eq_u16_sdwa s[46:47], s33, v2 src0_sel:BYTE_0 src1_sel:DWORD
	s_mov_b64 s[48:49], 0
	s_mov_b64 s[44:45], -1
	s_and_b64 vcc, exec, s[46:47]
	s_mov_b64 s[46:47], 0
	s_cbranch_vccz .LBB166_218
; %bb.212:
	global_store_dword v[6:7], v10, off
	s_mov_b64 s[46:47], -1
	s_mov_b64 s[44:45], 0
	s_branch .LBB166_218
.LBB166_213:
	s_mov_b64 s[44:45], s[38:39]
	s_branch .LBB166_263
.LBB166_214:
	s_mov_b64 s[44:45], s[38:39]
	s_branch .LBB166_240
.LBB166_215:
	s_mov_b64 s[44:45], s[38:39]
	s_branch .LBB166_226
.LBB166_216:
	s_mov_b64 s[44:45], s[38:39]
	s_branch .LBB166_222
.LBB166_217:
	s_mov_b64 s[44:45], s[38:39]
.LBB166_218:
	s_and_b64 vcc, exec, s[48:49]
	s_cbranch_vccz .LBB166_221
; %bb.219:
	v_mov_b32_e32 v2, 44
	v_cmp_eq_u16_sdwa s[48:49], s33, v2 src0_sel:BYTE_0 src1_sel:DWORD
	s_mov_b64 s[44:45], -1
	s_and_b64 vcc, exec, s[48:49]
	s_cbranch_vccz .LBB166_221
; %bb.220:
	v_mov_b32_e32 v2, 0xff
	v_cndmask_b32_e64 v2, v21, v2, s[16:17]
	s_mov_b64 s[46:47], -1
	s_mov_b64 s[44:45], 0
	global_store_byte v[6:7], v2, off
.LBB166_221:
	s_mov_b64 s[48:49], 0
.LBB166_222:
	s_and_b64 vcc, exec, s[48:49]
	s_cbranch_vccz .LBB166_225
; %bb.223:
	v_mov_b32_e32 v2, 29
	v_cmp_eq_u16_sdwa s[48:49], s33, v2 src0_sel:BYTE_0 src1_sel:DWORD
	s_mov_b64 s[44:45], -1
	s_and_b64 vcc, exec, s[48:49]
	s_cbranch_vccz .LBB166_225
; %bb.224:
	v_pk_mov_b32 v[2:3], s[26:27], s[26:27] op_sel:[0,1]
	global_store_dwordx2 v[6:7], v[2:3], off
	s_mov_b64 s[46:47], -1
	s_mov_b64 s[44:45], 0
.LBB166_225:
	s_mov_b64 s[48:49], 0
.LBB166_226:
	s_and_b64 vcc, exec, s[48:49]
	s_cbranch_vccz .LBB166_239
; %bb.227:
	v_mov_b32_e32 v2, 27
	v_cmp_lt_i16_sdwa s[48:49], s33, v2 src0_sel:BYTE_0 src1_sel:DWORD
	s_mov_b64 s[46:47], -1
	s_and_b64 vcc, exec, s[48:49]
	s_cbranch_vccnz .LBB166_233
; %bb.228:
	v_cmp_gt_i16_sdwa s[48:49], s33, v2 src0_sel:BYTE_0 src1_sel:DWORD
	s_and_b64 vcc, exec, s[48:49]
	s_cbranch_vccz .LBB166_230
; %bb.229:
	v_mov_b32_e32 v2, s23
	s_mov_b64 s[46:47], 0
	global_store_dword v[6:7], v2, off
.LBB166_230:
	s_andn2_b64 vcc, exec, s[46:47]
	s_cbranch_vccnz .LBB166_232
; %bb.231:
	v_mov_b32_e32 v2, s23
	global_store_short v[6:7], v2, off
.LBB166_232:
	s_mov_b64 s[46:47], 0
.LBB166_233:
	s_andn2_b64 vcc, exec, s[46:47]
	s_cbranch_vccnz .LBB166_238
; %bb.234:
	s_andn2_b64 vcc, exec, s[14:15]
	v_mov_b32_e32 v2, 0x80
	s_cbranch_vccnz .LBB166_237
; %bb.235:
	s_or_b64 s[46:47], s[12:13], s[30:31]
	s_andn2_b64 vcc, exec, s[46:47]
	v_mov_b32_e32 v2, 0
	s_cbranch_vccnz .LBB166_237
; %bb.236:
	v_cndmask_b32_e64 v2, v20, v19, s[12:13]
.LBB166_237:
	global_store_byte v[6:7], v2, off
.LBB166_238:
	s_mov_b64 s[46:47], -1
.LBB166_239:
	s_mov_b64 s[48:49], 0
.LBB166_240:
	s_and_b64 vcc, exec, s[48:49]
	s_cbranch_vccz .LBB166_262
; %bb.241:
	v_mov_b32_e32 v2, 22
	v_cmp_gt_i16_sdwa s[52:53], s33, v2 src0_sel:BYTE_0 src1_sel:DWORD
	s_mov_b64 s[48:49], -1
	s_and_b64 vcc, exec, s[52:53]
	s_cbranch_vccz .LBB166_254
; %bb.242:
	v_mov_b32_e32 v2, 24
	v_cmp_lt_i16_sdwa s[48:49], s33, v2 src0_sel:BYTE_0 src1_sel:DWORD
	s_mov_b64 s[46:47], -1
	s_and_b64 vcc, exec, s[48:49]
	s_cbranch_vccnz .LBB166_251
; %bb.243:
	v_cmp_gt_i16_sdwa s[48:49], s33, v2 src0_sel:BYTE_0 src1_sel:DWORD
	s_and_b64 vcc, exec, s[48:49]
	s_cbranch_vccz .LBB166_248
; %bb.244:
	s_andn2_b64 vcc, exec, s[10:11]
	v_mov_b32_e32 v2, 0x80
	s_cbranch_vccnz .LBB166_247
; %bb.245:
	s_or_b64 s[46:47], s[8:9], s[28:29]
	s_andn2_b64 vcc, exec, s[46:47]
	v_mov_b32_e32 v2, 0
	s_cbranch_vccnz .LBB166_247
; %bb.246:
	v_cndmask_b32_e64 v2, v17, v16, s[8:9]
.LBB166_247:
	s_mov_b64 s[46:47], 0
	global_store_byte v[6:7], v2, off
.LBB166_248:
	s_and_b64 vcc, exec, s[46:47]
	s_cbranch_vccz .LBB166_250
; %bb.249:
	v_cndmask_b32_e64 v2, v14, v15, s[6:7]
	v_cndmask_b32_e64 v2, v2, v18, s[4:5]
	global_store_byte v[6:7], v2, off
.LBB166_250:
	s_mov_b64 s[46:47], 0
.LBB166_251:
	s_andn2_b64 vcc, exec, s[46:47]
	s_cbranch_vccnz .LBB166_253
; %bb.252:
	v_cndmask_b32_e64 v2, v11, v12, s[2:3]
	v_cndmask_b32_e64 v2, v2, v13, s[0:1]
	global_store_byte v[6:7], v2, off
.LBB166_253:
	s_mov_b64 s[48:49], 0
	s_mov_b64 s[46:47], -1
.LBB166_254:
	s_andn2_b64 vcc, exec, s[48:49]
	s_cbranch_vccnz .LBB166_262
; %bb.255:
	v_mov_b32_e32 v2, 14
	v_cmp_gt_i16_sdwa s[52:53], s33, v2 src0_sel:BYTE_0 src1_sel:DWORD
	s_mov_b64 s[48:49], -1
	s_and_b64 vcc, exec, s[52:53]
	s_cbranch_vccz .LBB166_259
; %bb.256:
	v_mov_b32_e32 v2, 15
	v_cmp_eq_u16_sdwa s[48:49], s33, v2 src0_sel:BYTE_0 src1_sel:DWORD
	s_mov_b64 s[44:45], -1
	s_and_b64 vcc, exec, s[48:49]
	s_cbranch_vccz .LBB166_258
; %bb.257:
	global_store_short v[6:7], v10, off
	s_mov_b64 s[46:47], -1
	s_mov_b64 s[44:45], 0
.LBB166_258:
	s_mov_b64 s[48:49], 0
.LBB166_259:
	s_and_b64 vcc, exec, s[48:49]
	s_cbranch_vccz .LBB166_262
; %bb.260:
	v_mov_b32_e32 v2, 11
	v_cmp_eq_u16_sdwa s[48:49], s33, v2 src0_sel:BYTE_0 src1_sel:DWORD
	s_mov_b64 s[44:45], -1
	s_and_b64 vcc, exec, s[48:49]
	s_cbranch_vccz .LBB166_262
; %bb.261:
	s_mov_b64 s[46:47], -1
	s_mov_b64 s[44:45], 0
	global_store_byte v[6:7], v9, off
.LBB166_262:
	s_mov_b64 s[48:49], 0
.LBB166_263:
	s_and_b64 vcc, exec, s[48:49]
	s_cbranch_vccz .LBB166_302
; %bb.264:
	v_mov_b32_e32 v2, 5
	v_cmp_lt_i16_sdwa s[48:49], s33, v2 src0_sel:BYTE_0 src1_sel:DWORD
	s_mov_b64 s[46:47], -1
	s_and_b64 vcc, exec, s[48:49]
	s_cbranch_vccnz .LBB166_285
; %bb.265:
	v_mov_b32_e32 v2, 8
	v_cmp_lt_i16_sdwa s[48:49], s33, v2 src0_sel:BYTE_0 src1_sel:DWORD
	s_and_b64 vcc, exec, s[48:49]
	s_cbranch_vccnz .LBB166_275
; %bb.266:
	v_mov_b32_e32 v2, 9
	v_cmp_lt_i16_sdwa s[48:49], s33, v2 src0_sel:BYTE_0 src1_sel:DWORD
	s_and_b64 vcc, exec, s[48:49]
	s_cbranch_vccnz .LBB166_272
; %bb.267:
	v_cmp_gt_i16_sdwa s[48:49], s33, v2 src0_sel:BYTE_0 src1_sel:DWORD
	s_and_b64 vcc, exec, s[48:49]
	s_cbranch_vccz .LBB166_269
; %bb.268:
	v_mov_b32_e32 v2, 0
	v_mov_b32_e32 v3, v2
	s_mov_b64 s[46:47], 0
	global_store_dwordx4 v[6:7], v[0:3], off
.LBB166_269:
	s_andn2_b64 vcc, exec, s[46:47]
	s_cbranch_vccnz .LBB166_271
; %bb.270:
	v_mov_b32_e32 v5, 0
	global_store_dwordx2 v[6:7], v[4:5], off
.LBB166_271:
	s_mov_b64 s[46:47], 0
.LBB166_272:
	s_andn2_b64 vcc, exec, s[46:47]
	s_cbranch_vccnz .LBB166_274
; %bb.273:
	global_store_dword v[6:7], v8, off
.LBB166_274:
	s_mov_b64 s[46:47], 0
.LBB166_275:
	s_andn2_b64 vcc, exec, s[46:47]
	s_cbranch_vccnz .LBB166_284
; %bb.276:
	v_mov_b32_e32 v2, 6
	v_cmp_lt_i16_sdwa s[48:49], s33, v2 src0_sel:BYTE_0 src1_sel:DWORD
	s_mov_b64 s[46:47], -1
	s_and_b64 vcc, exec, s[48:49]
	s_cbranch_vccnz .LBB166_282
; %bb.277:
	v_cmp_gt_i16_sdwa s[48:49], s33, v2 src0_sel:BYTE_0 src1_sel:DWORD
	s_and_b64 vcc, exec, s[48:49]
	s_cbranch_vccz .LBB166_279
; %bb.278:
	s_mov_b64 s[46:47], 0
	global_store_dwordx2 v[6:7], v[0:1], off
.LBB166_279:
	s_andn2_b64 vcc, exec, s[46:47]
	s_cbranch_vccnz .LBB166_281
; %bb.280:
	global_store_dword v[6:7], v4, off
.LBB166_281:
	s_mov_b64 s[46:47], 0
.LBB166_282:
	s_andn2_b64 vcc, exec, s[46:47]
	s_cbranch_vccnz .LBB166_284
; %bb.283:
	global_store_short v[6:7], v8, off
.LBB166_284:
	s_mov_b64 s[46:47], 0
.LBB166_285:
	s_andn2_b64 vcc, exec, s[46:47]
	s_cbranch_vccnz .LBB166_301
; %bb.286:
	v_mov_b32_e32 v2, 2
	v_cmp_lt_i16_sdwa s[48:49], s33, v2 src0_sel:BYTE_0 src1_sel:DWORD
	s_mov_b64 s[46:47], -1
	s_and_b64 vcc, exec, s[48:49]
	s_cbranch_vccnz .LBB166_296
; %bb.287:
	v_mov_b32_e32 v2, 3
	v_cmp_lt_i16_sdwa s[48:49], s33, v2 src0_sel:BYTE_0 src1_sel:DWORD
	s_and_b64 vcc, exec, s[48:49]
	s_cbranch_vccnz .LBB166_293
; %bb.288:
	v_cmp_gt_i16_sdwa s[48:49], s33, v2 src0_sel:BYTE_0 src1_sel:DWORD
	s_and_b64 vcc, exec, s[48:49]
	s_cbranch_vccz .LBB166_290
; %bb.289:
	v_pk_mov_b32 v[2:3], s[26:27], s[26:27] op_sel:[0,1]
	s_mov_b64 s[46:47], 0
	global_store_dwordx2 v[6:7], v[2:3], off
.LBB166_290:
	s_andn2_b64 vcc, exec, s[46:47]
	s_cbranch_vccnz .LBB166_292
; %bb.291:
	v_mov_b32_e32 v2, s23
	global_store_dword v[6:7], v2, off
.LBB166_292:
	s_mov_b64 s[46:47], 0
.LBB166_293:
	s_andn2_b64 vcc, exec, s[46:47]
	s_cbranch_vccnz .LBB166_295
; %bb.294:
	v_mov_b32_e32 v2, s23
	global_store_short v[6:7], v2, off
.LBB166_295:
	s_mov_b64 s[46:47], 0
.LBB166_296:
	s_andn2_b64 vcc, exec, s[46:47]
	s_cbranch_vccnz .LBB166_301
; %bb.297:
	v_mov_b32_e32 v2, 0
	v_cmp_gt_i16_sdwa s[48:49], s33, v2 src0_sel:BYTE_0 src1_sel:DWORD
	s_mov_b64 s[46:47], -1
	s_and_b64 vcc, exec, s[48:49]
	s_cbranch_vccz .LBB166_299
; %bb.298:
	v_mov_b32_e32 v2, s23
	s_mov_b64 s[46:47], 0
	global_store_byte v[6:7], v2, off
.LBB166_299:
	s_andn2_b64 vcc, exec, s[46:47]
	s_cbranch_vccnz .LBB166_301
; %bb.300:
	v_mov_b32_e32 v2, s23
	global_store_byte v[6:7], v2, off
.LBB166_301:
	s_mov_b64 s[46:47], -1
.LBB166_302:
	s_andn2_b64 vcc, exec, s[46:47]
	s_cbranch_vccnz .LBB166_304
; %bb.303:
	v_add_u32_e32 v22, 0x80, v22
	s_mov_b64 s[46:47], -1
	s_branch .LBB166_305
.LBB166_304:
	s_mov_b64 s[46:47], 0
                                        ; implicit-def: $vgpr22
.LBB166_305:
	s_andn2_b64 s[48:49], s[38:39], exec
	s_and_b64 s[44:45], s[44:45], exec
	s_or_b64 s[44:45], s[48:49], s[44:45]
	s_orn2_b64 s[48:49], s[46:47], exec
.LBB166_306:
	s_or_b64 exec, exec, s[42:43]
	s_mov_b64 s[46:47], 0
	s_mov_b64 s[52:53], 0
                                        ; implicit-def: $vgpr23
                                        ; implicit-def: $vgpr6_vgpr7
	s_and_saveexec_b64 s[42:43], s[48:49]
	s_cbranch_execz .LBB166_362
; %bb.307:
	v_cmp_gt_i32_e32 vcc, s50, v22
	s_mov_b64 s[50:51], 0
	s_mov_b64 s[48:49], s[44:45]
                                        ; implicit-def: $vgpr23
                                        ; implicit-def: $vgpr6_vgpr7
	s_and_saveexec_b64 s[46:47], vcc
	s_cbranch_execz .LBB166_361
; %bb.308:
	v_mul_lo_u32 v2, v22, s22
	v_ashrrev_i32_e32 v3, 31, v2
	v_mov_b32_e32 v5, s21
	v_add_co_u32_e32 v6, vcc, s20, v2
	v_mov_b32_e32 v2, 0xff
	v_addc_co_u32_e32 v7, vcc, v5, v3, vcc
	v_and_b32_e32 v23, s33, v2
	v_cmp_gt_i16_e32 vcc, 11, v23
	s_cbranch_vccnz .LBB166_358
; %bb.309:
	v_cmp_lt_i16_e32 vcc, 25, v23
	s_mov_b64 s[50:51], -1
	s_mov_b64 s[48:49], s[44:45]
	s_cbranch_vccz .LBB166_337
; %bb.310:
	v_cmp_lt_i16_e32 vcc, 28, v23
	s_mov_b64 s[48:49], s[44:45]
	s_cbranch_vccz .LBB166_324
; %bb.311:
	v_cmp_lt_i16_e32 vcc, 43, v23
	;; [unrolled: 4-line block ×3, first 2 shown]
	s_mov_b64 s[48:49], s[44:45]
	s_cbranch_vccz .LBB166_316
; %bb.313:
	v_cmp_eq_u16_e32 vcc, 46, v23
	s_mov_b64 s[48:49], -1
	s_cbranch_vccz .LBB166_315
; %bb.314:
	global_store_dword v[6:7], v10, off
	s_mov_b64 s[48:49], 0
.LBB166_315:
	s_mov_b64 s[50:51], 0
.LBB166_316:
	s_and_b64 vcc, exec, s[50:51]
	s_cbranch_vccz .LBB166_319
; %bb.317:
	v_cmp_eq_u16_e32 vcc, 44, v23
	s_mov_b64 s[48:49], -1
	s_cbranch_vccz .LBB166_319
; %bb.318:
	v_mov_b32_e32 v2, 0xff
	v_cndmask_b32_e64 v2, v21, v2, s[16:17]
	global_store_byte v[6:7], v2, off
	s_mov_b64 s[48:49], 0
.LBB166_319:
	s_mov_b64 s[50:51], 0
.LBB166_320:
	s_and_b64 vcc, exec, s[50:51]
	s_cbranch_vccz .LBB166_323
; %bb.321:
	v_cmp_eq_u16_e32 vcc, 29, v23
	s_mov_b64 s[48:49], -1
	s_cbranch_vccz .LBB166_323
; %bb.322:
	v_pk_mov_b32 v[2:3], s[26:27], s[26:27] op_sel:[0,1]
	global_store_dwordx2 v[6:7], v[2:3], off
	s_mov_b64 s[48:49], 0
.LBB166_323:
	s_mov_b64 s[50:51], 0
.LBB166_324:
	s_and_b64 vcc, exec, s[50:51]
	s_cbranch_vccz .LBB166_336
; %bb.325:
	v_cmp_gt_i16_e32 vcc, 27, v23
	s_mov_b64 s[16:17], -1
	s_cbranch_vccnz .LBB166_331
; %bb.326:
	v_cmp_lt_i16_e32 vcc, 27, v23
	s_cbranch_vccz .LBB166_328
; %bb.327:
	v_mov_b32_e32 v2, s23
	s_mov_b64 s[16:17], 0
	global_store_dword v[6:7], v2, off
.LBB166_328:
	s_andn2_b64 vcc, exec, s[16:17]
	s_cbranch_vccnz .LBB166_330
; %bb.329:
	v_mov_b32_e32 v2, s23
	global_store_short v[6:7], v2, off
.LBB166_330:
	s_mov_b64 s[16:17], 0
.LBB166_331:
	s_andn2_b64 vcc, exec, s[16:17]
	s_cbranch_vccnz .LBB166_336
; %bb.332:
	s_andn2_b64 vcc, exec, s[14:15]
	v_mov_b32_e32 v2, 0x80
	s_cbranch_vccnz .LBB166_335
; %bb.333:
	s_or_b64 s[14:15], s[12:13], s[30:31]
	s_andn2_b64 vcc, exec, s[14:15]
	v_mov_b32_e32 v2, 0
	s_cbranch_vccnz .LBB166_335
; %bb.334:
	v_cndmask_b32_e64 v2, v20, v19, s[12:13]
.LBB166_335:
	global_store_byte v[6:7], v2, off
.LBB166_336:
	s_mov_b64 s[50:51], 0
.LBB166_337:
	s_mov_b64 s[12:13], 0
	s_and_b64 vcc, exec, s[50:51]
	s_cbranch_vccz .LBB166_359
; %bb.338:
	v_cmp_lt_i16_e32 vcc, 22, v23
	s_mov_b64 s[14:15], -1
	s_cbranch_vccz .LBB166_351
; %bb.339:
	v_cmp_gt_i16_e32 vcc, 24, v23
	s_cbranch_vccnz .LBB166_348
; %bb.340:
	v_cmp_lt_i16_e32 vcc, 24, v23
	s_cbranch_vccz .LBB166_345
; %bb.341:
	s_andn2_b64 vcc, exec, s[10:11]
	v_mov_b32_e32 v2, 0x80
	s_cbranch_vccnz .LBB166_344
; %bb.342:
	s_or_b64 s[10:11], s[8:9], s[28:29]
	s_andn2_b64 vcc, exec, s[10:11]
	v_mov_b32_e32 v2, 0
	s_cbranch_vccnz .LBB166_344
; %bb.343:
	v_cndmask_b32_e64 v2, v17, v16, s[8:9]
.LBB166_344:
	s_mov_b64 s[14:15], 0
	global_store_byte v[6:7], v2, off
.LBB166_345:
	s_and_b64 vcc, exec, s[14:15]
	s_cbranch_vccz .LBB166_347
; %bb.346:
	v_cndmask_b32_e64 v2, v14, v15, s[6:7]
	v_cndmask_b32_e64 v2, v2, v18, s[4:5]
	global_store_byte v[6:7], v2, off
.LBB166_347:
	s_mov_b64 s[14:15], 0
.LBB166_348:
	s_andn2_b64 vcc, exec, s[14:15]
	s_cbranch_vccnz .LBB166_350
; %bb.349:
	v_cndmask_b32_e64 v2, v11, v12, s[2:3]
	v_cndmask_b32_e64 v2, v2, v13, s[0:1]
	global_store_byte v[6:7], v2, off
.LBB166_350:
	s_mov_b64 s[14:15], 0
.LBB166_351:
	s_andn2_b64 vcc, exec, s[14:15]
	s_mov_b64 s[0:1], 0
	s_cbranch_vccnz .LBB166_360
; %bb.352:
	v_cmp_lt_i16_e32 vcc, 14, v23
	s_mov_b64 s[2:3], -1
	s_cbranch_vccz .LBB166_356
; %bb.353:
	v_cmp_eq_u16_e32 vcc, 15, v23
	s_mov_b64 s[48:49], -1
	s_cbranch_vccz .LBB166_355
; %bb.354:
	global_store_short v[6:7], v10, off
	s_mov_b64 s[48:49], 0
.LBB166_355:
	s_mov_b64 s[2:3], 0
.LBB166_356:
	s_and_b64 vcc, exec, s[2:3]
	s_cbranch_vccz .LBB166_360
; %bb.357:
	v_cmp_ne_u16_e32 vcc, 11, v23
	s_andn2_b64 s[2:3], s[48:49], exec
	s_and_b64 s[4:5], vcc, exec
	s_mov_b64 s[0:1], -1
	s_or_b64 s[48:49], s[2:3], s[4:5]
	s_branch .LBB166_360
.LBB166_358:
	s_mov_b64 s[0:1], 0
	s_mov_b64 s[12:13], -1
	s_mov_b64 s[48:49], s[44:45]
	s_branch .LBB166_360
.LBB166_359:
	s_mov_b64 s[0:1], 0
.LBB166_360:
	s_and_b64 s[50:51], s[0:1], exec
	s_andn2_b64 s[0:1], s[44:45], exec
	s_and_b64 s[2:3], s[48:49], exec
	s_and_b64 s[52:53], s[12:13], exec
	s_or_b64 s[48:49], s[0:1], s[2:3]
.LBB166_361:
	s_or_b64 exec, exec, s[46:47]
	s_andn2_b64 s[0:1], s[44:45], exec
	s_and_b64 s[2:3], s[48:49], exec
	s_and_b64 s[52:53], s[52:53], exec
	;; [unrolled: 1-line block ×3, first 2 shown]
	s_or_b64 s[44:45], s[0:1], s[2:3]
.LBB166_362:
	s_or_b64 exec, exec, s[42:43]
	s_andn2_b64 s[0:1], s[38:39], exec
	s_and_b64 s[2:3], s[44:45], exec
	s_and_b64 s[42:43], s[52:53], exec
	;; [unrolled: 1-line block ×3, first 2 shown]
	s_or_b64 s[38:39], s[0:1], s[2:3]
.LBB166_363:
	s_or_b64 exec, exec, s[40:41]
	s_andn2_b64 s[0:1], s[34:35], exec
	s_and_b64 s[2:3], s[38:39], exec
	s_and_b64 s[42:43], s[42:43], exec
	;; [unrolled: 1-line block ×3, first 2 shown]
	s_or_b64 s[34:35], s[0:1], s[2:3]
	s_or_b64 exec, exec, s[36:37]
	s_mov_b64 s[0:1], 0
	s_and_saveexec_b64 s[2:3], s[34:35]
	s_cbranch_execz .LBB166_110
.LBB166_364:
	s_mov_b64 s[0:1], exec
	s_andn2_b64 s[40:41], s[40:41], exec
	s_trap 2
	s_or_b64 exec, exec, s[2:3]
	s_and_saveexec_b64 s[2:3], s[40:41]
	s_xor_b64 s[2:3], exec, s[2:3]
	s_cbranch_execnz .LBB166_111
.LBB166_365:
	s_or_b64 exec, exec, s[2:3]
	s_and_saveexec_b64 s[2:3], s[42:43]
	s_xor_b64 s[2:3], exec, s[2:3]
	s_cbranch_execz .LBB166_403
.LBB166_366:
	v_cmp_gt_i16_e32 vcc, 5, v23
	s_mov_b64 s[4:5], -1
	s_cbranch_vccnz .LBB166_387
; %bb.367:
	v_cmp_gt_i16_e32 vcc, 8, v23
	s_cbranch_vccnz .LBB166_377
; %bb.368:
	v_cmp_gt_i16_e32 vcc, 9, v23
	s_cbranch_vccnz .LBB166_374
; %bb.369:
	v_cmp_lt_i16_e32 vcc, 9, v23
	s_cbranch_vccz .LBB166_371
; %bb.370:
	v_mov_b32_e32 v2, 0
	v_mov_b32_e32 v3, v2
	s_mov_b64 s[4:5], 0
	global_store_dwordx4 v[6:7], v[0:3], off
.LBB166_371:
	s_andn2_b64 vcc, exec, s[4:5]
	s_cbranch_vccnz .LBB166_373
; %bb.372:
	v_mov_b32_e32 v5, 0
	global_store_dwordx2 v[6:7], v[4:5], off
.LBB166_373:
	s_mov_b64 s[4:5], 0
.LBB166_374:
	s_andn2_b64 vcc, exec, s[4:5]
	s_cbranch_vccnz .LBB166_376
; %bb.375:
	global_store_dword v[6:7], v8, off
.LBB166_376:
	s_mov_b64 s[4:5], 0
.LBB166_377:
	s_andn2_b64 vcc, exec, s[4:5]
	s_cbranch_vccnz .LBB166_386
; %bb.378:
	v_cmp_gt_i16_e32 vcc, 6, v23
	s_mov_b64 s[4:5], -1
	s_cbranch_vccnz .LBB166_384
; %bb.379:
	v_cmp_lt_i16_e32 vcc, 6, v23
	s_cbranch_vccz .LBB166_381
; %bb.380:
	s_mov_b64 s[4:5], 0
	global_store_dwordx2 v[6:7], v[0:1], off
.LBB166_381:
	s_andn2_b64 vcc, exec, s[4:5]
	s_cbranch_vccnz .LBB166_383
; %bb.382:
	global_store_dword v[6:7], v4, off
.LBB166_383:
	s_mov_b64 s[4:5], 0
.LBB166_384:
	s_andn2_b64 vcc, exec, s[4:5]
	s_cbranch_vccnz .LBB166_386
; %bb.385:
	global_store_short v[6:7], v8, off
.LBB166_386:
	s_mov_b64 s[4:5], 0
.LBB166_387:
	s_andn2_b64 vcc, exec, s[4:5]
	s_cbranch_vccnz .LBB166_403
; %bb.388:
	v_cmp_gt_i16_e32 vcc, 2, v23
	s_mov_b64 s[4:5], -1
	s_cbranch_vccnz .LBB166_398
; %bb.389:
	v_cmp_gt_i16_e32 vcc, 3, v23
	s_cbranch_vccnz .LBB166_395
; %bb.390:
	v_cmp_lt_i16_e32 vcc, 3, v23
	s_cbranch_vccz .LBB166_392
; %bb.391:
	v_pk_mov_b32 v[0:1], s[26:27], s[26:27] op_sel:[0,1]
	s_mov_b64 s[4:5], 0
	global_store_dwordx2 v[6:7], v[0:1], off
.LBB166_392:
	s_andn2_b64 vcc, exec, s[4:5]
	s_cbranch_vccnz .LBB166_394
; %bb.393:
	v_mov_b32_e32 v0, s23
	global_store_dword v[6:7], v0, off
.LBB166_394:
	s_mov_b64 s[4:5], 0
.LBB166_395:
	s_andn2_b64 vcc, exec, s[4:5]
	s_cbranch_vccnz .LBB166_397
; %bb.396:
	v_mov_b32_e32 v0, s23
	global_store_short v[6:7], v0, off
.LBB166_397:
	s_mov_b64 s[4:5], 0
.LBB166_398:
	s_andn2_b64 vcc, exec, s[4:5]
	s_cbranch_vccnz .LBB166_403
; %bb.399:
	v_cmp_lt_i16_e32 vcc, 0, v23
	s_mov_b64 s[4:5], -1
	s_cbranch_vccz .LBB166_401
; %bb.400:
	v_mov_b32_e32 v0, s23
	s_mov_b64 s[4:5], 0
	global_store_byte v[6:7], v0, off
.LBB166_401:
	s_andn2_b64 vcc, exec, s[4:5]
	s_cbranch_vccnz .LBB166_403
; %bb.402:
	v_mov_b32_e32 v0, s23
	global_store_byte v[6:7], v0, off
.LBB166_403:
	s_or_b64 exec, exec, s[2:3]
	s_and_b64 s[0:1], s[0:1], exec
                                        ; implicit-def: $vgpr22
.LBB166_404:
	s_or_saveexec_b64 s[2:3], s[24:25]
	s_mov_b64 s[6:7], 0
                                        ; implicit-def: $vgpr2
                                        ; implicit-def: $vgpr0_vgpr1
	s_xor_b64 exec, exec, s[2:3]
	s_cbranch_execz .LBB166_412
; %bb.405:
	v_mul_lo_u32 v2, s22, v22
	v_ashrrev_i32_e32 v1, 31, v2
	v_mov_b32_e32 v3, s21
	v_add_co_u32_e32 v0, vcc, s20, v2
	v_addc_co_u32_e32 v1, vcc, v3, v1, vcc
	v_mov_b32_e32 v3, 11
	v_cmp_lt_i16_sdwa s[4:5], s33, v3 src0_sel:BYTE_0 src1_sel:DWORD
	s_and_b64 vcc, exec, s[4:5]
	s_cbranch_vccnz .LBB166_415
; %bb.406:
	v_mov_b32_e32 v3, 25
	v_cmp_gt_i16_sdwa s[4:5], s33, v3 src0_sel:BYTE_0 src1_sel:DWORD
	s_mov_b64 s[10:11], -1
	s_and_b64 vcc, exec, s[4:5]
	s_mov_b64 s[8:9], 0
	s_mov_b64 s[4:5], 0
	s_cbranch_vccz .LBB166_447
; %bb.407:
	v_mov_b32_e32 v3, 28
	v_cmp_gt_i16_sdwa s[4:5], s33, v3 src0_sel:BYTE_0 src1_sel:DWORD
	s_and_b64 vcc, exec, s[4:5]
	s_cbranch_vccz .LBB166_417
; %bb.408:
	v_mov_b32_e32 v3, 43
	v_cmp_gt_i16_sdwa s[4:5], s33, v3 src0_sel:BYTE_0 src1_sel:DWORD
	s_and_b64 vcc, exec, s[4:5]
	;; [unrolled: 5-line block ×3, first 2 shown]
	s_cbranch_vccz .LBB166_419
; %bb.410:
	v_mov_b32_e32 v3, 46
	v_cmp_eq_u16_sdwa s[8:9], s33, v3 src0_sel:BYTE_0 src1_sel:DWORD
	s_mov_b64 s[4:5], -1
	s_mov_b64 s[10:11], 0
	s_and_b64 vcc, exec, s[8:9]
	s_mov_b64 s[8:9], 0
	s_cbranch_vccz .LBB166_420
; %bb.411:
	v_cvt_f32_u32_e32 v3, s23
	s_mov_b64 s[4:5], 0
	s_mov_b64 s[8:9], -1
	v_bfe_u32 v4, v3, 16, 1
	v_add_u32_e32 v3, v3, v4
	v_add_u32_e32 v3, 0x7fff, v3
	v_lshrrev_b32_e32 v3, 16, v3
	global_store_dword v[0:1], v3, off
	s_branch .LBB166_420
.LBB166_412:
	s_or_b64 exec, exec, s[2:3]
	s_and_saveexec_b64 s[2:3], s[0:1]
	s_cbranch_execz .LBB166_841
.LBB166_413:
	; divergent unreachable
	s_or_b64 exec, exec, s[2:3]
	s_and_saveexec_b64 s[0:1], s[18:19]
	s_xor_b64 s[0:1], exec, s[0:1]
	s_cbranch_execnz .LBB166_842
.LBB166_414:
	s_or_b64 exec, exec, s[0:1]
	s_and_saveexec_b64 s[0:1], s[6:7]
	s_cbranch_execnz .LBB166_843
	s_branch .LBB166_880
.LBB166_415:
	s_mov_b64 s[8:9], 0
	s_mov_b64 s[4:5], s[0:1]
	s_cbranch_execnz .LBB166_497
.LBB166_416:
	s_andn2_b64 vcc, exec, s[8:9]
	s_cbranch_vccz .LBB166_535
	s_branch .LBB166_839
.LBB166_417:
	s_mov_b64 s[4:5], 0
	s_and_b64 vcc, exec, s[10:11]
	s_cbranch_vccz .LBB166_446
	s_branch .LBB166_429
.LBB166_418:
	s_mov_b64 s[4:5], 0
	s_and_b64 vcc, exec, s[10:11]
	s_cbranch_vccnz .LBB166_426
	s_branch .LBB166_428
.LBB166_419:
	s_mov_b64 s[4:5], 0
.LBB166_420:
	s_and_b64 vcc, exec, s[10:11]
	s_cbranch_vccz .LBB166_425
; %bb.421:
	v_mov_b32_e32 v3, 44
	v_cmp_eq_u16_sdwa s[10:11], s33, v3 src0_sel:BYTE_0 src1_sel:DWORD
	s_mov_b64 s[4:5], -1
	s_and_b64 vcc, exec, s[10:11]
	s_cbranch_vccz .LBB166_425
; %bb.422:
	v_cvt_f32_u32_e32 v3, s23
	v_readfirstlane_b32 s5, v3
	s_lshr_b32 s4, s5, 23
	s_cmpk_eq_i32 s4, 0xff
	v_mov_b32_e32 v3, 0xff
	s_cbranch_scc1 .LBB166_424
; %bb.423:
	s_bitcmp1_b32 s5, 22
	s_cselect_b64 s[8:9], -1, 0
	s_and_b32 s5, s5, 0x3fffff
	s_or_b32 s5, s4, s5
	s_cmp_lg_u32 s5, 0
	s_cselect_b64 s[10:11], -1, 0
	s_and_b64 s[8:9], s[8:9], s[10:11]
	v_cndmask_b32_e64 v3, 0, 1, s[8:9]
	v_add_u32_e32 v3, s4, v3
.LBB166_424:
	s_mov_b64 s[4:5], 0
	s_mov_b64 s[8:9], -1
	global_store_byte v[0:1], v3, off
.LBB166_425:
	s_branch .LBB166_428
.LBB166_426:
	v_mov_b32_e32 v3, 29
	v_cmp_eq_u16_sdwa s[10:11], s33, v3 src0_sel:BYTE_0 src1_sel:DWORD
	s_mov_b64 s[4:5], -1
	s_and_b64 vcc, exec, s[10:11]
	s_cbranch_vccz .LBB166_428
; %bb.427:
	v_mov_b32_e32 v4, s23
	v_mov_b32_e32 v5, 0
	global_store_dwordx2 v[0:1], v[4:5], off
	s_mov_b64 s[4:5], 0
	s_mov_b64 s[8:9], -1
.LBB166_428:
	s_branch .LBB166_446
.LBB166_429:
	v_mov_b32_e32 v3, 27
	v_cmp_lt_i16_sdwa s[10:11], s33, v3 src0_sel:BYTE_0 src1_sel:DWORD
	s_mov_b64 s[8:9], -1
	s_and_b64 vcc, exec, s[10:11]
	s_cbranch_vccnz .LBB166_435
; %bb.430:
	v_cmp_gt_i16_sdwa s[10:11], s33, v3 src0_sel:BYTE_0 src1_sel:DWORD
	s_and_b64 vcc, exec, s[10:11]
	s_cbranch_vccz .LBB166_432
; %bb.431:
	v_mov_b32_e32 v3, s23
	s_mov_b64 s[8:9], 0
	global_store_dword v[0:1], v3, off
.LBB166_432:
	s_andn2_b64 vcc, exec, s[8:9]
	s_cbranch_vccnz .LBB166_434
; %bb.433:
	v_mov_b32_e32 v3, s23
	global_store_short v[0:1], v3, off
.LBB166_434:
	s_mov_b64 s[8:9], 0
.LBB166_435:
	s_andn2_b64 vcc, exec, s[8:9]
	s_cbranch_vccnz .LBB166_445
; %bb.436:
	v_cvt_f32_u32_e32 v3, s23
	s_mov_b32 s9, 0x437fffff
	v_mov_b32_e32 v5, 0x80
	v_cmp_lt_u32_e32 vcc, s9, v3
	v_readfirstlane_b32 s8, v3
	s_cbranch_vccnz .LBB166_444
; %bb.437:
	s_cmp_gt_u32 s8, 0x3bffffff
	s_cbranch_scc0 .LBB166_439
; %bb.438:
	s_bfe_u32 s9, s8, 0x10014
	s_add_i32 s8, s8, s9
	s_add_i32 s8, s8, 0x487ffff
	s_lshr_b32 s12, s8, 20
	s_mov_b64 s[10:11], 0
	s_mov_b64 s[8:9], -1
	s_branch .LBB166_440
.LBB166_439:
	s_mov_b64 s[10:11], -1
	s_mov_b64 s[8:9], 0
                                        ; implicit-def: $sgpr12
.LBB166_440:
	s_andn2_b64 vcc, exec, s[10:11]
	v_mov_b32_e32 v4, s12
                                        ; implicit-def: $sgpr10
	s_cbranch_vccnz .LBB166_442
; %bb.441:
	v_add_f32_e32 v3, 0x46000000, v3
	v_and_b32_e32 v4, 0xff, v3
	s_mov_b32 s10, 0
	v_cmp_ne_u32_e64 s[8:9], 0, v4
.LBB166_442:
	s_andn2_b64 vcc, exec, s[8:9]
	v_mov_b32_e32 v5, s10
	s_cbranch_vccnz .LBB166_444
; %bb.443:
	v_mov_b32_e32 v5, v4
.LBB166_444:
	global_store_byte v[0:1], v5, off
.LBB166_445:
	s_mov_b64 s[8:9], -1
.LBB166_446:
	s_mov_b64 s[10:11], 0
.LBB166_447:
	s_and_b64 vcc, exec, s[10:11]
	s_cbranch_vccz .LBB166_493
; %bb.448:
	v_mov_b32_e32 v3, 22
	v_cmp_gt_i16_sdwa s[10:11], s33, v3 src0_sel:BYTE_0 src1_sel:DWORD
	s_mov_b64 s[6:7], -1
	s_and_b64 vcc, exec, s[10:11]
	s_cbranch_vccz .LBB166_486
; %bb.449:
	v_mov_b32_e32 v3, 24
	v_cmp_lt_i16_sdwa s[8:9], s33, v3 src0_sel:BYTE_0 src1_sel:DWORD
	s_and_b64 vcc, exec, s[8:9]
	s_cbranch_vccnz .LBB166_473
; %bb.450:
	v_cmp_gt_i16_sdwa s[8:9], s33, v3 src0_sel:BYTE_0 src1_sel:DWORD
	s_and_b64 vcc, exec, s[8:9]
	s_cbranch_vccz .LBB166_460
; %bb.451:
	v_cvt_f32_u32_e32 v3, s23
	s_mov_b32 s7, 0x477fffff
	v_mov_b32_e32 v5, 0x80
	v_cmp_lt_u32_e32 vcc, s7, v3
	v_readfirstlane_b32 s6, v3
	s_cbranch_vccnz .LBB166_459
; %bb.452:
	s_cmp_gt_u32 s6, 0x37ffffff
	s_cbranch_scc0 .LBB166_454
; %bb.453:
	s_bfe_u32 s7, s6, 0x10015
	s_add_i32 s6, s6, s7
	s_add_i32 s6, s6, 0x88fffff
	s_lshr_b32 s10, s6, 21
	s_mov_b64 s[8:9], 0
	s_mov_b64 s[6:7], -1
	s_branch .LBB166_455
.LBB166_454:
	s_mov_b64 s[8:9], -1
	s_mov_b64 s[6:7], 0
                                        ; implicit-def: $sgpr10
.LBB166_455:
	s_andn2_b64 vcc, exec, s[8:9]
	v_mov_b32_e32 v4, s10
                                        ; implicit-def: $sgpr8
	s_cbranch_vccnz .LBB166_457
; %bb.456:
	v_add_f32_e32 v3, 0x42800000, v3
	v_and_b32_e32 v4, 0xff, v3
	s_mov_b32 s8, 0
	v_cmp_ne_u32_e64 s[6:7], 0, v4
.LBB166_457:
	s_andn2_b64 vcc, exec, s[6:7]
	v_mov_b32_e32 v5, s8
	s_cbranch_vccnz .LBB166_459
; %bb.458:
	v_mov_b32_e32 v5, v4
.LBB166_459:
	s_mov_b64 s[6:7], 0
	global_store_byte v[0:1], v5, off
.LBB166_460:
	s_and_b64 vcc, exec, s[6:7]
	s_cbranch_vccz .LBB166_472
; %bb.461:
	v_cvt_f32_u32_e32 v3, s23
	s_mov_b32 s6, 0x43f00000
	v_cmp_gt_u32_e32 vcc, s6, v3
	v_readfirstlane_b32 s8, v3
	s_cbranch_vccz .LBB166_464
; %bb.462:
	s_cmp_gt_u32 s8, 0x3c7fffff
	s_cbranch_scc0 .LBB166_465
; %bb.463:
	s_bfe_u32 s6, s8, 0x10014
	s_add_i32 s6, s8, s6
	s_add_i32 s6, s6, 0x407ffff
	s_lshr_b32 s7, s6, 20
	s_and_b32 s6, s6, 0xff00000
	s_cmp_lg_u32 s6, 0x7f00000
	s_cselect_b32 s9, s7, 0x7e
	s_mov_b64 s[6:7], 0
	s_branch .LBB166_466
.LBB166_464:
	s_mov_b64 s[6:7], -1
                                        ; implicit-def: $vgpr4
	s_branch .LBB166_469
.LBB166_465:
	s_mov_b64 s[6:7], -1
                                        ; implicit-def: $sgpr9
.LBB166_466:
	s_andn2_b64 vcc, exec, s[6:7]
	v_mov_b32_e32 v4, s9
	s_cbranch_vccnz .LBB166_468
; %bb.467:
	v_add_f32_e32 v4, 0x46800000, v3
.LBB166_468:
	s_mov_b64 s[6:7], 0
.LBB166_469:
	s_andn2_b64 vcc, exec, s[6:7]
	s_cbranch_vccnz .LBB166_471
; %bb.470:
	s_cmp_gt_u32 s8, 0x7f800000
	s_movk_i32 s6, 0x7f
	s_cselect_b32 s6, s6, 0x7e
	v_mov_b32_e32 v4, s6
.LBB166_471:
	global_store_byte v[0:1], v4, off
.LBB166_472:
	s_mov_b64 s[6:7], 0
.LBB166_473:
	s_andn2_b64 vcc, exec, s[6:7]
	s_cbranch_vccnz .LBB166_485
; %bb.474:
	v_cvt_f32_u32_e32 v3, s23
	s_mov_b32 s6, 0x47800000
	v_cmp_gt_u32_e32 vcc, s6, v3
	v_readfirstlane_b32 s8, v3
	s_cbranch_vccz .LBB166_477
; %bb.475:
	s_cmp_gt_u32 s8, 0x387fffff
	s_cbranch_scc0 .LBB166_478
; %bb.476:
	s_bfe_u32 s6, s8, 0x10015
	s_add_i32 s6, s8, s6
	s_add_i32 s6, s6, 0x80fffff
	s_lshr_b32 s9, s6, 21
	s_mov_b64 s[6:7], 0
	s_branch .LBB166_479
.LBB166_477:
	s_mov_b64 s[6:7], -1
                                        ; implicit-def: $vgpr4
	s_branch .LBB166_482
.LBB166_478:
	s_mov_b64 s[6:7], -1
                                        ; implicit-def: $sgpr9
.LBB166_479:
	s_andn2_b64 vcc, exec, s[6:7]
	v_mov_b32_e32 v4, s9
	s_cbranch_vccnz .LBB166_481
; %bb.480:
	v_add_f32_e32 v4, 0x43000000, v3
.LBB166_481:
	s_mov_b64 s[6:7], 0
.LBB166_482:
	s_andn2_b64 vcc, exec, s[6:7]
	s_cbranch_vccnz .LBB166_484
; %bb.483:
	s_cmp_gt_u32 s8, 0x7f800000
	s_movk_i32 s6, 0x7f
	s_cselect_b32 s6, s6, 0x7c
	v_mov_b32_e32 v4, s6
.LBB166_484:
	global_store_byte v[0:1], v4, off
.LBB166_485:
	s_mov_b64 s[6:7], 0
	s_mov_b64 s[8:9], -1
.LBB166_486:
	s_andn2_b64 vcc, exec, s[6:7]
	s_mov_b64 s[6:7], 0
	s_cbranch_vccnz .LBB166_493
; %bb.487:
	v_mov_b32_e32 v3, 14
	v_cmp_gt_i16_sdwa s[6:7], s33, v3 src0_sel:BYTE_0 src1_sel:DWORD
	s_mov_b64 s[10:11], -1
	s_and_b64 vcc, exec, s[6:7]
	s_cbranch_vccz .LBB166_491
; %bb.488:
	v_mov_b32_e32 v3, 15
	v_cmp_eq_u16_sdwa s[6:7], s33, v3 src0_sel:BYTE_0 src1_sel:DWORD
	s_mov_b64 s[4:5], -1
	s_and_b64 vcc, exec, s[6:7]
	s_cbranch_vccz .LBB166_490
; %bb.489:
	v_cvt_f32_u32_e32 v3, s23
	s_mov_b64 s[4:5], 0
	s_mov_b64 s[8:9], -1
	v_bfe_u32 v4, v3, 16, 1
	v_add_u32_e32 v3, v3, v4
	v_add_u32_e32 v3, 0x7fff, v3
	global_store_short_d16_hi v[0:1], v3, off
.LBB166_490:
	s_mov_b64 s[10:11], 0
.LBB166_491:
	s_mov_b64 s[6:7], 0
	s_and_b64 vcc, exec, s[10:11]
	s_cbranch_vccz .LBB166_493
; %bb.492:
	v_mov_b32_e32 v3, 11
	v_cmp_ne_u16_sdwa s[4:5], s33, v3 src0_sel:BYTE_0 src1_sel:DWORD
	s_mov_b64 s[6:7], -1
.LBB166_493:
	s_and_b64 vcc, exec, s[4:5]
	s_mov_b64 s[4:5], s[0:1]
	s_cbranch_vccnz .LBB166_546
; %bb.494:
	s_andn2_b64 vcc, exec, s[6:7]
	s_cbranch_vccnz .LBB166_496
.LBB166_495:
	s_cmp_lg_u32 s23, 0
	s_cselect_b64 s[6:7], -1, 0
	v_cndmask_b32_e64 v3, 0, 1, s[6:7]
	s_mov_b64 s[8:9], -1
	global_store_byte v[0:1], v3, off
.LBB166_496:
	s_branch .LBB166_416
.LBB166_497:
	v_mov_b32_e32 v3, 5
	v_cmp_lt_i16_sdwa s[8:9], s33, v3 src0_sel:BYTE_0 src1_sel:DWORD
	s_mov_b64 s[6:7], -1
	s_and_b64 vcc, exec, s[8:9]
	s_cbranch_vccnz .LBB166_518
; %bb.498:
	v_mov_b32_e32 v3, 8
	v_cmp_lt_i16_sdwa s[8:9], s33, v3 src0_sel:BYTE_0 src1_sel:DWORD
	s_and_b64 vcc, exec, s[8:9]
	s_cbranch_vccnz .LBB166_508
; %bb.499:
	v_mov_b32_e32 v3, 9
	v_cmp_lt_i16_sdwa s[8:9], s33, v3 src0_sel:BYTE_0 src1_sel:DWORD
	s_and_b64 vcc, exec, s[8:9]
	s_cbranch_vccnz .LBB166_505
; %bb.500:
	v_cmp_gt_i16_sdwa s[8:9], s33, v3 src0_sel:BYTE_0 src1_sel:DWORD
	s_and_b64 vcc, exec, s[8:9]
	s_cbranch_vccz .LBB166_502
; %bb.501:
	v_mov_b32_e32 v6, 0
	v_cvt_f64_u32_e32 v[4:5], s23
	v_mov_b32_e32 v7, v6
	global_store_dwordx4 v[0:1], v[4:7], off
	s_mov_b64 s[6:7], 0
.LBB166_502:
	s_andn2_b64 vcc, exec, s[6:7]
	s_cbranch_vccnz .LBB166_504
; %bb.503:
	v_cvt_f32_u32_e32 v4, s23
	v_mov_b32_e32 v5, 0
	global_store_dwordx2 v[0:1], v[4:5], off
.LBB166_504:
	s_mov_b64 s[6:7], 0
.LBB166_505:
	s_andn2_b64 vcc, exec, s[6:7]
	s_cbranch_vccnz .LBB166_507
; %bb.506:
	v_cvt_f32_u32_e32 v3, s23
	v_cvt_f16_f32_e32 v3, v3
	global_store_dword v[0:1], v3, off
.LBB166_507:
	s_mov_b64 s[6:7], 0
.LBB166_508:
	s_andn2_b64 vcc, exec, s[6:7]
	s_cbranch_vccnz .LBB166_517
; %bb.509:
	v_mov_b32_e32 v3, 6
	v_cmp_lt_i16_sdwa s[8:9], s33, v3 src0_sel:BYTE_0 src1_sel:DWORD
	s_mov_b64 s[6:7], -1
	s_and_b64 vcc, exec, s[8:9]
	s_cbranch_vccnz .LBB166_515
; %bb.510:
	v_cmp_gt_i16_sdwa s[8:9], s33, v3 src0_sel:BYTE_0 src1_sel:DWORD
	s_and_b64 vcc, exec, s[8:9]
	s_cbranch_vccz .LBB166_512
; %bb.511:
	v_cvt_f64_u32_e32 v[4:5], s23
	global_store_dwordx2 v[0:1], v[4:5], off
	s_mov_b64 s[6:7], 0
.LBB166_512:
	s_andn2_b64 vcc, exec, s[6:7]
	s_cbranch_vccnz .LBB166_514
; %bb.513:
	v_cvt_f32_u32_e32 v3, s23
	global_store_dword v[0:1], v3, off
.LBB166_514:
	s_mov_b64 s[6:7], 0
.LBB166_515:
	s_andn2_b64 vcc, exec, s[6:7]
	s_cbranch_vccnz .LBB166_517
; %bb.516:
	v_cvt_f32_u32_e32 v3, s23
	v_cvt_f16_f32_e32 v3, v3
	global_store_short v[0:1], v3, off
.LBB166_517:
	s_mov_b64 s[6:7], 0
.LBB166_518:
	s_andn2_b64 vcc, exec, s[6:7]
	s_cbranch_vccnz .LBB166_534
; %bb.519:
	v_mov_b32_e32 v3, 2
	v_cmp_lt_i16_sdwa s[8:9], s33, v3 src0_sel:BYTE_0 src1_sel:DWORD
	s_mov_b64 s[6:7], -1
	s_and_b64 vcc, exec, s[8:9]
	s_cbranch_vccnz .LBB166_529
; %bb.520:
	v_mov_b32_e32 v3, 3
	v_cmp_lt_i16_sdwa s[8:9], s33, v3 src0_sel:BYTE_0 src1_sel:DWORD
	s_and_b64 vcc, exec, s[8:9]
	s_cbranch_vccnz .LBB166_526
; %bb.521:
	v_cmp_gt_i16_sdwa s[8:9], s33, v3 src0_sel:BYTE_0 src1_sel:DWORD
	s_and_b64 vcc, exec, s[8:9]
	s_cbranch_vccz .LBB166_523
; %bb.522:
	v_mov_b32_e32 v4, s23
	v_mov_b32_e32 v5, 0
	global_store_dwordx2 v[0:1], v[4:5], off
	s_mov_b64 s[6:7], 0
.LBB166_523:
	s_andn2_b64 vcc, exec, s[6:7]
	s_cbranch_vccnz .LBB166_525
; %bb.524:
	v_mov_b32_e32 v3, s23
	global_store_dword v[0:1], v3, off
.LBB166_525:
	s_mov_b64 s[6:7], 0
.LBB166_526:
	s_andn2_b64 vcc, exec, s[6:7]
	s_cbranch_vccnz .LBB166_528
; %bb.527:
	v_mov_b32_e32 v3, s23
	global_store_short v[0:1], v3, off
.LBB166_528:
	s_mov_b64 s[6:7], 0
.LBB166_529:
	s_andn2_b64 vcc, exec, s[6:7]
	s_cbranch_vccnz .LBB166_534
; %bb.530:
	v_mov_b32_e32 v3, 0
	v_cmp_gt_i16_sdwa s[8:9], s33, v3 src0_sel:BYTE_0 src1_sel:DWORD
	s_mov_b64 s[6:7], -1
	s_and_b64 vcc, exec, s[8:9]
	s_cbranch_vccz .LBB166_532
; %bb.531:
	v_mov_b32_e32 v3, s23
	global_store_byte v[0:1], v3, off
	s_mov_b64 s[6:7], 0
.LBB166_532:
	s_andn2_b64 vcc, exec, s[6:7]
	s_cbranch_vccnz .LBB166_534
; %bb.533:
	v_mov_b32_e32 v3, s23
	global_store_byte v[0:1], v3, off
.LBB166_534:
.LBB166_535:
	s_lshl_b32 s14, s22, 7
	v_add_u32_e32 v2, s14, v2
	v_ashrrev_i32_e32 v1, 31, v2
	v_mov_b32_e32 v3, s21
	v_add_co_u32_e32 v0, vcc, s20, v2
	v_addc_co_u32_e32 v1, vcc, v3, v1, vcc
	v_mov_b32_e32 v3, 11
	v_cmp_lt_i16_sdwa s[6:7], s33, v3 src0_sel:BYTE_0 src1_sel:DWORD
	s_and_b64 vcc, exec, s[6:7]
	s_cbranch_vccnz .LBB166_542
; %bb.536:
	v_mov_b32_e32 v3, 25
	v_cmp_gt_i16_sdwa s[6:7], s33, v3 src0_sel:BYTE_0 src1_sel:DWORD
	s_mov_b64 s[12:13], -1
	s_mov_b64 s[8:9], 0
	s_and_b64 vcc, exec, s[6:7]
	s_mov_b64 s[10:11], 0
	s_mov_b64 s[6:7], 0
	s_cbranch_vccz .LBB166_577
; %bb.537:
	v_mov_b32_e32 v3, 28
	v_cmp_gt_i16_sdwa s[6:7], s33, v3 src0_sel:BYTE_0 src1_sel:DWORD
	s_and_b64 vcc, exec, s[6:7]
	s_cbranch_vccz .LBB166_544
; %bb.538:
	v_mov_b32_e32 v3, 43
	v_cmp_gt_i16_sdwa s[6:7], s33, v3 src0_sel:BYTE_0 src1_sel:DWORD
	s_and_b64 vcc, exec, s[6:7]
	;; [unrolled: 5-line block ×3, first 2 shown]
	s_cbranch_vccz .LBB166_547
; %bb.540:
	v_mov_b32_e32 v3, 46
	v_cmp_eq_u16_sdwa s[10:11], s33, v3 src0_sel:BYTE_0 src1_sel:DWORD
	s_mov_b64 s[6:7], -1
	s_mov_b64 s[12:13], 0
	s_and_b64 vcc, exec, s[10:11]
	s_mov_b64 s[10:11], 0
	s_cbranch_vccz .LBB166_548
; %bb.541:
	v_cvt_f32_u32_e32 v3, s23
	s_mov_b64 s[6:7], 0
	s_mov_b64 s[10:11], -1
	v_bfe_u32 v4, v3, 16, 1
	v_add_u32_e32 v3, v3, v4
	v_add_u32_e32 v3, 0x7fff, v3
	v_lshrrev_b32_e32 v3, 16, v3
	global_store_dword v[0:1], v3, off
	s_branch .LBB166_548
.LBB166_542:
	s_mov_b64 s[10:11], 0
	s_cbranch_execnz .LBB166_627
.LBB166_543:
	s_andn2_b64 vcc, exec, s[10:11]
	s_cbranch_vccz .LBB166_665
	s_branch .LBB166_839
.LBB166_544:
	s_mov_b64 s[6:7], 0
	s_branch .LBB166_558
.LBB166_545:
	s_mov_b64 s[6:7], 0
	s_branch .LBB166_554
.LBB166_546:
	s_or_b64 s[4:5], s[0:1], exec
	s_trap 2
	s_cbranch_execz .LBB166_495
	s_branch .LBB166_496
.LBB166_547:
	s_mov_b64 s[6:7], 0
.LBB166_548:
	s_and_b64 vcc, exec, s[12:13]
	s_cbranch_vccz .LBB166_553
; %bb.549:
	v_mov_b32_e32 v3, 44
	v_cmp_eq_u16_sdwa s[12:13], s33, v3 src0_sel:BYTE_0 src1_sel:DWORD
	s_mov_b64 s[6:7], -1
	s_and_b64 vcc, exec, s[12:13]
	s_cbranch_vccz .LBB166_553
; %bb.550:
	v_cvt_f32_u32_e32 v3, s23
	v_readfirstlane_b32 s7, v3
	s_lshr_b32 s6, s7, 23
	s_cmpk_eq_i32 s6, 0xff
	v_mov_b32_e32 v3, 0xff
	s_cbranch_scc1 .LBB166_552
; %bb.551:
	s_bitcmp1_b32 s7, 22
	s_cselect_b64 s[10:11], -1, 0
	s_and_b32 s7, s7, 0x3fffff
	s_or_b32 s7, s6, s7
	s_cmp_lg_u32 s7, 0
	s_cselect_b64 s[12:13], -1, 0
	s_and_b64 s[10:11], s[10:11], s[12:13]
	v_cndmask_b32_e64 v3, 0, 1, s[10:11]
	v_add_u32_e32 v3, s6, v3
.LBB166_552:
	s_mov_b64 s[6:7], 0
	s_mov_b64 s[10:11], -1
	global_store_byte v[0:1], v3, off
.LBB166_553:
	s_mov_b64 s[12:13], 0
.LBB166_554:
	s_and_b64 vcc, exec, s[12:13]
	s_cbranch_vccz .LBB166_557
; %bb.555:
	v_mov_b32_e32 v3, 29
	v_cmp_eq_u16_sdwa s[12:13], s33, v3 src0_sel:BYTE_0 src1_sel:DWORD
	s_mov_b64 s[6:7], -1
	s_and_b64 vcc, exec, s[12:13]
	s_cbranch_vccz .LBB166_557
; %bb.556:
	v_mov_b32_e32 v4, s23
	v_mov_b32_e32 v5, 0
	global_store_dwordx2 v[0:1], v[4:5], off
	s_mov_b64 s[6:7], 0
	s_mov_b64 s[10:11], -1
.LBB166_557:
	s_mov_b64 s[12:13], 0
.LBB166_558:
	s_and_b64 vcc, exec, s[12:13]
	s_cbranch_vccz .LBB166_576
; %bb.559:
	v_mov_b32_e32 v3, 27
	v_cmp_lt_i16_sdwa s[12:13], s33, v3 src0_sel:BYTE_0 src1_sel:DWORD
	s_mov_b64 s[10:11], -1
	s_and_b64 vcc, exec, s[12:13]
	s_cbranch_vccnz .LBB166_565
; %bb.560:
	v_cmp_gt_i16_sdwa s[12:13], s33, v3 src0_sel:BYTE_0 src1_sel:DWORD
	s_and_b64 vcc, exec, s[12:13]
	s_cbranch_vccz .LBB166_562
; %bb.561:
	v_mov_b32_e32 v3, s23
	s_mov_b64 s[10:11], 0
	global_store_dword v[0:1], v3, off
.LBB166_562:
	s_andn2_b64 vcc, exec, s[10:11]
	s_cbranch_vccnz .LBB166_564
; %bb.563:
	v_mov_b32_e32 v3, s23
	global_store_short v[0:1], v3, off
.LBB166_564:
	s_mov_b64 s[10:11], 0
.LBB166_565:
	s_andn2_b64 vcc, exec, s[10:11]
	s_cbranch_vccnz .LBB166_575
; %bb.566:
	v_cvt_f32_u32_e32 v3, s23
	s_mov_b32 s11, 0x437fffff
	v_mov_b32_e32 v5, 0x80
	v_cmp_lt_u32_e32 vcc, s11, v3
	v_readfirstlane_b32 s10, v3
	s_cbranch_vccnz .LBB166_574
; %bb.567:
	s_cmp_gt_u32 s10, 0x3bffffff
	s_cbranch_scc0 .LBB166_569
; %bb.568:
	s_bfe_u32 s11, s10, 0x10014
	s_add_i32 s10, s10, s11
	s_add_i32 s10, s10, 0x487ffff
	s_lshr_b32 s15, s10, 20
	s_mov_b64 s[12:13], 0
	s_mov_b64 s[10:11], -1
	s_branch .LBB166_570
.LBB166_569:
	s_mov_b64 s[12:13], -1
	s_mov_b64 s[10:11], 0
                                        ; implicit-def: $sgpr15
.LBB166_570:
	s_andn2_b64 vcc, exec, s[12:13]
	v_mov_b32_e32 v4, s15
                                        ; implicit-def: $sgpr12
	s_cbranch_vccnz .LBB166_572
; %bb.571:
	v_add_f32_e32 v3, 0x46000000, v3
	v_and_b32_e32 v4, 0xff, v3
	s_mov_b32 s12, 0
	v_cmp_ne_u32_e64 s[10:11], 0, v4
.LBB166_572:
	s_andn2_b64 vcc, exec, s[10:11]
	v_mov_b32_e32 v5, s12
	s_cbranch_vccnz .LBB166_574
; %bb.573:
	v_mov_b32_e32 v5, v4
.LBB166_574:
	global_store_byte v[0:1], v5, off
.LBB166_575:
	s_mov_b64 s[10:11], -1
.LBB166_576:
	s_mov_b64 s[12:13], 0
.LBB166_577:
	s_and_b64 vcc, exec, s[12:13]
	s_cbranch_vccz .LBB166_623
; %bb.578:
	v_mov_b32_e32 v3, 22
	v_cmp_gt_i16_sdwa s[12:13], s33, v3 src0_sel:BYTE_0 src1_sel:DWORD
	s_mov_b64 s[8:9], -1
	s_and_b64 vcc, exec, s[12:13]
	s_cbranch_vccz .LBB166_616
; %bb.579:
	v_mov_b32_e32 v3, 24
	v_cmp_lt_i16_sdwa s[10:11], s33, v3 src0_sel:BYTE_0 src1_sel:DWORD
	s_and_b64 vcc, exec, s[10:11]
	s_cbranch_vccnz .LBB166_603
; %bb.580:
	v_cmp_gt_i16_sdwa s[10:11], s33, v3 src0_sel:BYTE_0 src1_sel:DWORD
	s_and_b64 vcc, exec, s[10:11]
	s_cbranch_vccz .LBB166_590
; %bb.581:
	v_cvt_f32_u32_e32 v3, s23
	s_mov_b32 s9, 0x477fffff
	v_mov_b32_e32 v5, 0x80
	v_cmp_lt_u32_e32 vcc, s9, v3
	v_readfirstlane_b32 s8, v3
	s_cbranch_vccnz .LBB166_589
; %bb.582:
	s_cmp_gt_u32 s8, 0x37ffffff
	s_cbranch_scc0 .LBB166_584
; %bb.583:
	s_bfe_u32 s9, s8, 0x10015
	s_add_i32 s8, s8, s9
	s_add_i32 s8, s8, 0x88fffff
	s_lshr_b32 s12, s8, 21
	s_mov_b64 s[10:11], 0
	s_mov_b64 s[8:9], -1
	s_branch .LBB166_585
.LBB166_584:
	s_mov_b64 s[10:11], -1
	s_mov_b64 s[8:9], 0
                                        ; implicit-def: $sgpr12
.LBB166_585:
	s_andn2_b64 vcc, exec, s[10:11]
	v_mov_b32_e32 v4, s12
                                        ; implicit-def: $sgpr10
	s_cbranch_vccnz .LBB166_587
; %bb.586:
	v_add_f32_e32 v3, 0x42800000, v3
	v_and_b32_e32 v4, 0xff, v3
	s_mov_b32 s10, 0
	v_cmp_ne_u32_e64 s[8:9], 0, v4
.LBB166_587:
	s_andn2_b64 vcc, exec, s[8:9]
	v_mov_b32_e32 v5, s10
	s_cbranch_vccnz .LBB166_589
; %bb.588:
	v_mov_b32_e32 v5, v4
.LBB166_589:
	s_mov_b64 s[8:9], 0
	global_store_byte v[0:1], v5, off
.LBB166_590:
	s_and_b64 vcc, exec, s[8:9]
	s_cbranch_vccz .LBB166_602
; %bb.591:
	v_cvt_f32_u32_e32 v3, s23
	s_mov_b32 s8, 0x43f00000
	v_cmp_gt_u32_e32 vcc, s8, v3
	v_readfirstlane_b32 s10, v3
	s_cbranch_vccz .LBB166_594
; %bb.592:
	s_cmp_gt_u32 s10, 0x3c7fffff
	s_cbranch_scc0 .LBB166_595
; %bb.593:
	s_bfe_u32 s8, s10, 0x10014
	s_add_i32 s8, s10, s8
	s_add_i32 s8, s8, 0x407ffff
	s_lshr_b32 s9, s8, 20
	s_and_b32 s8, s8, 0xff00000
	s_cmp_lg_u32 s8, 0x7f00000
	s_cselect_b32 s11, s9, 0x7e
	s_mov_b64 s[8:9], 0
	s_branch .LBB166_596
.LBB166_594:
	s_mov_b64 s[8:9], -1
                                        ; implicit-def: $vgpr4
	s_branch .LBB166_599
.LBB166_595:
	s_mov_b64 s[8:9], -1
                                        ; implicit-def: $sgpr11
.LBB166_596:
	s_andn2_b64 vcc, exec, s[8:9]
	v_mov_b32_e32 v4, s11
	s_cbranch_vccnz .LBB166_598
; %bb.597:
	v_add_f32_e32 v4, 0x46800000, v3
.LBB166_598:
	s_mov_b64 s[8:9], 0
.LBB166_599:
	s_andn2_b64 vcc, exec, s[8:9]
	s_cbranch_vccnz .LBB166_601
; %bb.600:
	s_cmp_gt_u32 s10, 0x7f800000
	s_movk_i32 s8, 0x7f
	s_cselect_b32 s8, s8, 0x7e
	v_mov_b32_e32 v4, s8
.LBB166_601:
	global_store_byte v[0:1], v4, off
.LBB166_602:
	s_mov_b64 s[8:9], 0
.LBB166_603:
	s_andn2_b64 vcc, exec, s[8:9]
	s_cbranch_vccnz .LBB166_615
; %bb.604:
	v_cvt_f32_u32_e32 v3, s23
	s_mov_b32 s8, 0x47800000
	v_cmp_gt_u32_e32 vcc, s8, v3
	v_readfirstlane_b32 s10, v3
	s_cbranch_vccz .LBB166_607
; %bb.605:
	s_cmp_gt_u32 s10, 0x387fffff
	s_cbranch_scc0 .LBB166_608
; %bb.606:
	s_bfe_u32 s8, s10, 0x10015
	s_add_i32 s8, s10, s8
	s_add_i32 s8, s8, 0x80fffff
	s_lshr_b32 s11, s8, 21
	s_mov_b64 s[8:9], 0
	s_branch .LBB166_609
.LBB166_607:
	s_mov_b64 s[8:9], -1
                                        ; implicit-def: $vgpr4
	s_branch .LBB166_612
.LBB166_608:
	s_mov_b64 s[8:9], -1
                                        ; implicit-def: $sgpr11
.LBB166_609:
	s_andn2_b64 vcc, exec, s[8:9]
	v_mov_b32_e32 v4, s11
	s_cbranch_vccnz .LBB166_611
; %bb.610:
	v_add_f32_e32 v4, 0x43000000, v3
.LBB166_611:
	s_mov_b64 s[8:9], 0
.LBB166_612:
	s_andn2_b64 vcc, exec, s[8:9]
	s_cbranch_vccnz .LBB166_614
; %bb.613:
	s_cmp_gt_u32 s10, 0x7f800000
	s_movk_i32 s8, 0x7f
	s_cselect_b32 s8, s8, 0x7c
	v_mov_b32_e32 v4, s8
.LBB166_614:
	global_store_byte v[0:1], v4, off
.LBB166_615:
	s_mov_b64 s[8:9], 0
	s_mov_b64 s[10:11], -1
.LBB166_616:
	s_andn2_b64 vcc, exec, s[8:9]
	s_mov_b64 s[8:9], 0
	s_cbranch_vccnz .LBB166_623
; %bb.617:
	v_mov_b32_e32 v3, 14
	v_cmp_gt_i16_sdwa s[8:9], s33, v3 src0_sel:BYTE_0 src1_sel:DWORD
	s_mov_b64 s[12:13], -1
	s_and_b64 vcc, exec, s[8:9]
	s_cbranch_vccz .LBB166_621
; %bb.618:
	v_mov_b32_e32 v3, 15
	v_cmp_eq_u16_sdwa s[8:9], s33, v3 src0_sel:BYTE_0 src1_sel:DWORD
	s_mov_b64 s[6:7], -1
	s_and_b64 vcc, exec, s[8:9]
	s_cbranch_vccz .LBB166_620
; %bb.619:
	v_cvt_f32_u32_e32 v3, s23
	s_mov_b64 s[6:7], 0
	s_mov_b64 s[10:11], -1
	v_bfe_u32 v4, v3, 16, 1
	v_add_u32_e32 v3, v3, v4
	v_add_u32_e32 v3, 0x7fff, v3
	global_store_short_d16_hi v[0:1], v3, off
.LBB166_620:
	s_mov_b64 s[12:13], 0
.LBB166_621:
	s_mov_b64 s[8:9], 0
	s_and_b64 vcc, exec, s[12:13]
	s_cbranch_vccz .LBB166_623
; %bb.622:
	v_mov_b32_e32 v3, 11
	v_cmp_ne_u16_sdwa s[6:7], s33, v3 src0_sel:BYTE_0 src1_sel:DWORD
	s_mov_b64 s[8:9], -1
.LBB166_623:
	s_and_b64 vcc, exec, s[6:7]
	s_cbranch_vccnz .LBB166_706
; %bb.624:
	s_andn2_b64 vcc, exec, s[8:9]
	s_cbranch_vccnz .LBB166_626
.LBB166_625:
	s_cmp_lg_u32 s23, 0
	s_cselect_b64 s[6:7], -1, 0
	v_cndmask_b32_e64 v3, 0, 1, s[6:7]
	s_mov_b64 s[10:11], -1
	global_store_byte v[0:1], v3, off
.LBB166_626:
	s_branch .LBB166_543
.LBB166_627:
	v_mov_b32_e32 v3, 5
	v_cmp_lt_i16_sdwa s[8:9], s33, v3 src0_sel:BYTE_0 src1_sel:DWORD
	s_mov_b64 s[6:7], -1
	s_and_b64 vcc, exec, s[8:9]
	s_cbranch_vccnz .LBB166_648
; %bb.628:
	v_mov_b32_e32 v3, 8
	v_cmp_lt_i16_sdwa s[8:9], s33, v3 src0_sel:BYTE_0 src1_sel:DWORD
	s_and_b64 vcc, exec, s[8:9]
	s_cbranch_vccnz .LBB166_638
; %bb.629:
	v_mov_b32_e32 v3, 9
	v_cmp_lt_i16_sdwa s[8:9], s33, v3 src0_sel:BYTE_0 src1_sel:DWORD
	s_and_b64 vcc, exec, s[8:9]
	s_cbranch_vccnz .LBB166_635
; %bb.630:
	v_cmp_gt_i16_sdwa s[8:9], s33, v3 src0_sel:BYTE_0 src1_sel:DWORD
	s_and_b64 vcc, exec, s[8:9]
	s_cbranch_vccz .LBB166_632
; %bb.631:
	v_mov_b32_e32 v6, 0
	v_cvt_f64_u32_e32 v[4:5], s23
	v_mov_b32_e32 v7, v6
	global_store_dwordx4 v[0:1], v[4:7], off
	s_mov_b64 s[6:7], 0
.LBB166_632:
	s_andn2_b64 vcc, exec, s[6:7]
	s_cbranch_vccnz .LBB166_634
; %bb.633:
	v_cvt_f32_u32_e32 v4, s23
	v_mov_b32_e32 v5, 0
	global_store_dwordx2 v[0:1], v[4:5], off
.LBB166_634:
	s_mov_b64 s[6:7], 0
.LBB166_635:
	s_andn2_b64 vcc, exec, s[6:7]
	s_cbranch_vccnz .LBB166_637
; %bb.636:
	v_cvt_f32_u32_e32 v3, s23
	v_cvt_f16_f32_e32 v3, v3
	global_store_dword v[0:1], v3, off
.LBB166_637:
	s_mov_b64 s[6:7], 0
.LBB166_638:
	s_andn2_b64 vcc, exec, s[6:7]
	s_cbranch_vccnz .LBB166_647
; %bb.639:
	v_mov_b32_e32 v3, 6
	v_cmp_lt_i16_sdwa s[8:9], s33, v3 src0_sel:BYTE_0 src1_sel:DWORD
	s_mov_b64 s[6:7], -1
	s_and_b64 vcc, exec, s[8:9]
	s_cbranch_vccnz .LBB166_645
; %bb.640:
	v_cmp_gt_i16_sdwa s[8:9], s33, v3 src0_sel:BYTE_0 src1_sel:DWORD
	s_and_b64 vcc, exec, s[8:9]
	s_cbranch_vccz .LBB166_642
; %bb.641:
	v_cvt_f64_u32_e32 v[4:5], s23
	global_store_dwordx2 v[0:1], v[4:5], off
	s_mov_b64 s[6:7], 0
.LBB166_642:
	s_andn2_b64 vcc, exec, s[6:7]
	s_cbranch_vccnz .LBB166_644
; %bb.643:
	v_cvt_f32_u32_e32 v3, s23
	global_store_dword v[0:1], v3, off
.LBB166_644:
	s_mov_b64 s[6:7], 0
.LBB166_645:
	s_andn2_b64 vcc, exec, s[6:7]
	s_cbranch_vccnz .LBB166_647
; %bb.646:
	v_cvt_f32_u32_e32 v3, s23
	v_cvt_f16_f32_e32 v3, v3
	global_store_short v[0:1], v3, off
.LBB166_647:
	s_mov_b64 s[6:7], 0
.LBB166_648:
	s_andn2_b64 vcc, exec, s[6:7]
	s_cbranch_vccnz .LBB166_664
; %bb.649:
	v_mov_b32_e32 v3, 2
	v_cmp_lt_i16_sdwa s[8:9], s33, v3 src0_sel:BYTE_0 src1_sel:DWORD
	s_mov_b64 s[6:7], -1
	s_and_b64 vcc, exec, s[8:9]
	s_cbranch_vccnz .LBB166_659
; %bb.650:
	v_mov_b32_e32 v3, 3
	v_cmp_lt_i16_sdwa s[8:9], s33, v3 src0_sel:BYTE_0 src1_sel:DWORD
	s_and_b64 vcc, exec, s[8:9]
	s_cbranch_vccnz .LBB166_656
; %bb.651:
	v_cmp_gt_i16_sdwa s[8:9], s33, v3 src0_sel:BYTE_0 src1_sel:DWORD
	s_and_b64 vcc, exec, s[8:9]
	s_cbranch_vccz .LBB166_653
; %bb.652:
	v_mov_b32_e32 v4, s23
	v_mov_b32_e32 v5, 0
	global_store_dwordx2 v[0:1], v[4:5], off
	s_mov_b64 s[6:7], 0
.LBB166_653:
	s_andn2_b64 vcc, exec, s[6:7]
	s_cbranch_vccnz .LBB166_655
; %bb.654:
	v_mov_b32_e32 v3, s23
	global_store_dword v[0:1], v3, off
.LBB166_655:
	s_mov_b64 s[6:7], 0
.LBB166_656:
	s_andn2_b64 vcc, exec, s[6:7]
	s_cbranch_vccnz .LBB166_658
; %bb.657:
	v_mov_b32_e32 v3, s23
	global_store_short v[0:1], v3, off
.LBB166_658:
	s_mov_b64 s[6:7], 0
.LBB166_659:
	s_andn2_b64 vcc, exec, s[6:7]
	s_cbranch_vccnz .LBB166_664
; %bb.660:
	v_mov_b32_e32 v3, 0
	v_cmp_gt_i16_sdwa s[8:9], s33, v3 src0_sel:BYTE_0 src1_sel:DWORD
	s_mov_b64 s[6:7], -1
	s_and_b64 vcc, exec, s[8:9]
	s_cbranch_vccz .LBB166_662
; %bb.661:
	v_mov_b32_e32 v3, s23
	global_store_byte v[0:1], v3, off
	s_mov_b64 s[6:7], 0
.LBB166_662:
	s_andn2_b64 vcc, exec, s[6:7]
	s_cbranch_vccnz .LBB166_664
; %bb.663:
	v_mov_b32_e32 v3, s23
	global_store_byte v[0:1], v3, off
.LBB166_664:
.LBB166_665:
	v_add_u32_e32 v2, s14, v2
	v_ashrrev_i32_e32 v1, 31, v2
	v_mov_b32_e32 v3, s21
	v_add_co_u32_e32 v0, vcc, s20, v2
	v_addc_co_u32_e32 v1, vcc, v3, v1, vcc
	v_mov_b32_e32 v3, 11
	v_cmp_lt_i16_sdwa s[6:7], s33, v3 src0_sel:BYTE_0 src1_sel:DWORD
	s_and_b64 vcc, exec, s[6:7]
	s_cbranch_vccnz .LBB166_672
; %bb.666:
	v_mov_b32_e32 v3, 25
	v_cmp_gt_i16_sdwa s[6:7], s33, v3 src0_sel:BYTE_0 src1_sel:DWORD
	s_mov_b64 s[12:13], -1
	s_mov_b64 s[8:9], 0
	s_and_b64 vcc, exec, s[6:7]
	s_mov_b64 s[10:11], 0
	s_mov_b64 s[6:7], 0
	s_cbranch_vccz .LBB166_737
; %bb.667:
	v_mov_b32_e32 v3, 28
	v_cmp_gt_i16_sdwa s[6:7], s33, v3 src0_sel:BYTE_0 src1_sel:DWORD
	s_and_b64 vcc, exec, s[6:7]
	s_cbranch_vccz .LBB166_704
; %bb.668:
	v_mov_b32_e32 v3, 43
	v_cmp_gt_i16_sdwa s[6:7], s33, v3 src0_sel:BYTE_0 src1_sel:DWORD
	s_and_b64 vcc, exec, s[6:7]
	s_cbranch_vccz .LBB166_705
; %bb.669:
	v_mov_b32_e32 v3, 45
	v_cmp_gt_i16_sdwa s[6:7], s33, v3 src0_sel:BYTE_0 src1_sel:DWORD
	s_and_b64 vcc, exec, s[6:7]
	s_cbranch_vccz .LBB166_707
; %bb.670:
	v_mov_b32_e32 v3, 46
	v_cmp_eq_u16_sdwa s[10:11], s33, v3 src0_sel:BYTE_0 src1_sel:DWORD
	s_mov_b64 s[6:7], -1
	s_mov_b64 s[12:13], 0
	s_and_b64 vcc, exec, s[10:11]
	s_mov_b64 s[10:11], 0
	s_cbranch_vccz .LBB166_708
; %bb.671:
	v_cvt_f32_u32_e32 v3, s23
	s_mov_b64 s[6:7], 0
	s_mov_b64 s[10:11], -1
	v_bfe_u32 v4, v3, 16, 1
	v_add_u32_e32 v3, v3, v4
	v_add_u32_e32 v3, 0x7fff, v3
	v_lshrrev_b32_e32 v3, 16, v3
	global_store_dword v[0:1], v3, off
	s_branch .LBB166_708
.LBB166_672:
	s_mov_b64 s[10:11], 0
	s_cbranch_execnz .LBB166_801
.LBB166_673:
	s_andn2_b64 vcc, exec, s[10:11]
	s_cbranch_vccnz .LBB166_839
.LBB166_674:
	v_add_u32_e32 v0, s14, v2
	v_ashrrev_i32_e32 v1, 31, v0
	v_mov_b32_e32 v2, s21
	v_add_co_u32_e32 v0, vcc, s20, v0
	v_addc_co_u32_e32 v1, vcc, v2, v1, vcc
	v_mov_b32_e32 v2, 0xff
	v_and_b32_e32 v2, s33, v2
	v_cmp_gt_i16_e32 vcc, 11, v2
	s_cbranch_vccnz .LBB166_703
; %bb.675:
	v_cmp_lt_i16_e32 vcc, 25, v2
	s_mov_b64 s[10:11], -1
	s_mov_b64 s[8:9], 0
	s_mov_b64 s[6:7], 0
	s_cbranch_vccz .LBB166_751
; %bb.676:
	v_cmp_lt_i16_e32 vcc, 28, v2
	s_cbranch_vccz .LBB166_692
; %bb.677:
	v_cmp_lt_i16_e32 vcc, 43, v2
	s_cbranch_vccz .LBB166_688
; %bb.678:
	v_cmp_lt_i16_e32 vcc, 45, v2
	s_cbranch_vccz .LBB166_682
; %bb.679:
	v_cmp_eq_u16_e32 vcc, 46, v2
	s_mov_b64 s[6:7], -1
	s_cbranch_vccz .LBB166_681
; %bb.680:
	v_cvt_f32_u32_e32 v3, s23
	s_mov_b64 s[6:7], 0
	v_bfe_u32 v4, v3, 16, 1
	v_add_u32_e32 v3, v3, v4
	v_add_u32_e32 v3, 0x7fff, v3
	v_lshrrev_b32_e32 v3, 16, v3
	global_store_dword v[0:1], v3, off
.LBB166_681:
	s_mov_b64 s[10:11], 0
.LBB166_682:
	s_and_b64 vcc, exec, s[10:11]
	s_cbranch_vccz .LBB166_687
; %bb.683:
	v_cmp_eq_u16_e32 vcc, 44, v2
	s_mov_b64 s[6:7], -1
	s_cbranch_vccz .LBB166_687
; %bb.684:
	v_cvt_f32_u32_e32 v3, s23
	v_readfirstlane_b32 s7, v3
	s_lshr_b32 s6, s7, 23
	s_cmpk_eq_i32 s6, 0xff
	v_mov_b32_e32 v3, 0xff
	s_cbranch_scc1 .LBB166_686
; %bb.685:
	s_bitcmp1_b32 s7, 22
	s_cselect_b64 s[10:11], -1, 0
	s_and_b32 s7, s7, 0x3fffff
	s_or_b32 s7, s6, s7
	s_cmp_lg_u32 s7, 0
	s_cselect_b64 s[12:13], -1, 0
	s_and_b64 s[10:11], s[10:11], s[12:13]
	v_cndmask_b32_e64 v3, 0, 1, s[10:11]
	v_add_u32_e32 v3, s6, v3
.LBB166_686:
	s_mov_b64 s[6:7], 0
	global_store_byte v[0:1], v3, off
.LBB166_687:
	s_mov_b64 s[10:11], 0
.LBB166_688:
	s_and_b64 vcc, exec, s[10:11]
	s_cbranch_vccz .LBB166_691
; %bb.689:
	v_cmp_eq_u16_e32 vcc, 29, v2
	s_mov_b64 s[6:7], -1
	s_cbranch_vccz .LBB166_691
; %bb.690:
	v_mov_b32_e32 v4, s23
	v_mov_b32_e32 v5, 0
	global_store_dwordx2 v[0:1], v[4:5], off
	s_mov_b64 s[6:7], 0
.LBB166_691:
	s_mov_b64 s[10:11], 0
.LBB166_692:
	s_and_b64 vcc, exec, s[10:11]
	s_cbranch_vccz .LBB166_750
; %bb.693:
	v_cmp_gt_i16_e32 vcc, 27, v2
	s_mov_b64 s[10:11], -1
	s_cbranch_vccnz .LBB166_699
; %bb.694:
	v_cmp_lt_i16_e32 vcc, 27, v2
	s_cbranch_vccz .LBB166_696
; %bb.695:
	v_mov_b32_e32 v3, s23
	global_store_dword v[0:1], v3, off
	s_mov_b64 s[10:11], 0
.LBB166_696:
	s_andn2_b64 vcc, exec, s[10:11]
	s_cbranch_vccnz .LBB166_698
; %bb.697:
	v_mov_b32_e32 v3, s23
	global_store_short v[0:1], v3, off
.LBB166_698:
	s_mov_b64 s[10:11], 0
.LBB166_699:
	s_andn2_b64 vcc, exec, s[10:11]
	s_cbranch_vccnz .LBB166_750
; %bb.700:
	v_cvt_f32_u32_e32 v3, s23
	s_mov_b32 s11, 0x437fffff
	v_mov_b32_e32 v5, 0x80
	v_cmp_lt_u32_e32 vcc, s11, v3
	v_readfirstlane_b32 s10, v3
	s_cbranch_vccnz .LBB166_749
; %bb.701:
	s_cmp_gt_u32 s10, 0x3bffffff
	s_cbranch_scc0 .LBB166_744
; %bb.702:
	s_bfe_u32 s11, s10, 0x10014
	s_add_i32 s10, s10, s11
	s_add_i32 s10, s10, 0x487ffff
	s_lshr_b32 s14, s10, 20
	s_mov_b64 s[12:13], 0
	s_mov_b64 s[10:11], -1
	s_branch .LBB166_745
.LBB166_703:
	s_mov_b64 s[8:9], 0
	s_mov_b64 s[6:7], -1
	s_branch .LBB166_840
.LBB166_704:
	s_mov_b64 s[6:7], 0
	s_branch .LBB166_718
.LBB166_705:
	s_mov_b64 s[6:7], 0
	s_branch .LBB166_714
.LBB166_706:
	s_trap 2
	s_or_b64 s[4:5], s[4:5], exec
	s_cbranch_execz .LBB166_625
	s_branch .LBB166_626
.LBB166_707:
	s_mov_b64 s[6:7], 0
.LBB166_708:
	s_and_b64 vcc, exec, s[12:13]
	s_cbranch_vccz .LBB166_713
; %bb.709:
	v_mov_b32_e32 v3, 44
	v_cmp_eq_u16_sdwa s[12:13], s33, v3 src0_sel:BYTE_0 src1_sel:DWORD
	s_mov_b64 s[6:7], -1
	s_and_b64 vcc, exec, s[12:13]
	s_cbranch_vccz .LBB166_713
; %bb.710:
	v_cvt_f32_u32_e32 v3, s23
	v_readfirstlane_b32 s7, v3
	s_lshr_b32 s6, s7, 23
	s_cmpk_eq_i32 s6, 0xff
	v_mov_b32_e32 v3, 0xff
	s_cbranch_scc1 .LBB166_712
; %bb.711:
	s_bitcmp1_b32 s7, 22
	s_cselect_b64 s[10:11], -1, 0
	s_and_b32 s7, s7, 0x3fffff
	s_or_b32 s7, s6, s7
	s_cmp_lg_u32 s7, 0
	s_cselect_b64 s[12:13], -1, 0
	s_and_b64 s[10:11], s[10:11], s[12:13]
	v_cndmask_b32_e64 v3, 0, 1, s[10:11]
	v_add_u32_e32 v3, s6, v3
.LBB166_712:
	s_mov_b64 s[6:7], 0
	s_mov_b64 s[10:11], -1
	global_store_byte v[0:1], v3, off
.LBB166_713:
	s_mov_b64 s[12:13], 0
.LBB166_714:
	s_and_b64 vcc, exec, s[12:13]
	s_cbranch_vccz .LBB166_717
; %bb.715:
	v_mov_b32_e32 v3, 29
	v_cmp_eq_u16_sdwa s[12:13], s33, v3 src0_sel:BYTE_0 src1_sel:DWORD
	s_mov_b64 s[6:7], -1
	s_and_b64 vcc, exec, s[12:13]
	s_cbranch_vccz .LBB166_717
; %bb.716:
	v_mov_b32_e32 v4, s23
	v_mov_b32_e32 v5, 0
	global_store_dwordx2 v[0:1], v[4:5], off
	s_mov_b64 s[6:7], 0
	s_mov_b64 s[10:11], -1
.LBB166_717:
	s_mov_b64 s[12:13], 0
.LBB166_718:
	s_and_b64 vcc, exec, s[12:13]
	s_cbranch_vccz .LBB166_736
; %bb.719:
	v_mov_b32_e32 v3, 27
	v_cmp_lt_i16_sdwa s[12:13], s33, v3 src0_sel:BYTE_0 src1_sel:DWORD
	s_mov_b64 s[10:11], -1
	s_and_b64 vcc, exec, s[12:13]
	s_cbranch_vccnz .LBB166_725
; %bb.720:
	v_cmp_gt_i16_sdwa s[12:13], s33, v3 src0_sel:BYTE_0 src1_sel:DWORD
	s_and_b64 vcc, exec, s[12:13]
	s_cbranch_vccz .LBB166_722
; %bb.721:
	v_mov_b32_e32 v3, s23
	s_mov_b64 s[10:11], 0
	global_store_dword v[0:1], v3, off
.LBB166_722:
	s_andn2_b64 vcc, exec, s[10:11]
	s_cbranch_vccnz .LBB166_724
; %bb.723:
	v_mov_b32_e32 v3, s23
	global_store_short v[0:1], v3, off
.LBB166_724:
	s_mov_b64 s[10:11], 0
.LBB166_725:
	s_andn2_b64 vcc, exec, s[10:11]
	s_cbranch_vccnz .LBB166_735
; %bb.726:
	v_cvt_f32_u32_e32 v3, s23
	s_mov_b32 s11, 0x437fffff
	v_mov_b32_e32 v5, 0x80
	v_cmp_lt_u32_e32 vcc, s11, v3
	v_readfirstlane_b32 s10, v3
	s_cbranch_vccnz .LBB166_734
; %bb.727:
	s_cmp_gt_u32 s10, 0x3bffffff
	s_cbranch_scc0 .LBB166_729
; %bb.728:
	s_bfe_u32 s11, s10, 0x10014
	s_add_i32 s10, s10, s11
	s_add_i32 s10, s10, 0x487ffff
	s_lshr_b32 s15, s10, 20
	s_mov_b64 s[12:13], 0
	s_mov_b64 s[10:11], -1
	s_branch .LBB166_730
.LBB166_729:
	s_mov_b64 s[12:13], -1
	s_mov_b64 s[10:11], 0
                                        ; implicit-def: $sgpr15
.LBB166_730:
	s_andn2_b64 vcc, exec, s[12:13]
	v_mov_b32_e32 v4, s15
                                        ; implicit-def: $sgpr12
	s_cbranch_vccnz .LBB166_732
; %bb.731:
	v_add_f32_e32 v3, 0x46000000, v3
	v_and_b32_e32 v4, 0xff, v3
	s_mov_b32 s12, 0
	v_cmp_ne_u32_e64 s[10:11], 0, v4
.LBB166_732:
	s_andn2_b64 vcc, exec, s[10:11]
	v_mov_b32_e32 v5, s12
	s_cbranch_vccnz .LBB166_734
; %bb.733:
	v_mov_b32_e32 v5, v4
.LBB166_734:
	global_store_byte v[0:1], v5, off
.LBB166_735:
	s_mov_b64 s[10:11], -1
.LBB166_736:
	s_mov_b64 s[12:13], 0
.LBB166_737:
	s_and_b64 vcc, exec, s[12:13]
	s_cbranch_vccz .LBB166_797
; %bb.738:
	v_mov_b32_e32 v3, 22
	v_cmp_gt_i16_sdwa s[12:13], s33, v3 src0_sel:BYTE_0 src1_sel:DWORD
	s_mov_b64 s[8:9], -1
	s_and_b64 vcc, exec, s[12:13]
	s_cbranch_vccz .LBB166_790
; %bb.739:
	v_mov_b32_e32 v3, 24
	v_cmp_lt_i16_sdwa s[10:11], s33, v3 src0_sel:BYTE_0 src1_sel:DWORD
	s_and_b64 vcc, exec, s[10:11]
	s_cbranch_vccnz .LBB166_777
; %bb.740:
	v_cmp_gt_i16_sdwa s[10:11], s33, v3 src0_sel:BYTE_0 src1_sel:DWORD
	s_and_b64 vcc, exec, s[10:11]
	s_cbranch_vccz .LBB166_764
; %bb.741:
	v_cvt_f32_u32_e32 v3, s23
	s_mov_b32 s9, 0x477fffff
	v_mov_b32_e32 v5, 0x80
	v_cmp_lt_u32_e32 vcc, s9, v3
	v_readfirstlane_b32 s8, v3
	s_cbranch_vccnz .LBB166_763
; %bb.742:
	s_cmp_gt_u32 s8, 0x37ffffff
	s_cbranch_scc0 .LBB166_758
; %bb.743:
	s_bfe_u32 s9, s8, 0x10015
	s_add_i32 s8, s8, s9
	s_add_i32 s8, s8, 0x88fffff
	s_lshr_b32 s12, s8, 21
	s_mov_b64 s[10:11], 0
	s_mov_b64 s[8:9], -1
	s_branch .LBB166_759
.LBB166_744:
	s_mov_b64 s[12:13], -1
	s_mov_b64 s[10:11], 0
                                        ; implicit-def: $sgpr14
.LBB166_745:
	s_andn2_b64 vcc, exec, s[12:13]
	v_mov_b32_e32 v4, s14
                                        ; implicit-def: $sgpr12
	s_cbranch_vccnz .LBB166_747
; %bb.746:
	v_add_f32_e32 v3, 0x46000000, v3
	v_and_b32_e32 v4, 0xff, v3
	s_mov_b32 s12, 0
	v_cmp_ne_u32_e64 s[10:11], 0, v4
.LBB166_747:
	s_andn2_b64 vcc, exec, s[10:11]
	v_mov_b32_e32 v5, s12
	s_cbranch_vccnz .LBB166_749
; %bb.748:
	v_mov_b32_e32 v5, v4
.LBB166_749:
	global_store_byte v[0:1], v5, off
.LBB166_750:
	s_mov_b64 s[10:11], 0
.LBB166_751:
	s_and_b64 vcc, exec, s[10:11]
	s_cbranch_vccz .LBB166_921
; %bb.752:
	v_cmp_lt_i16_e32 vcc, 22, v2
	s_mov_b64 s[8:9], -1
	s_cbranch_vccz .LBB166_914
; %bb.753:
	v_cmp_gt_i16_e32 vcc, 24, v2
	s_cbranch_vccnz .LBB166_901
; %bb.754:
	v_cmp_lt_i16_e32 vcc, 24, v2
	s_cbranch_vccz .LBB166_888
; %bb.755:
	v_cvt_f32_u32_e32 v3, s23
	s_mov_b32 s9, 0x477fffff
	v_mov_b32_e32 v5, 0x80
	v_cmp_lt_u32_e32 vcc, s9, v3
	v_readfirstlane_b32 s8, v3
	s_cbranch_vccnz .LBB166_887
; %bb.756:
	s_cmp_gt_u32 s8, 0x37ffffff
	s_cbranch_scc0 .LBB166_882
; %bb.757:
	s_bfe_u32 s9, s8, 0x10015
	s_add_i32 s8, s8, s9
	s_add_i32 s8, s8, 0x88fffff
	s_lshr_b32 s12, s8, 21
	s_mov_b64 s[10:11], 0
	s_mov_b64 s[8:9], -1
	s_branch .LBB166_883
.LBB166_758:
	s_mov_b64 s[10:11], -1
	s_mov_b64 s[8:9], 0
                                        ; implicit-def: $sgpr12
.LBB166_759:
	s_andn2_b64 vcc, exec, s[10:11]
	v_mov_b32_e32 v4, s12
                                        ; implicit-def: $sgpr10
	s_cbranch_vccnz .LBB166_761
; %bb.760:
	v_add_f32_e32 v3, 0x42800000, v3
	v_and_b32_e32 v4, 0xff, v3
	s_mov_b32 s10, 0
	v_cmp_ne_u32_e64 s[8:9], 0, v4
.LBB166_761:
	s_andn2_b64 vcc, exec, s[8:9]
	v_mov_b32_e32 v5, s10
	s_cbranch_vccnz .LBB166_763
; %bb.762:
	v_mov_b32_e32 v5, v4
.LBB166_763:
	s_mov_b64 s[8:9], 0
	global_store_byte v[0:1], v5, off
.LBB166_764:
	s_and_b64 vcc, exec, s[8:9]
	s_cbranch_vccz .LBB166_776
; %bb.765:
	v_cvt_f32_u32_e32 v3, s23
	s_mov_b32 s8, 0x43f00000
	v_cmp_gt_u32_e32 vcc, s8, v3
	v_readfirstlane_b32 s10, v3
	s_cbranch_vccz .LBB166_768
; %bb.766:
	s_cmp_gt_u32 s10, 0x3c7fffff
	s_cbranch_scc0 .LBB166_769
; %bb.767:
	s_bfe_u32 s8, s10, 0x10014
	s_add_i32 s8, s10, s8
	s_add_i32 s8, s8, 0x407ffff
	s_lshr_b32 s9, s8, 20
	s_and_b32 s8, s8, 0xff00000
	s_cmp_lg_u32 s8, 0x7f00000
	s_cselect_b32 s11, s9, 0x7e
	s_mov_b64 s[8:9], 0
	s_branch .LBB166_770
.LBB166_768:
	s_mov_b64 s[8:9], -1
                                        ; implicit-def: $vgpr4
	s_branch .LBB166_773
.LBB166_769:
	s_mov_b64 s[8:9], -1
                                        ; implicit-def: $sgpr11
.LBB166_770:
	s_andn2_b64 vcc, exec, s[8:9]
	v_mov_b32_e32 v4, s11
	s_cbranch_vccnz .LBB166_772
; %bb.771:
	v_add_f32_e32 v4, 0x46800000, v3
.LBB166_772:
	s_mov_b64 s[8:9], 0
.LBB166_773:
	s_andn2_b64 vcc, exec, s[8:9]
	s_cbranch_vccnz .LBB166_775
; %bb.774:
	s_cmp_gt_u32 s10, 0x7f800000
	s_movk_i32 s8, 0x7f
	s_cselect_b32 s8, s8, 0x7e
	v_mov_b32_e32 v4, s8
.LBB166_775:
	global_store_byte v[0:1], v4, off
.LBB166_776:
	s_mov_b64 s[8:9], 0
.LBB166_777:
	s_andn2_b64 vcc, exec, s[8:9]
	s_cbranch_vccnz .LBB166_789
; %bb.778:
	v_cvt_f32_u32_e32 v3, s23
	s_mov_b32 s8, 0x47800000
	v_cmp_gt_u32_e32 vcc, s8, v3
	v_readfirstlane_b32 s10, v3
	s_cbranch_vccz .LBB166_781
; %bb.779:
	s_cmp_gt_u32 s10, 0x387fffff
	s_cbranch_scc0 .LBB166_782
; %bb.780:
	s_bfe_u32 s8, s10, 0x10015
	s_add_i32 s8, s10, s8
	s_add_i32 s8, s8, 0x80fffff
	s_lshr_b32 s11, s8, 21
	s_mov_b64 s[8:9], 0
	s_branch .LBB166_783
.LBB166_781:
	s_mov_b64 s[8:9], -1
                                        ; implicit-def: $vgpr4
	s_branch .LBB166_786
.LBB166_782:
	s_mov_b64 s[8:9], -1
                                        ; implicit-def: $sgpr11
.LBB166_783:
	s_andn2_b64 vcc, exec, s[8:9]
	v_mov_b32_e32 v4, s11
	s_cbranch_vccnz .LBB166_785
; %bb.784:
	v_add_f32_e32 v4, 0x43000000, v3
.LBB166_785:
	s_mov_b64 s[8:9], 0
.LBB166_786:
	s_andn2_b64 vcc, exec, s[8:9]
	s_cbranch_vccnz .LBB166_788
; %bb.787:
	s_cmp_gt_u32 s10, 0x7f800000
	s_movk_i32 s8, 0x7f
	s_cselect_b32 s8, s8, 0x7c
	v_mov_b32_e32 v4, s8
.LBB166_788:
	global_store_byte v[0:1], v4, off
.LBB166_789:
	s_mov_b64 s[8:9], 0
	s_mov_b64 s[10:11], -1
.LBB166_790:
	s_andn2_b64 vcc, exec, s[8:9]
	s_mov_b64 s[8:9], 0
	s_cbranch_vccnz .LBB166_797
; %bb.791:
	v_mov_b32_e32 v3, 14
	v_cmp_gt_i16_sdwa s[8:9], s33, v3 src0_sel:BYTE_0 src1_sel:DWORD
	s_mov_b64 s[12:13], -1
	s_and_b64 vcc, exec, s[8:9]
	s_cbranch_vccz .LBB166_795
; %bb.792:
	v_mov_b32_e32 v3, 15
	v_cmp_eq_u16_sdwa s[8:9], s33, v3 src0_sel:BYTE_0 src1_sel:DWORD
	s_mov_b64 s[6:7], -1
	s_and_b64 vcc, exec, s[8:9]
	s_cbranch_vccz .LBB166_794
; %bb.793:
	v_cvt_f32_u32_e32 v3, s23
	s_mov_b64 s[6:7], 0
	s_mov_b64 s[10:11], -1
	v_bfe_u32 v4, v3, 16, 1
	v_add_u32_e32 v3, v3, v4
	v_add_u32_e32 v3, 0x7fff, v3
	global_store_short_d16_hi v[0:1], v3, off
.LBB166_794:
	s_mov_b64 s[12:13], 0
.LBB166_795:
	s_mov_b64 s[8:9], 0
	s_and_b64 vcc, exec, s[12:13]
	s_cbranch_vccz .LBB166_797
; %bb.796:
	v_mov_b32_e32 v3, 11
	v_cmp_ne_u16_sdwa s[6:7], s33, v3 src0_sel:BYTE_0 src1_sel:DWORD
	s_mov_b64 s[8:9], -1
.LBB166_797:
	s_and_b64 vcc, exec, s[6:7]
	s_cbranch_vccnz .LBB166_881
; %bb.798:
	s_andn2_b64 vcc, exec, s[8:9]
	s_cbranch_vccnz .LBB166_800
.LBB166_799:
	s_cmp_lg_u32 s23, 0
	s_cselect_b64 s[6:7], -1, 0
	v_cndmask_b32_e64 v3, 0, 1, s[6:7]
	s_mov_b64 s[10:11], -1
	global_store_byte v[0:1], v3, off
.LBB166_800:
	s_branch .LBB166_673
.LBB166_801:
	v_mov_b32_e32 v3, 5
	v_cmp_lt_i16_sdwa s[8:9], s33, v3 src0_sel:BYTE_0 src1_sel:DWORD
	s_mov_b64 s[6:7], -1
	s_and_b64 vcc, exec, s[8:9]
	s_cbranch_vccnz .LBB166_822
; %bb.802:
	v_mov_b32_e32 v3, 8
	v_cmp_lt_i16_sdwa s[8:9], s33, v3 src0_sel:BYTE_0 src1_sel:DWORD
	s_and_b64 vcc, exec, s[8:9]
	s_cbranch_vccnz .LBB166_812
; %bb.803:
	v_mov_b32_e32 v3, 9
	v_cmp_lt_i16_sdwa s[8:9], s33, v3 src0_sel:BYTE_0 src1_sel:DWORD
	s_and_b64 vcc, exec, s[8:9]
	s_cbranch_vccnz .LBB166_809
; %bb.804:
	v_cmp_gt_i16_sdwa s[8:9], s33, v3 src0_sel:BYTE_0 src1_sel:DWORD
	s_and_b64 vcc, exec, s[8:9]
	s_cbranch_vccz .LBB166_806
; %bb.805:
	v_mov_b32_e32 v6, 0
	v_cvt_f64_u32_e32 v[4:5], s23
	v_mov_b32_e32 v7, v6
	global_store_dwordx4 v[0:1], v[4:7], off
	s_mov_b64 s[6:7], 0
.LBB166_806:
	s_andn2_b64 vcc, exec, s[6:7]
	s_cbranch_vccnz .LBB166_808
; %bb.807:
	v_cvt_f32_u32_e32 v4, s23
	v_mov_b32_e32 v5, 0
	global_store_dwordx2 v[0:1], v[4:5], off
.LBB166_808:
	s_mov_b64 s[6:7], 0
.LBB166_809:
	s_andn2_b64 vcc, exec, s[6:7]
	s_cbranch_vccnz .LBB166_811
; %bb.810:
	v_cvt_f32_u32_e32 v3, s23
	v_cvt_f16_f32_e32 v3, v3
	global_store_dword v[0:1], v3, off
.LBB166_811:
	s_mov_b64 s[6:7], 0
.LBB166_812:
	s_andn2_b64 vcc, exec, s[6:7]
	s_cbranch_vccnz .LBB166_821
; %bb.813:
	v_mov_b32_e32 v3, 6
	v_cmp_lt_i16_sdwa s[8:9], s33, v3 src0_sel:BYTE_0 src1_sel:DWORD
	s_mov_b64 s[6:7], -1
	s_and_b64 vcc, exec, s[8:9]
	s_cbranch_vccnz .LBB166_819
; %bb.814:
	v_cmp_gt_i16_sdwa s[8:9], s33, v3 src0_sel:BYTE_0 src1_sel:DWORD
	s_and_b64 vcc, exec, s[8:9]
	s_cbranch_vccz .LBB166_816
; %bb.815:
	v_cvt_f64_u32_e32 v[4:5], s23
	global_store_dwordx2 v[0:1], v[4:5], off
	s_mov_b64 s[6:7], 0
.LBB166_816:
	s_andn2_b64 vcc, exec, s[6:7]
	s_cbranch_vccnz .LBB166_818
; %bb.817:
	v_cvt_f32_u32_e32 v3, s23
	global_store_dword v[0:1], v3, off
.LBB166_818:
	s_mov_b64 s[6:7], 0
.LBB166_819:
	s_andn2_b64 vcc, exec, s[6:7]
	s_cbranch_vccnz .LBB166_821
; %bb.820:
	v_cvt_f32_u32_e32 v3, s23
	v_cvt_f16_f32_e32 v3, v3
	global_store_short v[0:1], v3, off
.LBB166_821:
	s_mov_b64 s[6:7], 0
.LBB166_822:
	s_andn2_b64 vcc, exec, s[6:7]
	s_cbranch_vccnz .LBB166_838
; %bb.823:
	v_mov_b32_e32 v3, 2
	v_cmp_lt_i16_sdwa s[8:9], s33, v3 src0_sel:BYTE_0 src1_sel:DWORD
	s_mov_b64 s[6:7], -1
	s_and_b64 vcc, exec, s[8:9]
	s_cbranch_vccnz .LBB166_833
; %bb.824:
	v_mov_b32_e32 v3, 3
	v_cmp_lt_i16_sdwa s[8:9], s33, v3 src0_sel:BYTE_0 src1_sel:DWORD
	s_and_b64 vcc, exec, s[8:9]
	s_cbranch_vccnz .LBB166_830
; %bb.825:
	v_cmp_gt_i16_sdwa s[8:9], s33, v3 src0_sel:BYTE_0 src1_sel:DWORD
	s_and_b64 vcc, exec, s[8:9]
	s_cbranch_vccz .LBB166_827
; %bb.826:
	v_mov_b32_e32 v4, s23
	v_mov_b32_e32 v5, 0
	global_store_dwordx2 v[0:1], v[4:5], off
	s_mov_b64 s[6:7], 0
.LBB166_827:
	s_andn2_b64 vcc, exec, s[6:7]
	s_cbranch_vccnz .LBB166_829
; %bb.828:
	v_mov_b32_e32 v3, s23
	global_store_dword v[0:1], v3, off
.LBB166_829:
	s_mov_b64 s[6:7], 0
.LBB166_830:
	s_andn2_b64 vcc, exec, s[6:7]
	s_cbranch_vccnz .LBB166_832
; %bb.831:
	v_mov_b32_e32 v3, s23
	global_store_short v[0:1], v3, off
.LBB166_832:
	s_mov_b64 s[6:7], 0
.LBB166_833:
	s_andn2_b64 vcc, exec, s[6:7]
	s_cbranch_vccnz .LBB166_838
; %bb.834:
	v_mov_b32_e32 v3, 0
	v_cmp_gt_i16_sdwa s[8:9], s33, v3 src0_sel:BYTE_0 src1_sel:DWORD
	s_mov_b64 s[6:7], -1
	s_and_b64 vcc, exec, s[8:9]
	s_cbranch_vccz .LBB166_836
; %bb.835:
	v_mov_b32_e32 v3, s23
	global_store_byte v[0:1], v3, off
	s_mov_b64 s[6:7], 0
.LBB166_836:
	s_andn2_b64 vcc, exec, s[6:7]
	s_cbranch_vccnz .LBB166_838
; %bb.837:
	v_mov_b32_e32 v3, s23
	global_store_byte v[0:1], v3, off
.LBB166_838:
	s_branch .LBB166_674
.LBB166_839:
	s_mov_b64 s[6:7], 0
	s_mov_b64 s[8:9], 0
                                        ; implicit-def: $vgpr2
                                        ; implicit-def: $vgpr0_vgpr1
.LBB166_840:
	s_andn2_b64 s[0:1], s[0:1], exec
	s_and_b64 s[4:5], s[4:5], exec
	s_and_b64 s[6:7], s[6:7], exec
	s_and_b64 s[18:19], s[8:9], exec
	s_or_b64 s[0:1], s[0:1], s[4:5]
	s_or_b64 exec, exec, s[2:3]
	s_and_saveexec_b64 s[2:3], s[0:1]
	s_cbranch_execnz .LBB166_413
.LBB166_841:
	s_or_b64 exec, exec, s[2:3]
	s_and_saveexec_b64 s[0:1], s[18:19]
	s_xor_b64 s[0:1], exec, s[0:1]
	s_cbranch_execz .LBB166_414
.LBB166_842:
	s_cmp_lg_u32 s23, 0
	s_cselect_b64 s[2:3], -1, 0
	v_cndmask_b32_e64 v3, 0, 1, s[2:3]
	global_store_byte v[0:1], v3, off
	s_or_b64 exec, exec, s[0:1]
	s_and_saveexec_b64 s[0:1], s[6:7]
	s_cbranch_execz .LBB166_880
.LBB166_843:
	v_cmp_gt_i16_e32 vcc, 5, v2
	s_mov_b64 s[0:1], -1
	s_cbranch_vccnz .LBB166_864
; %bb.844:
	v_cmp_gt_i16_e32 vcc, 8, v2
	s_cbranch_vccnz .LBB166_854
; %bb.845:
	v_cmp_gt_i16_e32 vcc, 9, v2
	s_cbranch_vccnz .LBB166_851
; %bb.846:
	v_cmp_lt_i16_e32 vcc, 9, v2
	s_cbranch_vccz .LBB166_848
; %bb.847:
	v_mov_b32_e32 v6, 0
	v_cvt_f64_u32_e32 v[4:5], s23
	v_mov_b32_e32 v7, v6
	global_store_dwordx4 v[0:1], v[4:7], off
	s_mov_b64 s[0:1], 0
.LBB166_848:
	s_andn2_b64 vcc, exec, s[0:1]
	s_cbranch_vccnz .LBB166_850
; %bb.849:
	v_cvt_f32_u32_e32 v4, s23
	v_mov_b32_e32 v5, 0
	global_store_dwordx2 v[0:1], v[4:5], off
.LBB166_850:
	s_mov_b64 s[0:1], 0
.LBB166_851:
	s_andn2_b64 vcc, exec, s[0:1]
	s_cbranch_vccnz .LBB166_853
; %bb.852:
	v_cvt_f32_u32_e32 v3, s23
	v_cvt_f16_f32_e32 v3, v3
	global_store_dword v[0:1], v3, off
.LBB166_853:
	s_mov_b64 s[0:1], 0
.LBB166_854:
	s_andn2_b64 vcc, exec, s[0:1]
	s_cbranch_vccnz .LBB166_863
; %bb.855:
	v_cmp_gt_i16_e32 vcc, 6, v2
	s_mov_b64 s[0:1], -1
	s_cbranch_vccnz .LBB166_861
; %bb.856:
	v_cmp_lt_i16_e32 vcc, 6, v2
	s_cbranch_vccz .LBB166_858
; %bb.857:
	v_cvt_f64_u32_e32 v[4:5], s23
	global_store_dwordx2 v[0:1], v[4:5], off
	s_mov_b64 s[0:1], 0
.LBB166_858:
	s_andn2_b64 vcc, exec, s[0:1]
	s_cbranch_vccnz .LBB166_860
; %bb.859:
	v_cvt_f32_u32_e32 v3, s23
	global_store_dword v[0:1], v3, off
.LBB166_860:
	s_mov_b64 s[0:1], 0
.LBB166_861:
	s_andn2_b64 vcc, exec, s[0:1]
	s_cbranch_vccnz .LBB166_863
; %bb.862:
	v_cvt_f32_u32_e32 v3, s23
	v_cvt_f16_f32_e32 v3, v3
	global_store_short v[0:1], v3, off
.LBB166_863:
	s_mov_b64 s[0:1], 0
.LBB166_864:
	s_andn2_b64 vcc, exec, s[0:1]
	s_cbranch_vccnz .LBB166_880
; %bb.865:
	v_cmp_gt_i16_e32 vcc, 2, v2
	s_mov_b64 s[0:1], -1
	s_cbranch_vccnz .LBB166_875
; %bb.866:
	v_cmp_gt_i16_e32 vcc, 3, v2
	s_cbranch_vccnz .LBB166_872
; %bb.867:
	v_cmp_lt_i16_e32 vcc, 3, v2
	s_cbranch_vccz .LBB166_869
; %bb.868:
	v_mov_b32_e32 v4, s23
	v_mov_b32_e32 v5, 0
	global_store_dwordx2 v[0:1], v[4:5], off
	s_mov_b64 s[0:1], 0
.LBB166_869:
	s_andn2_b64 vcc, exec, s[0:1]
	s_cbranch_vccnz .LBB166_871
; %bb.870:
	v_mov_b32_e32 v3, s23
	global_store_dword v[0:1], v3, off
.LBB166_871:
	s_mov_b64 s[0:1], 0
.LBB166_872:
	s_andn2_b64 vcc, exec, s[0:1]
	s_cbranch_vccnz .LBB166_874
; %bb.873:
	v_mov_b32_e32 v3, s23
	global_store_short v[0:1], v3, off
.LBB166_874:
	s_mov_b64 s[0:1], 0
.LBB166_875:
	s_andn2_b64 vcc, exec, s[0:1]
	s_cbranch_vccnz .LBB166_880
; %bb.876:
	v_cmp_lt_i16_e32 vcc, 0, v2
	s_mov_b64 s[0:1], -1
	s_cbranch_vccz .LBB166_878
; %bb.877:
	v_mov_b32_e32 v2, s23
	global_store_byte v[0:1], v2, off
	s_mov_b64 s[0:1], 0
.LBB166_878:
	s_andn2_b64 vcc, exec, s[0:1]
	s_cbranch_vccnz .LBB166_880
; %bb.879:
	v_mov_b32_e32 v2, s23
	global_store_byte v[0:1], v2, off
	s_endpgm
.LBB166_880:
	s_endpgm
.LBB166_881:
	s_trap 2
	s_or_b64 s[4:5], s[4:5], exec
	s_cbranch_execz .LBB166_799
	s_branch .LBB166_800
.LBB166_882:
	s_mov_b64 s[10:11], -1
	s_mov_b64 s[8:9], 0
                                        ; implicit-def: $sgpr12
.LBB166_883:
	s_andn2_b64 vcc, exec, s[10:11]
	v_mov_b32_e32 v4, s12
                                        ; implicit-def: $sgpr10
	s_cbranch_vccnz .LBB166_885
; %bb.884:
	v_add_f32_e32 v3, 0x42800000, v3
	v_and_b32_e32 v4, 0xff, v3
	s_mov_b32 s10, 0
	v_cmp_ne_u32_e64 s[8:9], 0, v4
.LBB166_885:
	s_andn2_b64 vcc, exec, s[8:9]
	v_mov_b32_e32 v5, s10
	s_cbranch_vccnz .LBB166_887
; %bb.886:
	v_mov_b32_e32 v5, v4
.LBB166_887:
	s_mov_b64 s[8:9], 0
	global_store_byte v[0:1], v5, off
.LBB166_888:
	s_and_b64 vcc, exec, s[8:9]
	s_cbranch_vccz .LBB166_900
; %bb.889:
	v_cvt_f32_u32_e32 v3, s23
	s_mov_b32 s8, 0x43f00000
	v_cmp_gt_u32_e32 vcc, s8, v3
	v_readfirstlane_b32 s10, v3
	s_cbranch_vccz .LBB166_892
; %bb.890:
	s_cmp_gt_u32 s10, 0x3c7fffff
	s_cbranch_scc0 .LBB166_893
; %bb.891:
	s_bfe_u32 s8, s10, 0x10014
	s_add_i32 s8, s10, s8
	s_add_i32 s8, s8, 0x407ffff
	s_lshr_b32 s9, s8, 20
	s_and_b32 s8, s8, 0xff00000
	s_cmp_lg_u32 s8, 0x7f00000
	s_cselect_b32 s11, s9, 0x7e
	s_mov_b64 s[8:9], 0
	s_branch .LBB166_894
.LBB166_892:
	s_mov_b64 s[8:9], -1
                                        ; implicit-def: $vgpr4
	s_branch .LBB166_897
.LBB166_893:
	s_mov_b64 s[8:9], -1
                                        ; implicit-def: $sgpr11
.LBB166_894:
	s_andn2_b64 vcc, exec, s[8:9]
	v_mov_b32_e32 v4, s11
	s_cbranch_vccnz .LBB166_896
; %bb.895:
	v_add_f32_e32 v4, 0x46800000, v3
.LBB166_896:
	s_mov_b64 s[8:9], 0
.LBB166_897:
	s_andn2_b64 vcc, exec, s[8:9]
	s_cbranch_vccnz .LBB166_899
; %bb.898:
	s_cmp_gt_u32 s10, 0x7f800000
	s_movk_i32 s8, 0x7f
	s_cselect_b32 s8, s8, 0x7e
	v_mov_b32_e32 v4, s8
.LBB166_899:
	global_store_byte v[0:1], v4, off
.LBB166_900:
	s_mov_b64 s[8:9], 0
.LBB166_901:
	s_andn2_b64 vcc, exec, s[8:9]
	s_cbranch_vccnz .LBB166_913
; %bb.902:
	v_cvt_f32_u32_e32 v3, s23
	s_mov_b32 s8, 0x47800000
	v_cmp_gt_u32_e32 vcc, s8, v3
	v_readfirstlane_b32 s10, v3
	s_cbranch_vccz .LBB166_905
; %bb.903:
	s_cmp_gt_u32 s10, 0x387fffff
	s_cbranch_scc0 .LBB166_906
; %bb.904:
	s_bfe_u32 s8, s10, 0x10015
	s_add_i32 s8, s10, s8
	s_add_i32 s8, s8, 0x80fffff
	s_lshr_b32 s11, s8, 21
	s_mov_b64 s[8:9], 0
	s_branch .LBB166_907
.LBB166_905:
	s_mov_b64 s[8:9], -1
                                        ; implicit-def: $vgpr4
	s_branch .LBB166_910
.LBB166_906:
	s_mov_b64 s[8:9], -1
                                        ; implicit-def: $sgpr11
.LBB166_907:
	s_andn2_b64 vcc, exec, s[8:9]
	v_mov_b32_e32 v4, s11
	s_cbranch_vccnz .LBB166_909
; %bb.908:
	v_add_f32_e32 v4, 0x43000000, v3
.LBB166_909:
	s_mov_b64 s[8:9], 0
.LBB166_910:
	s_andn2_b64 vcc, exec, s[8:9]
	s_cbranch_vccnz .LBB166_912
; %bb.911:
	s_cmp_gt_u32 s10, 0x7f800000
	s_movk_i32 s8, 0x7f
	s_cselect_b32 s8, s8, 0x7c
	v_mov_b32_e32 v4, s8
.LBB166_912:
	global_store_byte v[0:1], v4, off
.LBB166_913:
	s_mov_b64 s[8:9], 0
.LBB166_914:
	s_andn2_b64 vcc, exec, s[8:9]
	s_mov_b64 s[8:9], 0
	s_cbranch_vccnz .LBB166_921
; %bb.915:
	v_cmp_lt_i16_e32 vcc, 14, v2
	s_mov_b64 s[10:11], -1
	s_cbranch_vccz .LBB166_919
; %bb.916:
	v_cmp_eq_u16_e32 vcc, 15, v2
	s_mov_b64 s[6:7], -1
	s_cbranch_vccz .LBB166_918
; %bb.917:
	v_cvt_f32_u32_e32 v3, s23
	s_mov_b64 s[6:7], 0
	v_bfe_u32 v4, v3, 16, 1
	v_add_u32_e32 v3, v3, v4
	v_add_u32_e32 v3, 0x7fff, v3
	global_store_short_d16_hi v[0:1], v3, off
.LBB166_918:
	s_mov_b64 s[10:11], 0
.LBB166_919:
	s_and_b64 vcc, exec, s[10:11]
	s_cbranch_vccz .LBB166_921
; %bb.920:
	v_cmp_ne_u16_e64 s[6:7], 11, v2
	s_mov_b64 s[8:9], -1
.LBB166_921:
	s_and_b64 vcc, exec, s[6:7]
	s_cbranch_vccnz .LBB166_923
.LBB166_922:
	s_mov_b64 s[6:7], 0
	s_branch .LBB166_840
.LBB166_923:
	s_mov_b64 s[8:9], 0
	s_or_b64 s[4:5], s[4:5], exec
	s_trap 2
	s_branch .LBB166_922
	.section	.rodata,"a",@progbits
	.p2align	6, 0x0
	.amdhsa_kernel _ZN2at6native32elementwise_kernel_manual_unrollILi128ELi4EZNS0_15gpu_kernel_implINS0_11FillFunctorIjEEEEvRNS_18TensorIteratorBaseERKT_EUlibE_EEviT1_
		.amdhsa_group_segment_fixed_size 0
		.amdhsa_private_segment_fixed_size 0
		.amdhsa_kernarg_size 32
		.amdhsa_user_sgpr_count 6
		.amdhsa_user_sgpr_private_segment_buffer 1
		.amdhsa_user_sgpr_dispatch_ptr 0
		.amdhsa_user_sgpr_queue_ptr 0
		.amdhsa_user_sgpr_kernarg_segment_ptr 1
		.amdhsa_user_sgpr_dispatch_id 0
		.amdhsa_user_sgpr_flat_scratch_init 0
		.amdhsa_user_sgpr_kernarg_preload_length 0
		.amdhsa_user_sgpr_kernarg_preload_offset 0
		.amdhsa_user_sgpr_private_segment_size 0
		.amdhsa_uses_dynamic_stack 0
		.amdhsa_system_sgpr_private_segment_wavefront_offset 0
		.amdhsa_system_sgpr_workgroup_id_x 1
		.amdhsa_system_sgpr_workgroup_id_y 0
		.amdhsa_system_sgpr_workgroup_id_z 0
		.amdhsa_system_sgpr_workgroup_info 0
		.amdhsa_system_vgpr_workitem_id 0
		.amdhsa_next_free_vgpr 24
		.amdhsa_next_free_sgpr 54
		.amdhsa_accum_offset 24
		.amdhsa_reserve_vcc 1
		.amdhsa_reserve_flat_scratch 0
		.amdhsa_float_round_mode_32 0
		.amdhsa_float_round_mode_16_64 0
		.amdhsa_float_denorm_mode_32 3
		.amdhsa_float_denorm_mode_16_64 3
		.amdhsa_dx10_clamp 1
		.amdhsa_ieee_mode 1
		.amdhsa_fp16_overflow 0
		.amdhsa_tg_split 0
		.amdhsa_exception_fp_ieee_invalid_op 0
		.amdhsa_exception_fp_denorm_src 0
		.amdhsa_exception_fp_ieee_div_zero 0
		.amdhsa_exception_fp_ieee_overflow 0
		.amdhsa_exception_fp_ieee_underflow 0
		.amdhsa_exception_fp_ieee_inexact 0
		.amdhsa_exception_int_div_zero 0
	.end_amdhsa_kernel
	.section	.text._ZN2at6native32elementwise_kernel_manual_unrollILi128ELi4EZNS0_15gpu_kernel_implINS0_11FillFunctorIjEEEEvRNS_18TensorIteratorBaseERKT_EUlibE_EEviT1_,"axG",@progbits,_ZN2at6native32elementwise_kernel_manual_unrollILi128ELi4EZNS0_15gpu_kernel_implINS0_11FillFunctorIjEEEEvRNS_18TensorIteratorBaseERKT_EUlibE_EEviT1_,comdat
.Lfunc_end166:
	.size	_ZN2at6native32elementwise_kernel_manual_unrollILi128ELi4EZNS0_15gpu_kernel_implINS0_11FillFunctorIjEEEEvRNS_18TensorIteratorBaseERKT_EUlibE_EEviT1_, .Lfunc_end166-_ZN2at6native32elementwise_kernel_manual_unrollILi128ELi4EZNS0_15gpu_kernel_implINS0_11FillFunctorIjEEEEvRNS_18TensorIteratorBaseERKT_EUlibE_EEviT1_
                                        ; -- End function
	.section	.AMDGPU.csdata,"",@progbits
; Kernel info:
; codeLenInByte = 13372
; NumSgprs: 58
; NumVgprs: 24
; NumAgprs: 0
; TotalNumVgprs: 24
; ScratchSize: 0
; MemoryBound: 0
; FloatMode: 240
; IeeeMode: 1
; LDSByteSize: 0 bytes/workgroup (compile time only)
; SGPRBlocks: 7
; VGPRBlocks: 2
; NumSGPRsForWavesPerEU: 58
; NumVGPRsForWavesPerEU: 24
; AccumOffset: 24
; Occupancy: 8
; WaveLimiterHint : 0
; COMPUTE_PGM_RSRC2:SCRATCH_EN: 0
; COMPUTE_PGM_RSRC2:USER_SGPR: 6
; COMPUTE_PGM_RSRC2:TRAP_HANDLER: 0
; COMPUTE_PGM_RSRC2:TGID_X_EN: 1
; COMPUTE_PGM_RSRC2:TGID_Y_EN: 0
; COMPUTE_PGM_RSRC2:TGID_Z_EN: 0
; COMPUTE_PGM_RSRC2:TIDIG_COMP_CNT: 0
; COMPUTE_PGM_RSRC3_GFX90A:ACCUM_OFFSET: 5
; COMPUTE_PGM_RSRC3_GFX90A:TG_SPLIT: 0
	.section	.text._ZN2at6native32elementwise_kernel_manual_unrollILi128ELi4EZNS0_15gpu_kernel_implINS0_11FillFunctorIjEEEEvRNS_18TensorIteratorBaseERKT_EUlibE0_EEviT1_,"axG",@progbits,_ZN2at6native32elementwise_kernel_manual_unrollILi128ELi4EZNS0_15gpu_kernel_implINS0_11FillFunctorIjEEEEvRNS_18TensorIteratorBaseERKT_EUlibE0_EEviT1_,comdat
	.protected	_ZN2at6native32elementwise_kernel_manual_unrollILi128ELi4EZNS0_15gpu_kernel_implINS0_11FillFunctorIjEEEEvRNS_18TensorIteratorBaseERKT_EUlibE0_EEviT1_ ; -- Begin function _ZN2at6native32elementwise_kernel_manual_unrollILi128ELi4EZNS0_15gpu_kernel_implINS0_11FillFunctorIjEEEEvRNS_18TensorIteratorBaseERKT_EUlibE0_EEviT1_
	.globl	_ZN2at6native32elementwise_kernel_manual_unrollILi128ELi4EZNS0_15gpu_kernel_implINS0_11FillFunctorIjEEEEvRNS_18TensorIteratorBaseERKT_EUlibE0_EEviT1_
	.p2align	8
	.type	_ZN2at6native32elementwise_kernel_manual_unrollILi128ELi4EZNS0_15gpu_kernel_implINS0_11FillFunctorIjEEEEvRNS_18TensorIteratorBaseERKT_EUlibE0_EEviT1_,@function
_ZN2at6native32elementwise_kernel_manual_unrollILi128ELi4EZNS0_15gpu_kernel_implINS0_11FillFunctorIjEEEEvRNS_18TensorIteratorBaseERKT_EUlibE0_EEviT1_: ; @_ZN2at6native32elementwise_kernel_manual_unrollILi128ELi4EZNS0_15gpu_kernel_implINS0_11FillFunctorIjEEEEvRNS_18TensorIteratorBaseERKT_EUlibE0_EEviT1_
; %bb.0:
	s_load_dword s83, s[4:5], 0x0
	s_load_dword s33, s[4:5], 0x8
	s_or_b32 s4, s4, 8
	v_lshl_or_b32 v9, s6, 9, v0
	v_or_b32_e32 v8, 0x180, v9
	s_waitcnt lgkmcnt(0)
	v_cmp_le_i32_e32 vcc, s83, v8
	s_add_i32 s82, s33, -1
	s_cmp_gt_u32 s82, 1
	s_cselect_b64 s[48:49], -1, 0
	s_mov_b64 s[34:35], 0
	s_mov_b64 s[6:7], 0
	s_and_saveexec_b64 s[0:1], vcc
	s_xor_b64 s[50:51], exec, s[0:1]
	s_cbranch_execz .LBB167_462
; %bb.1:
	s_load_dwordx2 s[58:59], s[4:5], 0xc4
	s_load_dwordx4 s[28:31], s[4:5], 0x108
	s_load_dwordx4 s[36:39], s[4:5], 0x4
	s_load_dwordx2 s[60:61], s[4:5], 0x14
	s_cmp_lg_u32 s33, 0
	s_cselect_b64 s[66:67], -1, 0
	s_waitcnt lgkmcnt(0)
	v_cvt_f32_u32_e32 v4, s30
	s_add_u32 s64, s4, 0xc4
	s_addc_u32 s65, s5, 0
	s_min_u32 s84, s82, 15
	v_and_b32_e32 v1, 0x400000, v4
	v_lshrrev_b32_e32 v0, 23, v4
	v_cmp_ne_u32_e32 vcc, 0, v1
	v_and_b32_e32 v1, 0x3fffff, v4
	s_cmp_gt_u32 s33, 1
	s_movk_i32 s0, 0xff
	v_or_b32_e32 v1, v0, v1
	s_cselect_b64 s[62:63], -1, 0
	s_cmp_lg_u32 s30, 0
	v_cmp_eq_u32_e64 s[18:19], s0, v0
	v_cmp_ne_u32_e64 s[0:1], 0, v1
	s_cselect_b64 s[20:21], -1, 0
	s_and_b64 s[0:1], vcc, s[0:1]
	v_cndmask_b32_e64 v1, 0, 1, s[0:1]
	s_mov_b32 s0, 0x43800000
	v_cmp_gt_u32_e64 s[16:17], s0, v4
	s_mov_b32 s0, 0x3bffffff
	v_add_f32_e32 v21, 0x46000000, v4
	v_add_u32_e32 v22, v0, v1
	v_cmp_lt_u32_e64 s[14:15], s0, v4
	v_bfe_u32 v0, v4, 20, 1
	v_readfirstlane_b32 s0, v21
	s_mov_b32 s2, 0x47800000
	v_add_u32_e32 v0, v4, v0
	s_and_b32 s0, s0, 0xff
	v_cmp_gt_u32_e64 s[12:13], s2, v4
	s_mov_b32 s2, 0x37ffffff
	v_add_f32_e32 v18, 0x42800000, v4
	v_add_u32_e32 v1, 0x487ffff, v0
	s_cmp_lg_u32 s0, 0
	v_cmp_lt_u32_e64 s[10:11], s2, v4
	v_readfirstlane_b32 s2, v18
	v_lshrrev_b32_e32 v20, 20, v1
	s_cselect_b64 s[56:57], -1, 0
	v_bfe_u32 v1, v4, 21, 1
	s_and_b32 s2, s2, 0xff
	v_add_u32_e32 v1, v4, v1
	s_cmp_lg_u32 s2, 0
	s_mov_b32 s2, 0x43efffff
	v_add_u32_e32 v2, 0x88fffff, v1
	v_cmp_lt_u32_e64 s[6:7], s2, v4
	s_mov_b32 s2, 0x3c800000
	v_add_u32_e32 v0, 0x407ffff, v0
	v_lshrrev_b32_e32 v17, 21, v2
	v_cmp_gt_u32_e64 s[8:9], s2, v4
	v_lshrrev_b32_e32 v2, 20, v0
	v_and_b32_e32 v0, 0xff00000, v0
	s_mov_b32 s2, 0x7f00000
	v_mov_b32_e32 v3, 0x7e
	v_cmp_ne_u32_e32 vcc, s2, v0
	v_add_u32_e32 v0, 0x80fffff, v1
	s_mov_b32 s22, 0x7f800000
	v_cndmask_b32_e32 v15, v3, v2, vcc
	v_lshrrev_b32_e32 v12, 21, v0
	v_mov_b32_e32 v0, 0x7f
	v_cmp_lt_u32_e32 vcc, s22, v4
	v_mov_b32_e32 v1, 0x7c
	v_cndmask_b32_e32 v19, v3, v0, vcc
	v_cndmask_b32_e32 v14, v1, v0, vcc
	v_bfe_u32 v0, v4, 16, 1
	v_cvt_f16_f32_e32 v8, v4
	v_add_u32_e32 v0, v4, v0
	s_mov_b32 s0, 0x477fffff
	s_mov_b32 s2, 0x38800000
	v_add_u32_e32 v0, 0x7fff, v0
	s_mov_b32 s53, 0
	s_mov_b32 s52, s30
	v_cmp_lt_u32_e64 s[0:1], s0, v4
	s_cselect_b64 s[54:55], -1, 0
	v_add_f32_e32 v16, 0x46800000, v4
	v_cmp_gt_u32_e64 s[2:3], s2, v4
	v_add_f32_e32 v13, 0x43000000, v4
	v_lshrrev_b32_e32 v11, 16, v0
	v_cndmask_b32_e64 v10, 0, 1, s[20:21]
	v_cvt_f64_u32_e32 v[0:1], s30
	v_cmp_gt_i32_e32 vcc, s83, v9
	s_mov_b64 s[22:23], -1
	s_mov_b64 s[74:75], 0
	s_mov_b64 s[68:69], 0
	s_and_saveexec_b64 s[70:71], vcc
	s_cbranch_execz .LBB167_114
; %bb.2:
	s_andn2_b64 vcc, exec, s[48:49]
	s_cbranch_vccnz .LBB167_7
; %bb.3:
	s_andn2_b64 vcc, exec, s[66:67]
	s_cbranch_vccnz .LBB167_8
; %bb.4:
	s_add_i32 s77, s84, 1
	s_mov_b32 s76, 0
	s_cmp_eq_u32 s82, 2
	v_mov_b32_e32 v2, 0
	s_cbranch_scc1 .LBB167_9
; %bb.5:
	s_and_b32 s76, s77, 28
	s_mov_b32 s78, 0
	v_mov_b32_e32 v2, 0
	s_mov_b64 s[68:69], s[4:5]
	s_mov_b64 s[72:73], s[64:65]
	v_mov_b32_e32 v5, v9
.LBB167_6:                              ; =>This Inner Loop Header: Depth=1
	s_load_dwordx8 s[20:27], s[68:69], 0x4
	s_load_dwordx4 s[40:43], s[68:69], 0x24
	s_load_dwordx4 s[44:47], s[72:73], 0x0
	s_add_u32 s68, s68, 48
	s_addc_u32 s69, s69, 0
	s_waitcnt lgkmcnt(0)
	v_mul_hi_u32 v3, s21, v5
	v_add_u32_e32 v3, v5, v3
	v_lshrrev_b32_e32 v3, s22, v3
	v_mul_lo_u32 v6, v3, s20
	v_mul_hi_u32 v7, s24, v3
	v_sub_u32_e32 v5, v5, v6
	v_add_u32_e32 v6, v3, v7
	v_lshrrev_b32_e32 v6, s25, v6
	v_mul_lo_u32 v7, v6, s23
	v_mul_hi_u32 v23, s27, v6
	v_sub_u32_e32 v3, v3, v7
	v_add_u32_e32 v7, v6, v23
	v_mul_lo_u32 v5, v5, s44
	v_mul_lo_u32 v3, v3, s45
	v_lshrrev_b32_e32 v7, s40, v7
	v_add3_u32 v2, v5, v2, v3
	v_mul_hi_u32 v5, s42, v7
	v_add_u32_e32 v5, v7, v5
	v_mul_lo_u32 v3, v7, s26
	v_lshrrev_b32_e32 v5, s43, v5
	s_add_i32 s78, s78, 4
	v_sub_u32_e32 v3, v6, v3
	v_mul_lo_u32 v6, v5, s41
	s_add_u32 s72, s72, 16
	v_sub_u32_e32 v6, v7, v6
	s_addc_u32 s73, s73, 0
	v_mul_lo_u32 v3, v3, s46
	v_mul_lo_u32 v6, v6, s47
	s_cmp_lg_u32 s76, s78
	v_add3_u32 v2, v3, v2, v6
	s_cbranch_scc1 .LBB167_6
	s_branch .LBB167_10
.LBB167_7:
                                        ; implicit-def: $vgpr2
	s_branch .LBB167_14
.LBB167_8:
	v_mov_b32_e32 v2, 0
	s_branch .LBB167_13
.LBB167_9:
	v_mov_b32_e32 v5, v9
.LBB167_10:
	s_and_b32 s24, s77, 3
	s_cmp_eq_u32 s24, 0
	s_cbranch_scc1 .LBB167_13
; %bb.11:
	s_lshl_b32 s20, s76, 2
	s_add_u32 s20, s20, s4
	s_addc_u32 s21, s5, 0
	s_add_u32 s20, s20, 0xc4
	s_addc_u32 s21, s21, 0
	s_mul_i32 s22, s76, 12
	s_add_u32 s22, s4, s22
	s_addc_u32 s23, s5, 0
.LBB167_12:                             ; =>This Inner Loop Header: Depth=1
	s_load_dwordx2 s[26:27], s[22:23], 0x4
	s_load_dword s25, s[22:23], 0xc
	s_load_dword s40, s[20:21], 0x0
	s_add_u32 s22, s22, 12
	s_addc_u32 s23, s23, 0
	s_waitcnt lgkmcnt(0)
	v_mul_hi_u32 v3, s27, v5
	v_add_u32_e32 v3, v5, v3
	v_lshrrev_b32_e32 v3, s25, v3
	s_add_u32 s20, s20, 4
	v_mul_lo_u32 v6, v3, s26
	s_addc_u32 s21, s21, 0
	s_add_i32 s24, s24, -1
	v_sub_u32_e32 v6, v5, v6
	s_cmp_lg_u32 s24, 0
	v_mov_b32_e32 v5, v3
	v_mad_u64_u32 v[2:3], s[26:27], v6, s40, v[2:3]
	s_cbranch_scc1 .LBB167_12
.LBB167_13:
	s_cbranch_execnz .LBB167_16
.LBB167_14:
	v_mul_hi_u32 v2, s37, v9
	v_add_u32_e32 v2, v9, v2
	v_lshrrev_b32_e32 v3, s38, v2
	v_mul_lo_u32 v2, v3, s36
	v_sub_u32_e32 v2, v9, v2
	s_andn2_b64 vcc, exec, s[62:63]
	v_mul_lo_u32 v2, v2, s58
	s_cbranch_vccnz .LBB167_16
; %bb.15:
	v_mul_hi_u32 v5, s60, v3
	v_add_u32_e32 v5, v3, v5
	v_lshrrev_b32_e32 v5, s61, v5
	v_mul_lo_u32 v5, v5, s39
	v_sub_u32_e32 v3, v3, v5
	v_mad_u64_u32 v[2:3], s[20:21], v3, s59, v[2:3]
.LBB167_16:
	v_mov_b32_e32 v3, s29
	v_add_co_u32_e32 v6, vcc, s28, v2
	v_mov_b32_e32 v2, 11
	v_addc_co_u32_e32 v7, vcc, 0, v3, vcc
	v_cmp_lt_i16_sdwa s[20:21], s31, v2 src0_sel:BYTE_0 src1_sel:DWORD
	s_and_b64 vcc, exec, s[20:21]
	s_cbranch_vccnz .LBB167_23
; %bb.17:
	v_mov_b32_e32 v2, 25
	v_cmp_gt_i16_sdwa s[20:21], s31, v2 src0_sel:BYTE_0 src1_sel:DWORD
	s_and_b64 vcc, exec, s[20:21]
	s_cbranch_vccz .LBB167_26
; %bb.18:
	v_mov_b32_e32 v2, 28
	v_cmp_gt_i16_sdwa s[20:21], s31, v2 src0_sel:BYTE_0 src1_sel:DWORD
	s_and_b64 vcc, exec, s[20:21]
	s_cbranch_vccz .LBB167_27
	;; [unrolled: 5-line block ×4, first 2 shown]
; %bb.21:
	v_mov_b32_e32 v2, 46
	v_cmp_eq_u16_sdwa s[22:23], s31, v2 src0_sel:BYTE_0 src1_sel:DWORD
	s_mov_b64 s[24:25], 0
	s_mov_b64 s[20:21], -1
	s_and_b64 vcc, exec, s[22:23]
	s_mov_b64 s[22:23], 0
	s_cbranch_vccz .LBB167_30
; %bb.22:
	global_store_dword v[6:7], v11, off
	s_mov_b64 s[22:23], -1
	s_mov_b64 s[20:21], 0
	s_branch .LBB167_30
.LBB167_23:
	s_mov_b64 s[20:21], 0
	s_mov_b64 s[22:23], 0
	s_cbranch_execnz .LBB167_74
.LBB167_24:
	s_andn2_b64 vcc, exec, s[22:23]
	s_cbranch_vccnz .LBB167_112
.LBB167_25:
	v_add_u32_e32 v9, 0x80, v9
	s_mov_b64 s[22:23], -1
	s_branch .LBB167_113
.LBB167_26:
	s_mov_b64 s[20:21], 0
	s_mov_b64 s[22:23], 0
	s_cbranch_execnz .LBB167_52
	s_branch .LBB167_73
.LBB167_27:
	s_mov_b64 s[24:25], -1
	s_mov_b64 s[20:21], 0
	s_mov_b64 s[22:23], 0
	s_branch .LBB167_38
.LBB167_28:
	s_mov_b64 s[24:25], -1
	s_mov_b64 s[20:21], 0
	s_mov_b64 s[22:23], 0
	s_branch .LBB167_34
.LBB167_29:
	s_mov_b64 s[24:25], -1
	s_mov_b64 s[20:21], 0
	s_mov_b64 s[22:23], 0
.LBB167_30:
	s_and_b64 vcc, exec, s[24:25]
	s_cbranch_vccz .LBB167_33
; %bb.31:
	v_mov_b32_e32 v2, 44
	v_cmp_eq_u16_sdwa s[24:25], s31, v2 src0_sel:BYTE_0 src1_sel:DWORD
	s_mov_b64 s[20:21], -1
	s_and_b64 vcc, exec, s[24:25]
	s_cbranch_vccz .LBB167_33
; %bb.32:
	v_mov_b32_e32 v2, 0xff
	v_cndmask_b32_e64 v2, v22, v2, s[18:19]
	global_store_byte v[6:7], v2, off
	s_mov_b64 s[22:23], -1
	s_mov_b64 s[20:21], 0
.LBB167_33:
	s_mov_b64 s[24:25], 0
.LBB167_34:
	s_and_b64 vcc, exec, s[24:25]
	s_cbranch_vccz .LBB167_37
; %bb.35:
	v_mov_b32_e32 v2, 29
	v_cmp_eq_u16_sdwa s[24:25], s31, v2 src0_sel:BYTE_0 src1_sel:DWORD
	s_mov_b64 s[20:21], -1
	s_and_b64 vcc, exec, s[24:25]
	s_cbranch_vccz .LBB167_37
; %bb.36:
	v_pk_mov_b32 v[2:3], s[52:53], s[52:53] op_sel:[0,1]
	global_store_dwordx2 v[6:7], v[2:3], off
	s_mov_b64 s[22:23], -1
	s_mov_b64 s[20:21], 0
.LBB167_37:
	s_mov_b64 s[24:25], 0
.LBB167_38:
	s_and_b64 vcc, exec, s[24:25]
	s_cbranch_vccz .LBB167_51
; %bb.39:
	v_mov_b32_e32 v2, 27
	v_cmp_lt_i16_sdwa s[24:25], s31, v2 src0_sel:BYTE_0 src1_sel:DWORD
	s_mov_b64 s[22:23], -1
	s_and_b64 vcc, exec, s[24:25]
	s_cbranch_vccnz .LBB167_45
; %bb.40:
	v_cmp_gt_i16_sdwa s[24:25], s31, v2 src0_sel:BYTE_0 src1_sel:DWORD
	s_and_b64 vcc, exec, s[24:25]
	s_cbranch_vccz .LBB167_42
; %bb.41:
	v_mov_b32_e32 v2, s30
	s_mov_b64 s[22:23], 0
	global_store_dword v[6:7], v2, off
.LBB167_42:
	s_andn2_b64 vcc, exec, s[22:23]
	s_cbranch_vccnz .LBB167_44
; %bb.43:
	v_mov_b32_e32 v2, s30
	global_store_short v[6:7], v2, off
.LBB167_44:
	s_mov_b64 s[22:23], 0
.LBB167_45:
	s_andn2_b64 vcc, exec, s[22:23]
	s_cbranch_vccnz .LBB167_50
; %bb.46:
	s_andn2_b64 vcc, exec, s[16:17]
	v_mov_b32_e32 v2, 0x80
	s_cbranch_vccnz .LBB167_49
; %bb.47:
	s_or_b64 s[22:23], s[14:15], s[56:57]
	s_andn2_b64 vcc, exec, s[22:23]
	v_mov_b32_e32 v2, 0
	s_cbranch_vccnz .LBB167_49
; %bb.48:
	v_cndmask_b32_e64 v2, v21, v20, s[14:15]
.LBB167_49:
	global_store_byte v[6:7], v2, off
.LBB167_50:
	s_mov_b64 s[22:23], -1
.LBB167_51:
	s_branch .LBB167_73
.LBB167_52:
	v_mov_b32_e32 v2, 22
	v_cmp_gt_i16_sdwa s[26:27], s31, v2 src0_sel:BYTE_0 src1_sel:DWORD
	s_mov_b64 s[24:25], -1
	s_and_b64 vcc, exec, s[26:27]
	s_cbranch_vccz .LBB167_65
; %bb.53:
	v_mov_b32_e32 v2, 24
	v_cmp_lt_i16_sdwa s[24:25], s31, v2 src0_sel:BYTE_0 src1_sel:DWORD
	s_mov_b64 s[22:23], -1
	s_and_b64 vcc, exec, s[24:25]
	s_cbranch_vccnz .LBB167_62
; %bb.54:
	v_cmp_gt_i16_sdwa s[24:25], s31, v2 src0_sel:BYTE_0 src1_sel:DWORD
	s_and_b64 vcc, exec, s[24:25]
	s_cbranch_vccz .LBB167_59
; %bb.55:
	s_andn2_b64 vcc, exec, s[12:13]
	v_mov_b32_e32 v2, 0x80
	s_cbranch_vccnz .LBB167_58
; %bb.56:
	s_or_b64 s[22:23], s[10:11], s[54:55]
	s_andn2_b64 vcc, exec, s[22:23]
	v_mov_b32_e32 v2, 0
	s_cbranch_vccnz .LBB167_58
; %bb.57:
	v_cndmask_b32_e64 v2, v18, v17, s[10:11]
.LBB167_58:
	s_mov_b64 s[22:23], 0
	global_store_byte v[6:7], v2, off
.LBB167_59:
	s_and_b64 vcc, exec, s[22:23]
	s_cbranch_vccz .LBB167_61
; %bb.60:
	v_cndmask_b32_e64 v2, v15, v16, s[8:9]
	v_cndmask_b32_e64 v2, v2, v19, s[6:7]
	global_store_byte v[6:7], v2, off
.LBB167_61:
	s_mov_b64 s[22:23], 0
.LBB167_62:
	s_andn2_b64 vcc, exec, s[22:23]
	s_cbranch_vccnz .LBB167_64
; %bb.63:
	v_cndmask_b32_e64 v2, v12, v13, s[2:3]
	v_cndmask_b32_e64 v2, v2, v14, s[0:1]
	global_store_byte v[6:7], v2, off
.LBB167_64:
	s_mov_b64 s[24:25], 0
	s_mov_b64 s[22:23], -1
.LBB167_65:
	s_andn2_b64 vcc, exec, s[24:25]
	s_cbranch_vccnz .LBB167_73
; %bb.66:
	v_mov_b32_e32 v2, 14
	v_cmp_gt_i16_sdwa s[26:27], s31, v2 src0_sel:BYTE_0 src1_sel:DWORD
	s_mov_b64 s[24:25], -1
	s_and_b64 vcc, exec, s[26:27]
	s_cbranch_vccz .LBB167_70
; %bb.67:
	v_mov_b32_e32 v2, 15
	v_cmp_eq_u16_sdwa s[24:25], s31, v2 src0_sel:BYTE_0 src1_sel:DWORD
	s_mov_b64 s[20:21], -1
	s_and_b64 vcc, exec, s[24:25]
	s_cbranch_vccz .LBB167_69
; %bb.68:
	global_store_short v[6:7], v11, off
	s_mov_b64 s[22:23], -1
	s_mov_b64 s[20:21], 0
.LBB167_69:
	s_mov_b64 s[24:25], 0
.LBB167_70:
	s_and_b64 vcc, exec, s[24:25]
	s_cbranch_vccz .LBB167_73
; %bb.71:
	v_mov_b32_e32 v2, 11
	v_cmp_eq_u16_sdwa s[24:25], s31, v2 src0_sel:BYTE_0 src1_sel:DWORD
	s_mov_b64 s[20:21], -1
	s_and_b64 vcc, exec, s[24:25]
	s_cbranch_vccz .LBB167_73
; %bb.72:
	s_mov_b64 s[22:23], -1
	s_mov_b64 s[20:21], 0
	global_store_byte v[6:7], v10, off
.LBB167_73:
	s_branch .LBB167_24
.LBB167_74:
	v_mov_b32_e32 v2, 5
	v_cmp_lt_i16_sdwa s[24:25], s31, v2 src0_sel:BYTE_0 src1_sel:DWORD
	s_mov_b64 s[22:23], -1
	s_and_b64 vcc, exec, s[24:25]
	s_cbranch_vccnz .LBB167_95
; %bb.75:
	v_mov_b32_e32 v2, 8
	v_cmp_lt_i16_sdwa s[24:25], s31, v2 src0_sel:BYTE_0 src1_sel:DWORD
	s_and_b64 vcc, exec, s[24:25]
	s_cbranch_vccnz .LBB167_85
; %bb.76:
	v_mov_b32_e32 v2, 9
	v_cmp_lt_i16_sdwa s[24:25], s31, v2 src0_sel:BYTE_0 src1_sel:DWORD
	s_and_b64 vcc, exec, s[24:25]
	s_cbranch_vccnz .LBB167_82
; %bb.77:
	v_cmp_gt_i16_sdwa s[24:25], s31, v2 src0_sel:BYTE_0 src1_sel:DWORD
	s_and_b64 vcc, exec, s[24:25]
	s_cbranch_vccz .LBB167_79
; %bb.78:
	v_mov_b32_e32 v2, 0
	v_mov_b32_e32 v3, v2
	global_store_dwordx4 v[6:7], v[0:3], off
	s_mov_b64 s[22:23], 0
.LBB167_79:
	s_andn2_b64 vcc, exec, s[22:23]
	s_cbranch_vccnz .LBB167_81
; %bb.80:
	v_mov_b32_e32 v5, 0
	global_store_dwordx2 v[6:7], v[4:5], off
.LBB167_81:
	s_mov_b64 s[22:23], 0
.LBB167_82:
	s_andn2_b64 vcc, exec, s[22:23]
	s_cbranch_vccnz .LBB167_84
; %bb.83:
	global_store_dword v[6:7], v8, off
.LBB167_84:
	s_mov_b64 s[22:23], 0
.LBB167_85:
	s_andn2_b64 vcc, exec, s[22:23]
	s_cbranch_vccnz .LBB167_94
; %bb.86:
	v_mov_b32_e32 v2, 6
	v_cmp_lt_i16_sdwa s[24:25], s31, v2 src0_sel:BYTE_0 src1_sel:DWORD
	s_mov_b64 s[22:23], -1
	s_and_b64 vcc, exec, s[24:25]
	s_cbranch_vccnz .LBB167_92
; %bb.87:
	v_cmp_gt_i16_sdwa s[24:25], s31, v2 src0_sel:BYTE_0 src1_sel:DWORD
	s_and_b64 vcc, exec, s[24:25]
	s_cbranch_vccz .LBB167_89
; %bb.88:
	global_store_dwordx2 v[6:7], v[0:1], off
	s_mov_b64 s[22:23], 0
.LBB167_89:
	s_andn2_b64 vcc, exec, s[22:23]
	s_cbranch_vccnz .LBB167_91
; %bb.90:
	global_store_dword v[6:7], v4, off
.LBB167_91:
	s_mov_b64 s[22:23], 0
.LBB167_92:
	s_andn2_b64 vcc, exec, s[22:23]
	s_cbranch_vccnz .LBB167_94
; %bb.93:
	global_store_short v[6:7], v8, off
.LBB167_94:
	s_mov_b64 s[22:23], 0
.LBB167_95:
	s_andn2_b64 vcc, exec, s[22:23]
	s_cbranch_vccnz .LBB167_111
; %bb.96:
	v_mov_b32_e32 v2, 2
	v_cmp_lt_i16_sdwa s[24:25], s31, v2 src0_sel:BYTE_0 src1_sel:DWORD
	s_mov_b64 s[22:23], -1
	s_and_b64 vcc, exec, s[24:25]
	s_cbranch_vccnz .LBB167_106
; %bb.97:
	v_mov_b32_e32 v2, 3
	v_cmp_lt_i16_sdwa s[24:25], s31, v2 src0_sel:BYTE_0 src1_sel:DWORD
	s_and_b64 vcc, exec, s[24:25]
	s_cbranch_vccnz .LBB167_103
; %bb.98:
	v_cmp_gt_i16_sdwa s[24:25], s31, v2 src0_sel:BYTE_0 src1_sel:DWORD
	s_and_b64 vcc, exec, s[24:25]
	s_cbranch_vccz .LBB167_100
; %bb.99:
	v_pk_mov_b32 v[2:3], s[52:53], s[52:53] op_sel:[0,1]
	global_store_dwordx2 v[6:7], v[2:3], off
	s_mov_b64 s[22:23], 0
.LBB167_100:
	s_andn2_b64 vcc, exec, s[22:23]
	s_cbranch_vccnz .LBB167_102
; %bb.101:
	v_mov_b32_e32 v2, s30
	global_store_dword v[6:7], v2, off
.LBB167_102:
	s_mov_b64 s[22:23], 0
.LBB167_103:
	s_andn2_b64 vcc, exec, s[22:23]
	s_cbranch_vccnz .LBB167_105
; %bb.104:
	v_mov_b32_e32 v2, s30
	global_store_short v[6:7], v2, off
.LBB167_105:
	s_mov_b64 s[22:23], 0
.LBB167_106:
	s_andn2_b64 vcc, exec, s[22:23]
	s_cbranch_vccnz .LBB167_111
; %bb.107:
	v_mov_b32_e32 v2, 0
	v_cmp_gt_i16_sdwa s[24:25], s31, v2 src0_sel:BYTE_0 src1_sel:DWORD
	s_mov_b64 s[22:23], -1
	s_and_b64 vcc, exec, s[24:25]
	s_cbranch_vccz .LBB167_109
; %bb.108:
	v_mov_b32_e32 v2, s30
	global_store_byte v[6:7], v2, off
	s_mov_b64 s[22:23], 0
.LBB167_109:
	s_andn2_b64 vcc, exec, s[22:23]
	s_cbranch_vccnz .LBB167_111
; %bb.110:
	v_mov_b32_e32 v2, s30
	global_store_byte v[6:7], v2, off
.LBB167_111:
	s_branch .LBB167_25
.LBB167_112:
	s_mov_b64 s[22:23], 0
                                        ; implicit-def: $vgpr9
.LBB167_113:
	s_and_b64 s[68:69], s[20:21], exec
	s_orn2_b64 s[22:23], s[22:23], exec
.LBB167_114:
	s_or_b64 exec, exec, s[70:71]
	s_mov_b64 s[20:21], 0
                                        ; implicit-def: $vgpr23
                                        ; implicit-def: $vgpr6_vgpr7
	s_and_saveexec_b64 s[70:71], s[22:23]
	s_cbranch_execz .LBB167_121
; %bb.115:
	v_cmp_gt_i32_e32 vcc, s83, v9
	s_mov_b64 s[20:21], -1
	s_mov_b64 s[72:73], s[68:69]
	s_and_saveexec_b64 s[74:75], vcc
	s_cbranch_execz .LBB167_232
; %bb.116:
	s_andn2_b64 vcc, exec, s[48:49]
	s_cbranch_vccnz .LBB167_124
; %bb.117:
	s_andn2_b64 vcc, exec, s[66:67]
	s_cbranch_vccnz .LBB167_125
; %bb.118:
	s_add_i32 s79, s84, 1
	s_mov_b32 s78, 0
	s_cmp_eq_u32 s82, 2
	v_mov_b32_e32 v2, 0
	s_cbranch_scc1 .LBB167_126
; %bb.119:
	s_and_b32 s78, s79, 28
	s_mov_b32 s80, 0
	v_mov_b32_e32 v2, 0
	s_mov_b64 s[72:73], s[4:5]
	s_mov_b64 s[76:77], s[64:65]
	v_mov_b32_e32 v5, v9
.LBB167_120:                            ; =>This Inner Loop Header: Depth=1
	s_load_dwordx8 s[20:27], s[72:73], 0x4
	s_load_dwordx4 s[40:43], s[72:73], 0x24
	s_load_dwordx4 s[44:47], s[76:77], 0x0
	s_add_u32 s72, s72, 48
	s_addc_u32 s73, s73, 0
	s_waitcnt lgkmcnt(0)
	v_mul_hi_u32 v3, s21, v5
	v_add_u32_e32 v3, v5, v3
	v_lshrrev_b32_e32 v3, s22, v3
	v_mul_lo_u32 v6, v3, s20
	v_mul_hi_u32 v7, s24, v3
	v_sub_u32_e32 v5, v5, v6
	v_add_u32_e32 v6, v3, v7
	v_lshrrev_b32_e32 v6, s25, v6
	v_mul_lo_u32 v7, v6, s23
	v_mul_hi_u32 v23, s27, v6
	v_sub_u32_e32 v3, v3, v7
	v_add_u32_e32 v7, v6, v23
	v_mul_lo_u32 v5, v5, s44
	v_mul_lo_u32 v3, v3, s45
	v_lshrrev_b32_e32 v7, s40, v7
	v_add3_u32 v2, v5, v2, v3
	v_mul_hi_u32 v5, s42, v7
	v_add_u32_e32 v5, v7, v5
	v_mul_lo_u32 v3, v7, s26
	v_lshrrev_b32_e32 v5, s43, v5
	s_add_i32 s80, s80, 4
	v_sub_u32_e32 v3, v6, v3
	v_mul_lo_u32 v6, v5, s41
	s_add_u32 s76, s76, 16
	v_sub_u32_e32 v6, v7, v6
	s_addc_u32 s77, s77, 0
	v_mul_lo_u32 v3, v3, s46
	v_mul_lo_u32 v6, v6, s47
	s_cmp_eq_u32 s78, s80
	v_add3_u32 v2, v3, v2, v6
	s_cbranch_scc0 .LBB167_120
	s_branch .LBB167_127
.LBB167_121:
	s_or_b64 exec, exec, s[70:71]
	s_mov_b64 s[0:1], 0
	s_and_saveexec_b64 s[2:3], s[68:69]
	s_cbranch_execnz .LBB167_422
.LBB167_122:
	s_or_b64 exec, exec, s[2:3]
	s_and_saveexec_b64 s[2:3], s[74:75]
	s_xor_b64 s[2:3], exec, s[2:3]
	s_cbranch_execz .LBB167_423
.LBB167_123:
	global_store_byte v[6:7], v10, off
	s_or_b64 exec, exec, s[2:3]
	s_and_saveexec_b64 s[2:3], s[20:21]
	s_xor_b64 s[2:3], exec, s[2:3]
	s_cbranch_execz .LBB167_461
	s_branch .LBB167_424
.LBB167_124:
                                        ; implicit-def: $vgpr2
	s_andn2_b64 vcc, exec, s[20:21]
	s_cbranch_vccz .LBB167_131
	s_branch .LBB167_133
.LBB167_125:
	v_mov_b32_e32 v2, 0
	s_branch .LBB167_130
.LBB167_126:
	v_mov_b32_e32 v5, v9
.LBB167_127:
	s_and_b32 s24, s79, 3
	s_cmp_eq_u32 s24, 0
	s_cbranch_scc1 .LBB167_130
; %bb.128:
	s_lshl_b32 s20, s78, 2
	s_add_u32 s20, s20, s4
	s_addc_u32 s21, s5, 0
	s_add_u32 s20, s20, 0xc4
	s_addc_u32 s21, s21, 0
	s_mul_i32 s22, s78, 12
	s_add_u32 s22, s4, s22
	s_addc_u32 s23, s5, 0
.LBB167_129:                            ; =>This Inner Loop Header: Depth=1
	s_load_dwordx2 s[26:27], s[22:23], 0x4
	s_load_dword s25, s[22:23], 0xc
	s_load_dword s40, s[20:21], 0x0
	s_add_u32 s22, s22, 12
	s_addc_u32 s23, s23, 0
	s_waitcnt lgkmcnt(0)
	v_mul_hi_u32 v3, s27, v5
	v_add_u32_e32 v3, v5, v3
	v_lshrrev_b32_e32 v3, s25, v3
	s_add_u32 s20, s20, 4
	v_mul_lo_u32 v6, v3, s26
	s_addc_u32 s21, s21, 0
	s_add_i32 s24, s24, -1
	v_sub_u32_e32 v6, v5, v6
	s_cmp_lg_u32 s24, 0
	v_mov_b32_e32 v5, v3
	v_mad_u64_u32 v[2:3], s[26:27], v6, s40, v[2:3]
	s_cbranch_scc1 .LBB167_129
.LBB167_130:
	s_cbranch_execnz .LBB167_133
.LBB167_131:
	v_mul_hi_u32 v2, s37, v9
	v_add_u32_e32 v2, v9, v2
	v_lshrrev_b32_e32 v3, s38, v2
	v_mul_lo_u32 v2, v3, s36
	v_sub_u32_e32 v2, v9, v2
	s_andn2_b64 vcc, exec, s[62:63]
	v_mul_lo_u32 v2, v2, s58
	s_cbranch_vccnz .LBB167_133
; %bb.132:
	v_mul_hi_u32 v5, s60, v3
	v_add_u32_e32 v5, v3, v5
	v_lshrrev_b32_e32 v5, s61, v5
	v_mul_lo_u32 v5, v5, s39
	v_sub_u32_e32 v3, v3, v5
	v_mad_u64_u32 v[2:3], s[20:21], v3, s59, v[2:3]
.LBB167_133:
	v_mov_b32_e32 v3, s29
	v_add_co_u32_e32 v6, vcc, s28, v2
	v_mov_b32_e32 v2, 11
	v_addc_co_u32_e32 v7, vcc, 0, v3, vcc
	v_cmp_lt_i16_sdwa s[20:21], s31, v2 src0_sel:BYTE_0 src1_sel:DWORD
	s_and_b64 vcc, exec, s[20:21]
	s_cbranch_vccnz .LBB167_140
; %bb.134:
	v_mov_b32_e32 v2, 25
	v_cmp_gt_i16_sdwa s[20:21], s31, v2 src0_sel:BYTE_0 src1_sel:DWORD
	s_and_b64 vcc, exec, s[20:21]
	s_cbranch_vccz .LBB167_143
; %bb.135:
	v_mov_b32_e32 v2, 28
	v_cmp_gt_i16_sdwa s[20:21], s31, v2 src0_sel:BYTE_0 src1_sel:DWORD
	s_and_b64 vcc, exec, s[20:21]
	s_cbranch_vccz .LBB167_144
	;; [unrolled: 5-line block ×4, first 2 shown]
; %bb.138:
	v_mov_b32_e32 v2, 46
	v_cmp_eq_u16_sdwa s[22:23], s31, v2 src0_sel:BYTE_0 src1_sel:DWORD
	s_mov_b64 s[24:25], 0
	s_mov_b64 s[20:21], -1
	s_and_b64 vcc, exec, s[22:23]
	s_mov_b64 s[22:23], 0
	s_cbranch_vccz .LBB167_147
; %bb.139:
	global_store_dword v[6:7], v11, off
	s_mov_b64 s[22:23], -1
	s_mov_b64 s[20:21], 0
	s_branch .LBB167_147
.LBB167_140:
	s_mov_b64 s[22:23], 0
	s_mov_b64 s[20:21], s[68:69]
	s_cbranch_execnz .LBB167_192
.LBB167_141:
	s_andn2_b64 vcc, exec, s[22:23]
	s_cbranch_vccnz .LBB167_230
.LBB167_142:
	v_add_u32_e32 v9, 0x80, v9
	s_mov_b64 s[22:23], -1
	s_branch .LBB167_231
.LBB167_143:
	s_mov_b64 s[24:25], -1
	s_mov_b64 s[22:23], 0
	s_mov_b64 s[20:21], s[68:69]
	s_branch .LBB167_169
.LBB167_144:
	s_mov_b64 s[24:25], -1
	s_mov_b64 s[22:23], 0
	s_mov_b64 s[20:21], s[68:69]
	s_branch .LBB167_155
.LBB167_145:
	s_mov_b64 s[24:25], -1
	s_mov_b64 s[22:23], 0
	s_mov_b64 s[20:21], s[68:69]
	s_branch .LBB167_151
.LBB167_146:
	s_mov_b64 s[24:25], -1
	s_mov_b64 s[22:23], 0
	s_mov_b64 s[20:21], s[68:69]
.LBB167_147:
	s_and_b64 vcc, exec, s[24:25]
	s_cbranch_vccz .LBB167_150
; %bb.148:
	v_mov_b32_e32 v2, 44
	v_cmp_eq_u16_sdwa s[24:25], s31, v2 src0_sel:BYTE_0 src1_sel:DWORD
	s_mov_b64 s[20:21], -1
	s_and_b64 vcc, exec, s[24:25]
	s_cbranch_vccz .LBB167_150
; %bb.149:
	v_mov_b32_e32 v2, 0xff
	v_cndmask_b32_e64 v2, v22, v2, s[18:19]
	s_mov_b64 s[22:23], -1
	s_mov_b64 s[20:21], 0
	global_store_byte v[6:7], v2, off
.LBB167_150:
	s_mov_b64 s[24:25], 0
.LBB167_151:
	s_and_b64 vcc, exec, s[24:25]
	s_cbranch_vccz .LBB167_154
; %bb.152:
	v_mov_b32_e32 v2, 29
	v_cmp_eq_u16_sdwa s[24:25], s31, v2 src0_sel:BYTE_0 src1_sel:DWORD
	s_mov_b64 s[20:21], -1
	s_and_b64 vcc, exec, s[24:25]
	s_cbranch_vccz .LBB167_154
; %bb.153:
	v_pk_mov_b32 v[2:3], s[52:53], s[52:53] op_sel:[0,1]
	global_store_dwordx2 v[6:7], v[2:3], off
	s_mov_b64 s[22:23], -1
	s_mov_b64 s[20:21], 0
.LBB167_154:
	s_mov_b64 s[24:25], 0
.LBB167_155:
	s_and_b64 vcc, exec, s[24:25]
	s_cbranch_vccz .LBB167_168
; %bb.156:
	v_mov_b32_e32 v2, 27
	v_cmp_lt_i16_sdwa s[24:25], s31, v2 src0_sel:BYTE_0 src1_sel:DWORD
	s_mov_b64 s[22:23], -1
	s_and_b64 vcc, exec, s[24:25]
	s_cbranch_vccnz .LBB167_162
; %bb.157:
	v_cmp_gt_i16_sdwa s[24:25], s31, v2 src0_sel:BYTE_0 src1_sel:DWORD
	s_and_b64 vcc, exec, s[24:25]
	s_cbranch_vccz .LBB167_159
; %bb.158:
	v_mov_b32_e32 v2, s30
	s_mov_b64 s[22:23], 0
	global_store_dword v[6:7], v2, off
.LBB167_159:
	s_andn2_b64 vcc, exec, s[22:23]
	s_cbranch_vccnz .LBB167_161
; %bb.160:
	v_mov_b32_e32 v2, s30
	global_store_short v[6:7], v2, off
.LBB167_161:
	s_mov_b64 s[22:23], 0
.LBB167_162:
	s_andn2_b64 vcc, exec, s[22:23]
	s_cbranch_vccnz .LBB167_167
; %bb.163:
	s_andn2_b64 vcc, exec, s[16:17]
	v_mov_b32_e32 v2, 0x80
	s_cbranch_vccnz .LBB167_166
; %bb.164:
	s_or_b64 s[22:23], s[14:15], s[56:57]
	s_andn2_b64 vcc, exec, s[22:23]
	v_mov_b32_e32 v2, 0
	s_cbranch_vccnz .LBB167_166
; %bb.165:
	v_cndmask_b32_e64 v2, v21, v20, s[14:15]
.LBB167_166:
	global_store_byte v[6:7], v2, off
.LBB167_167:
	s_mov_b64 s[22:23], -1
.LBB167_168:
	s_mov_b64 s[24:25], 0
.LBB167_169:
	s_and_b64 vcc, exec, s[24:25]
	s_cbranch_vccz .LBB167_191
; %bb.170:
	v_mov_b32_e32 v2, 22
	v_cmp_gt_i16_sdwa s[26:27], s31, v2 src0_sel:BYTE_0 src1_sel:DWORD
	s_mov_b64 s[24:25], -1
	s_and_b64 vcc, exec, s[26:27]
	s_cbranch_vccz .LBB167_183
; %bb.171:
	v_mov_b32_e32 v2, 24
	v_cmp_lt_i16_sdwa s[24:25], s31, v2 src0_sel:BYTE_0 src1_sel:DWORD
	s_mov_b64 s[22:23], -1
	s_and_b64 vcc, exec, s[24:25]
	s_cbranch_vccnz .LBB167_180
; %bb.172:
	v_cmp_gt_i16_sdwa s[24:25], s31, v2 src0_sel:BYTE_0 src1_sel:DWORD
	s_and_b64 vcc, exec, s[24:25]
	s_cbranch_vccz .LBB167_177
; %bb.173:
	s_andn2_b64 vcc, exec, s[12:13]
	v_mov_b32_e32 v2, 0x80
	s_cbranch_vccnz .LBB167_176
; %bb.174:
	s_or_b64 s[22:23], s[10:11], s[54:55]
	s_andn2_b64 vcc, exec, s[22:23]
	v_mov_b32_e32 v2, 0
	s_cbranch_vccnz .LBB167_176
; %bb.175:
	v_cndmask_b32_e64 v2, v18, v17, s[10:11]
.LBB167_176:
	s_mov_b64 s[22:23], 0
	global_store_byte v[6:7], v2, off
.LBB167_177:
	s_and_b64 vcc, exec, s[22:23]
	s_cbranch_vccz .LBB167_179
; %bb.178:
	v_cndmask_b32_e64 v2, v15, v16, s[8:9]
	v_cndmask_b32_e64 v2, v2, v19, s[6:7]
	global_store_byte v[6:7], v2, off
.LBB167_179:
	s_mov_b64 s[22:23], 0
.LBB167_180:
	s_andn2_b64 vcc, exec, s[22:23]
	s_cbranch_vccnz .LBB167_182
; %bb.181:
	v_cndmask_b32_e64 v2, v12, v13, s[2:3]
	v_cndmask_b32_e64 v2, v2, v14, s[0:1]
	global_store_byte v[6:7], v2, off
.LBB167_182:
	s_mov_b64 s[24:25], 0
	s_mov_b64 s[22:23], -1
.LBB167_183:
	s_andn2_b64 vcc, exec, s[24:25]
	s_cbranch_vccnz .LBB167_191
; %bb.184:
	v_mov_b32_e32 v2, 14
	v_cmp_gt_i16_sdwa s[26:27], s31, v2 src0_sel:BYTE_0 src1_sel:DWORD
	s_mov_b64 s[24:25], -1
	s_and_b64 vcc, exec, s[26:27]
	s_cbranch_vccz .LBB167_188
; %bb.185:
	v_mov_b32_e32 v2, 15
	v_cmp_eq_u16_sdwa s[24:25], s31, v2 src0_sel:BYTE_0 src1_sel:DWORD
	s_mov_b64 s[20:21], -1
	s_and_b64 vcc, exec, s[24:25]
	s_cbranch_vccz .LBB167_187
; %bb.186:
	global_store_short v[6:7], v11, off
	s_mov_b64 s[22:23], -1
	s_mov_b64 s[20:21], 0
.LBB167_187:
	s_mov_b64 s[24:25], 0
.LBB167_188:
	s_and_b64 vcc, exec, s[24:25]
	s_cbranch_vccz .LBB167_191
; %bb.189:
	v_mov_b32_e32 v2, 11
	v_cmp_eq_u16_sdwa s[24:25], s31, v2 src0_sel:BYTE_0 src1_sel:DWORD
	s_mov_b64 s[20:21], -1
	s_and_b64 vcc, exec, s[24:25]
	s_cbranch_vccz .LBB167_191
; %bb.190:
	s_mov_b64 s[22:23], -1
	s_mov_b64 s[20:21], 0
	global_store_byte v[6:7], v10, off
.LBB167_191:
	s_branch .LBB167_141
.LBB167_192:
	v_mov_b32_e32 v2, 5
	v_cmp_lt_i16_sdwa s[24:25], s31, v2 src0_sel:BYTE_0 src1_sel:DWORD
	s_mov_b64 s[22:23], -1
	s_and_b64 vcc, exec, s[24:25]
	s_cbranch_vccnz .LBB167_213
; %bb.193:
	v_mov_b32_e32 v2, 8
	v_cmp_lt_i16_sdwa s[24:25], s31, v2 src0_sel:BYTE_0 src1_sel:DWORD
	s_and_b64 vcc, exec, s[24:25]
	s_cbranch_vccnz .LBB167_203
; %bb.194:
	v_mov_b32_e32 v2, 9
	v_cmp_lt_i16_sdwa s[24:25], s31, v2 src0_sel:BYTE_0 src1_sel:DWORD
	s_and_b64 vcc, exec, s[24:25]
	s_cbranch_vccnz .LBB167_200
; %bb.195:
	v_cmp_gt_i16_sdwa s[24:25], s31, v2 src0_sel:BYTE_0 src1_sel:DWORD
	s_and_b64 vcc, exec, s[24:25]
	s_cbranch_vccz .LBB167_197
; %bb.196:
	v_mov_b32_e32 v2, 0
	v_mov_b32_e32 v3, v2
	s_mov_b64 s[22:23], 0
	global_store_dwordx4 v[6:7], v[0:3], off
.LBB167_197:
	s_andn2_b64 vcc, exec, s[22:23]
	s_cbranch_vccnz .LBB167_199
; %bb.198:
	v_mov_b32_e32 v5, 0
	global_store_dwordx2 v[6:7], v[4:5], off
.LBB167_199:
	s_mov_b64 s[22:23], 0
.LBB167_200:
	s_andn2_b64 vcc, exec, s[22:23]
	s_cbranch_vccnz .LBB167_202
; %bb.201:
	global_store_dword v[6:7], v8, off
.LBB167_202:
	s_mov_b64 s[22:23], 0
.LBB167_203:
	s_andn2_b64 vcc, exec, s[22:23]
	s_cbranch_vccnz .LBB167_212
; %bb.204:
	v_mov_b32_e32 v2, 6
	v_cmp_lt_i16_sdwa s[24:25], s31, v2 src0_sel:BYTE_0 src1_sel:DWORD
	s_mov_b64 s[22:23], -1
	s_and_b64 vcc, exec, s[24:25]
	s_cbranch_vccnz .LBB167_210
; %bb.205:
	v_cmp_gt_i16_sdwa s[24:25], s31, v2 src0_sel:BYTE_0 src1_sel:DWORD
	s_and_b64 vcc, exec, s[24:25]
	s_cbranch_vccz .LBB167_207
; %bb.206:
	s_mov_b64 s[22:23], 0
	global_store_dwordx2 v[6:7], v[0:1], off
.LBB167_207:
	s_andn2_b64 vcc, exec, s[22:23]
	s_cbranch_vccnz .LBB167_209
; %bb.208:
	global_store_dword v[6:7], v4, off
.LBB167_209:
	s_mov_b64 s[22:23], 0
.LBB167_210:
	s_andn2_b64 vcc, exec, s[22:23]
	s_cbranch_vccnz .LBB167_212
; %bb.211:
	global_store_short v[6:7], v8, off
.LBB167_212:
	s_mov_b64 s[22:23], 0
.LBB167_213:
	s_andn2_b64 vcc, exec, s[22:23]
	s_cbranch_vccnz .LBB167_229
; %bb.214:
	v_mov_b32_e32 v2, 2
	v_cmp_lt_i16_sdwa s[24:25], s31, v2 src0_sel:BYTE_0 src1_sel:DWORD
	s_mov_b64 s[22:23], -1
	s_and_b64 vcc, exec, s[24:25]
	s_cbranch_vccnz .LBB167_224
; %bb.215:
	v_mov_b32_e32 v2, 3
	v_cmp_lt_i16_sdwa s[24:25], s31, v2 src0_sel:BYTE_0 src1_sel:DWORD
	s_and_b64 vcc, exec, s[24:25]
	s_cbranch_vccnz .LBB167_221
; %bb.216:
	v_cmp_gt_i16_sdwa s[24:25], s31, v2 src0_sel:BYTE_0 src1_sel:DWORD
	s_and_b64 vcc, exec, s[24:25]
	s_cbranch_vccz .LBB167_218
; %bb.217:
	v_pk_mov_b32 v[2:3], s[52:53], s[52:53] op_sel:[0,1]
	s_mov_b64 s[22:23], 0
	global_store_dwordx2 v[6:7], v[2:3], off
.LBB167_218:
	s_andn2_b64 vcc, exec, s[22:23]
	s_cbranch_vccnz .LBB167_220
; %bb.219:
	v_mov_b32_e32 v2, s30
	global_store_dword v[6:7], v2, off
.LBB167_220:
	s_mov_b64 s[22:23], 0
.LBB167_221:
	s_andn2_b64 vcc, exec, s[22:23]
	s_cbranch_vccnz .LBB167_223
; %bb.222:
	v_mov_b32_e32 v2, s30
	global_store_short v[6:7], v2, off
.LBB167_223:
	s_mov_b64 s[22:23], 0
.LBB167_224:
	s_andn2_b64 vcc, exec, s[22:23]
	s_cbranch_vccnz .LBB167_229
; %bb.225:
	v_mov_b32_e32 v2, 0
	v_cmp_gt_i16_sdwa s[24:25], s31, v2 src0_sel:BYTE_0 src1_sel:DWORD
	s_mov_b64 s[22:23], -1
	s_and_b64 vcc, exec, s[24:25]
	s_cbranch_vccz .LBB167_227
; %bb.226:
	v_mov_b32_e32 v2, s30
	s_mov_b64 s[22:23], 0
	global_store_byte v[6:7], v2, off
.LBB167_227:
	s_andn2_b64 vcc, exec, s[22:23]
	s_cbranch_vccnz .LBB167_229
; %bb.228:
	v_mov_b32_e32 v2, s30
	global_store_byte v[6:7], v2, off
.LBB167_229:
	s_branch .LBB167_142
.LBB167_230:
	s_mov_b64 s[22:23], 0
                                        ; implicit-def: $vgpr9
.LBB167_231:
	s_andn2_b64 s[24:25], s[68:69], exec
	s_and_b64 s[20:21], s[20:21], exec
	s_or_b64 s[72:73], s[24:25], s[20:21]
	s_orn2_b64 s[20:21], s[22:23], exec
.LBB167_232:
	s_or_b64 exec, exec, s[74:75]
	s_mov_b64 s[22:23], 0
	s_mov_b64 s[24:25], 0
                                        ; implicit-def: $vgpr23
                                        ; implicit-def: $vgpr6_vgpr7
	s_and_saveexec_b64 s[74:75], s[20:21]
	s_cbranch_execz .LBB167_421
; %bb.233:
	v_cmp_gt_i32_e32 vcc, s83, v9
	s_mov_b64 s[22:23], -1
	s_mov_b64 s[78:79], s[72:73]
	s_and_saveexec_b64 s[76:77], vcc
	s_cbranch_execz .LBB167_349
; %bb.234:
	s_andn2_b64 vcc, exec, s[48:49]
	s_cbranch_vccnz .LBB167_239
; %bb.235:
	s_andn2_b64 vcc, exec, s[66:67]
	s_cbranch_vccnz .LBB167_240
; %bb.236:
	s_add_i32 s86, s84, 1
	s_mov_b32 s85, 0
	s_cmp_eq_u32 s82, 2
	v_mov_b32_e32 v2, 0
	s_cbranch_scc1 .LBB167_241
; %bb.237:
	s_and_b32 s85, s86, 28
	s_mov_b32 s87, 0
	v_mov_b32_e32 v2, 0
	s_mov_b64 s[78:79], s[4:5]
	s_mov_b64 s[80:81], s[64:65]
	v_mov_b32_e32 v5, v9
.LBB167_238:                            ; =>This Inner Loop Header: Depth=1
	s_load_dwordx8 s[20:27], s[78:79], 0x4
	s_load_dwordx4 s[40:43], s[78:79], 0x24
	s_load_dwordx4 s[44:47], s[80:81], 0x0
	s_add_u32 s78, s78, 48
	s_addc_u32 s79, s79, 0
	s_waitcnt lgkmcnt(0)
	v_mul_hi_u32 v3, s21, v5
	v_add_u32_e32 v3, v5, v3
	v_lshrrev_b32_e32 v3, s22, v3
	v_mul_lo_u32 v6, v3, s20
	v_mul_hi_u32 v7, s24, v3
	v_sub_u32_e32 v5, v5, v6
	v_add_u32_e32 v6, v3, v7
	v_lshrrev_b32_e32 v6, s25, v6
	v_mul_lo_u32 v7, v6, s23
	v_mul_hi_u32 v23, s27, v6
	v_sub_u32_e32 v3, v3, v7
	v_add_u32_e32 v7, v6, v23
	v_mul_lo_u32 v5, v5, s44
	v_mul_lo_u32 v3, v3, s45
	v_lshrrev_b32_e32 v7, s40, v7
	v_add3_u32 v2, v5, v2, v3
	v_mul_hi_u32 v5, s42, v7
	v_add_u32_e32 v5, v7, v5
	v_mul_lo_u32 v3, v7, s26
	v_lshrrev_b32_e32 v5, s43, v5
	s_add_i32 s87, s87, 4
	v_sub_u32_e32 v3, v6, v3
	v_mul_lo_u32 v6, v5, s41
	s_add_u32 s80, s80, 16
	v_sub_u32_e32 v6, v7, v6
	s_addc_u32 s81, s81, 0
	v_mul_lo_u32 v3, v3, s46
	v_mul_lo_u32 v6, v6, s47
	s_cmp_eq_u32 s85, s87
	v_add3_u32 v2, v3, v2, v6
	s_cbranch_scc0 .LBB167_238
	s_branch .LBB167_242
.LBB167_239:
	s_mov_b64 s[20:21], -1
                                        ; implicit-def: $vgpr2
	s_branch .LBB167_246
.LBB167_240:
	v_mov_b32_e32 v2, 0
	s_branch .LBB167_245
.LBB167_241:
	v_mov_b32_e32 v5, v9
.LBB167_242:
	s_and_b32 s24, s86, 3
	s_cmp_eq_u32 s24, 0
	s_cbranch_scc1 .LBB167_245
; %bb.243:
	s_lshl_b32 s20, s85, 2
	s_add_u32 s20, s20, s4
	s_addc_u32 s21, s5, 0
	s_add_u32 s20, s20, 0xc4
	s_addc_u32 s21, s21, 0
	s_mul_i32 s22, s85, 12
	s_add_u32 s22, s4, s22
	s_addc_u32 s23, s5, 0
.LBB167_244:                            ; =>This Inner Loop Header: Depth=1
	s_load_dwordx2 s[26:27], s[22:23], 0x4
	s_load_dword s25, s[22:23], 0xc
	s_load_dword s40, s[20:21], 0x0
	s_add_u32 s22, s22, 12
	s_addc_u32 s23, s23, 0
	s_waitcnt lgkmcnt(0)
	v_mul_hi_u32 v3, s27, v5
	v_add_u32_e32 v3, v5, v3
	v_lshrrev_b32_e32 v3, s25, v3
	s_add_u32 s20, s20, 4
	v_mul_lo_u32 v6, v3, s26
	s_addc_u32 s21, s21, 0
	s_add_i32 s24, s24, -1
	v_sub_u32_e32 v6, v5, v6
	s_cmp_lg_u32 s24, 0
	v_mov_b32_e32 v5, v3
	v_mad_u64_u32 v[2:3], s[26:27], v6, s40, v[2:3]
	s_cbranch_scc1 .LBB167_244
.LBB167_245:
	s_mov_b64 s[20:21], 0
.LBB167_246:
	s_andn2_b64 vcc, exec, s[20:21]
	s_cbranch_vccnz .LBB167_249
; %bb.247:
	v_mul_hi_u32 v2, s37, v9
	v_add_u32_e32 v2, v9, v2
	v_lshrrev_b32_e32 v3, s38, v2
	v_mul_lo_u32 v2, v3, s36
	v_sub_u32_e32 v2, v9, v2
	s_andn2_b64 vcc, exec, s[62:63]
	v_mul_lo_u32 v2, v2, s58
	s_cbranch_vccnz .LBB167_249
; %bb.248:
	v_mul_hi_u32 v5, s60, v3
	v_add_u32_e32 v5, v3, v5
	v_lshrrev_b32_e32 v5, s61, v5
	v_mul_lo_u32 v5, v5, s39
	v_sub_u32_e32 v3, v3, v5
	v_mad_u64_u32 v[2:3], s[20:21], v3, s59, v[2:3]
.LBB167_249:
	v_mov_b32_e32 v3, s29
	v_add_co_u32_e32 v6, vcc, s28, v2
	v_mov_b32_e32 v2, 11
	v_addc_co_u32_e32 v7, vcc, 0, v3, vcc
	v_cmp_lt_i16_sdwa s[20:21], s31, v2 src0_sel:BYTE_0 src1_sel:DWORD
	s_and_b64 vcc, exec, s[20:21]
	s_cbranch_vccnz .LBB167_256
; %bb.250:
	v_mov_b32_e32 v2, 25
	v_cmp_gt_i16_sdwa s[20:21], s31, v2 src0_sel:BYTE_0 src1_sel:DWORD
	s_and_b64 vcc, exec, s[20:21]
	s_cbranch_vccz .LBB167_257
; %bb.251:
	v_mov_b32_e32 v2, 28
	v_cmp_gt_i16_sdwa s[20:21], s31, v2 src0_sel:BYTE_0 src1_sel:DWORD
	s_and_b64 vcc, exec, s[20:21]
	s_cbranch_vccz .LBB167_258
	;; [unrolled: 5-line block ×4, first 2 shown]
; %bb.254:
	v_mov_b32_e32 v2, 46
	v_cmp_eq_u16_sdwa s[22:23], s31, v2 src0_sel:BYTE_0 src1_sel:DWORD
	s_mov_b64 s[24:25], 0
	s_mov_b64 s[20:21], -1
	s_and_b64 vcc, exec, s[22:23]
	s_mov_b64 s[22:23], 0
	s_cbranch_vccz .LBB167_261
; %bb.255:
	global_store_dword v[6:7], v11, off
	s_mov_b64 s[22:23], -1
	s_mov_b64 s[20:21], 0
	s_branch .LBB167_261
.LBB167_256:
	s_mov_b64 s[24:25], -1
	s_mov_b64 s[22:23], 0
	s_mov_b64 s[20:21], s[72:73]
	s_branch .LBB167_306
.LBB167_257:
	s_mov_b64 s[24:25], -1
	s_mov_b64 s[22:23], 0
	s_mov_b64 s[20:21], s[72:73]
	s_branch .LBB167_283
.LBB167_258:
	s_mov_b64 s[24:25], -1
	s_mov_b64 s[22:23], 0
	s_mov_b64 s[20:21], s[72:73]
	s_branch .LBB167_269
.LBB167_259:
	s_mov_b64 s[24:25], -1
	s_mov_b64 s[22:23], 0
	s_mov_b64 s[20:21], s[72:73]
	s_branch .LBB167_265
.LBB167_260:
	s_mov_b64 s[24:25], -1
	s_mov_b64 s[22:23], 0
	s_mov_b64 s[20:21], s[72:73]
.LBB167_261:
	s_and_b64 vcc, exec, s[24:25]
	s_cbranch_vccz .LBB167_264
; %bb.262:
	v_mov_b32_e32 v2, 44
	v_cmp_eq_u16_sdwa s[24:25], s31, v2 src0_sel:BYTE_0 src1_sel:DWORD
	s_mov_b64 s[20:21], -1
	s_and_b64 vcc, exec, s[24:25]
	s_cbranch_vccz .LBB167_264
; %bb.263:
	v_mov_b32_e32 v2, 0xff
	v_cndmask_b32_e64 v2, v22, v2, s[18:19]
	s_mov_b64 s[22:23], -1
	s_mov_b64 s[20:21], 0
	global_store_byte v[6:7], v2, off
.LBB167_264:
	s_mov_b64 s[24:25], 0
.LBB167_265:
	s_and_b64 vcc, exec, s[24:25]
	s_cbranch_vccz .LBB167_268
; %bb.266:
	v_mov_b32_e32 v2, 29
	v_cmp_eq_u16_sdwa s[24:25], s31, v2 src0_sel:BYTE_0 src1_sel:DWORD
	s_mov_b64 s[20:21], -1
	s_and_b64 vcc, exec, s[24:25]
	s_cbranch_vccz .LBB167_268
; %bb.267:
	v_pk_mov_b32 v[2:3], s[52:53], s[52:53] op_sel:[0,1]
	global_store_dwordx2 v[6:7], v[2:3], off
	s_mov_b64 s[22:23], -1
	s_mov_b64 s[20:21], 0
.LBB167_268:
	s_mov_b64 s[24:25], 0
.LBB167_269:
	s_and_b64 vcc, exec, s[24:25]
	s_cbranch_vccz .LBB167_282
; %bb.270:
	v_mov_b32_e32 v2, 27
	v_cmp_lt_i16_sdwa s[24:25], s31, v2 src0_sel:BYTE_0 src1_sel:DWORD
	s_mov_b64 s[22:23], -1
	s_and_b64 vcc, exec, s[24:25]
	s_cbranch_vccnz .LBB167_276
; %bb.271:
	v_cmp_gt_i16_sdwa s[24:25], s31, v2 src0_sel:BYTE_0 src1_sel:DWORD
	s_and_b64 vcc, exec, s[24:25]
	s_cbranch_vccz .LBB167_273
; %bb.272:
	v_mov_b32_e32 v2, s30
	s_mov_b64 s[22:23], 0
	global_store_dword v[6:7], v2, off
.LBB167_273:
	s_andn2_b64 vcc, exec, s[22:23]
	s_cbranch_vccnz .LBB167_275
; %bb.274:
	v_mov_b32_e32 v2, s30
	global_store_short v[6:7], v2, off
.LBB167_275:
	s_mov_b64 s[22:23], 0
.LBB167_276:
	s_andn2_b64 vcc, exec, s[22:23]
	s_cbranch_vccnz .LBB167_281
; %bb.277:
	s_andn2_b64 vcc, exec, s[16:17]
	v_mov_b32_e32 v2, 0x80
	s_cbranch_vccnz .LBB167_280
; %bb.278:
	s_or_b64 s[22:23], s[14:15], s[56:57]
	s_andn2_b64 vcc, exec, s[22:23]
	v_mov_b32_e32 v2, 0
	s_cbranch_vccnz .LBB167_280
; %bb.279:
	v_cndmask_b32_e64 v2, v21, v20, s[14:15]
.LBB167_280:
	global_store_byte v[6:7], v2, off
.LBB167_281:
	s_mov_b64 s[22:23], -1
.LBB167_282:
	s_mov_b64 s[24:25], 0
.LBB167_283:
	s_and_b64 vcc, exec, s[24:25]
	s_cbranch_vccz .LBB167_305
; %bb.284:
	v_mov_b32_e32 v2, 22
	v_cmp_gt_i16_sdwa s[26:27], s31, v2 src0_sel:BYTE_0 src1_sel:DWORD
	s_mov_b64 s[24:25], -1
	s_and_b64 vcc, exec, s[26:27]
	s_cbranch_vccz .LBB167_297
; %bb.285:
	v_mov_b32_e32 v2, 24
	v_cmp_lt_i16_sdwa s[24:25], s31, v2 src0_sel:BYTE_0 src1_sel:DWORD
	s_mov_b64 s[22:23], -1
	s_and_b64 vcc, exec, s[24:25]
	s_cbranch_vccnz .LBB167_294
; %bb.286:
	v_cmp_gt_i16_sdwa s[24:25], s31, v2 src0_sel:BYTE_0 src1_sel:DWORD
	s_and_b64 vcc, exec, s[24:25]
	s_cbranch_vccz .LBB167_291
; %bb.287:
	s_andn2_b64 vcc, exec, s[12:13]
	v_mov_b32_e32 v2, 0x80
	s_cbranch_vccnz .LBB167_290
; %bb.288:
	s_or_b64 s[22:23], s[10:11], s[54:55]
	s_andn2_b64 vcc, exec, s[22:23]
	v_mov_b32_e32 v2, 0
	s_cbranch_vccnz .LBB167_290
; %bb.289:
	v_cndmask_b32_e64 v2, v18, v17, s[10:11]
.LBB167_290:
	s_mov_b64 s[22:23], 0
	global_store_byte v[6:7], v2, off
.LBB167_291:
	s_and_b64 vcc, exec, s[22:23]
	s_cbranch_vccz .LBB167_293
; %bb.292:
	v_cndmask_b32_e64 v2, v15, v16, s[8:9]
	v_cndmask_b32_e64 v2, v2, v19, s[6:7]
	global_store_byte v[6:7], v2, off
.LBB167_293:
	s_mov_b64 s[22:23], 0
.LBB167_294:
	s_andn2_b64 vcc, exec, s[22:23]
	s_cbranch_vccnz .LBB167_296
; %bb.295:
	v_cndmask_b32_e64 v2, v12, v13, s[2:3]
	v_cndmask_b32_e64 v2, v2, v14, s[0:1]
	global_store_byte v[6:7], v2, off
.LBB167_296:
	s_mov_b64 s[24:25], 0
	s_mov_b64 s[22:23], -1
.LBB167_297:
	s_andn2_b64 vcc, exec, s[24:25]
	s_cbranch_vccnz .LBB167_305
; %bb.298:
	v_mov_b32_e32 v2, 14
	v_cmp_gt_i16_sdwa s[26:27], s31, v2 src0_sel:BYTE_0 src1_sel:DWORD
	s_mov_b64 s[24:25], -1
	s_and_b64 vcc, exec, s[26:27]
	s_cbranch_vccz .LBB167_302
; %bb.299:
	v_mov_b32_e32 v2, 15
	v_cmp_eq_u16_sdwa s[24:25], s31, v2 src0_sel:BYTE_0 src1_sel:DWORD
	s_mov_b64 s[20:21], -1
	s_and_b64 vcc, exec, s[24:25]
	s_cbranch_vccz .LBB167_301
; %bb.300:
	global_store_short v[6:7], v11, off
	s_mov_b64 s[22:23], -1
	s_mov_b64 s[20:21], 0
.LBB167_301:
	s_mov_b64 s[24:25], 0
.LBB167_302:
	s_and_b64 vcc, exec, s[24:25]
	s_cbranch_vccz .LBB167_305
; %bb.303:
	v_mov_b32_e32 v2, 11
	v_cmp_eq_u16_sdwa s[24:25], s31, v2 src0_sel:BYTE_0 src1_sel:DWORD
	s_mov_b64 s[20:21], -1
	s_and_b64 vcc, exec, s[24:25]
	s_cbranch_vccz .LBB167_305
; %bb.304:
	s_mov_b64 s[22:23], -1
	s_mov_b64 s[20:21], 0
	global_store_byte v[6:7], v10, off
.LBB167_305:
	s_mov_b64 s[24:25], 0
.LBB167_306:
	s_and_b64 vcc, exec, s[24:25]
	s_cbranch_vccz .LBB167_345
; %bb.307:
	v_mov_b32_e32 v2, 5
	v_cmp_lt_i16_sdwa s[24:25], s31, v2 src0_sel:BYTE_0 src1_sel:DWORD
	s_mov_b64 s[22:23], -1
	s_and_b64 vcc, exec, s[24:25]
	s_cbranch_vccnz .LBB167_328
; %bb.308:
	v_mov_b32_e32 v2, 8
	v_cmp_lt_i16_sdwa s[24:25], s31, v2 src0_sel:BYTE_0 src1_sel:DWORD
	s_and_b64 vcc, exec, s[24:25]
	s_cbranch_vccnz .LBB167_318
; %bb.309:
	v_mov_b32_e32 v2, 9
	v_cmp_lt_i16_sdwa s[24:25], s31, v2 src0_sel:BYTE_0 src1_sel:DWORD
	s_and_b64 vcc, exec, s[24:25]
	s_cbranch_vccnz .LBB167_315
; %bb.310:
	v_cmp_gt_i16_sdwa s[24:25], s31, v2 src0_sel:BYTE_0 src1_sel:DWORD
	s_and_b64 vcc, exec, s[24:25]
	s_cbranch_vccz .LBB167_312
; %bb.311:
	v_mov_b32_e32 v2, 0
	v_mov_b32_e32 v3, v2
	s_mov_b64 s[22:23], 0
	global_store_dwordx4 v[6:7], v[0:3], off
.LBB167_312:
	s_andn2_b64 vcc, exec, s[22:23]
	s_cbranch_vccnz .LBB167_314
; %bb.313:
	v_mov_b32_e32 v5, 0
	global_store_dwordx2 v[6:7], v[4:5], off
.LBB167_314:
	s_mov_b64 s[22:23], 0
.LBB167_315:
	s_andn2_b64 vcc, exec, s[22:23]
	s_cbranch_vccnz .LBB167_317
; %bb.316:
	global_store_dword v[6:7], v8, off
.LBB167_317:
	s_mov_b64 s[22:23], 0
.LBB167_318:
	s_andn2_b64 vcc, exec, s[22:23]
	s_cbranch_vccnz .LBB167_327
; %bb.319:
	v_mov_b32_e32 v2, 6
	v_cmp_lt_i16_sdwa s[24:25], s31, v2 src0_sel:BYTE_0 src1_sel:DWORD
	s_mov_b64 s[22:23], -1
	s_and_b64 vcc, exec, s[24:25]
	s_cbranch_vccnz .LBB167_325
; %bb.320:
	v_cmp_gt_i16_sdwa s[24:25], s31, v2 src0_sel:BYTE_0 src1_sel:DWORD
	s_and_b64 vcc, exec, s[24:25]
	s_cbranch_vccz .LBB167_322
; %bb.321:
	s_mov_b64 s[22:23], 0
	global_store_dwordx2 v[6:7], v[0:1], off
.LBB167_322:
	s_andn2_b64 vcc, exec, s[22:23]
	s_cbranch_vccnz .LBB167_324
; %bb.323:
	global_store_dword v[6:7], v4, off
.LBB167_324:
	s_mov_b64 s[22:23], 0
.LBB167_325:
	s_andn2_b64 vcc, exec, s[22:23]
	s_cbranch_vccnz .LBB167_327
; %bb.326:
	global_store_short v[6:7], v8, off
.LBB167_327:
	s_mov_b64 s[22:23], 0
.LBB167_328:
	s_andn2_b64 vcc, exec, s[22:23]
	s_cbranch_vccnz .LBB167_344
; %bb.329:
	v_mov_b32_e32 v2, 2
	v_cmp_lt_i16_sdwa s[24:25], s31, v2 src0_sel:BYTE_0 src1_sel:DWORD
	s_mov_b64 s[22:23], -1
	s_and_b64 vcc, exec, s[24:25]
	s_cbranch_vccnz .LBB167_339
; %bb.330:
	v_mov_b32_e32 v2, 3
	v_cmp_lt_i16_sdwa s[24:25], s31, v2 src0_sel:BYTE_0 src1_sel:DWORD
	s_and_b64 vcc, exec, s[24:25]
	s_cbranch_vccnz .LBB167_336
; %bb.331:
	v_cmp_gt_i16_sdwa s[24:25], s31, v2 src0_sel:BYTE_0 src1_sel:DWORD
	s_and_b64 vcc, exec, s[24:25]
	s_cbranch_vccz .LBB167_333
; %bb.332:
	v_pk_mov_b32 v[2:3], s[52:53], s[52:53] op_sel:[0,1]
	s_mov_b64 s[22:23], 0
	global_store_dwordx2 v[6:7], v[2:3], off
.LBB167_333:
	s_andn2_b64 vcc, exec, s[22:23]
	s_cbranch_vccnz .LBB167_335
; %bb.334:
	v_mov_b32_e32 v2, s30
	global_store_dword v[6:7], v2, off
.LBB167_335:
	s_mov_b64 s[22:23], 0
.LBB167_336:
	s_andn2_b64 vcc, exec, s[22:23]
	s_cbranch_vccnz .LBB167_338
; %bb.337:
	v_mov_b32_e32 v2, s30
	global_store_short v[6:7], v2, off
.LBB167_338:
	s_mov_b64 s[22:23], 0
.LBB167_339:
	s_andn2_b64 vcc, exec, s[22:23]
	s_cbranch_vccnz .LBB167_344
; %bb.340:
	v_mov_b32_e32 v2, 0
	v_cmp_gt_i16_sdwa s[24:25], s31, v2 src0_sel:BYTE_0 src1_sel:DWORD
	s_mov_b64 s[22:23], -1
	s_and_b64 vcc, exec, s[24:25]
	s_cbranch_vccz .LBB167_342
; %bb.341:
	v_mov_b32_e32 v2, s30
	s_mov_b64 s[22:23], 0
	global_store_byte v[6:7], v2, off
.LBB167_342:
	s_andn2_b64 vcc, exec, s[22:23]
	s_cbranch_vccnz .LBB167_344
; %bb.343:
	v_mov_b32_e32 v2, s30
	global_store_byte v[6:7], v2, off
.LBB167_344:
	s_mov_b64 s[22:23], -1
.LBB167_345:
	s_andn2_b64 vcc, exec, s[22:23]
	s_cbranch_vccnz .LBB167_347
; %bb.346:
	v_add_u32_e32 v9, 0x80, v9
	s_mov_b64 s[22:23], -1
	s_branch .LBB167_348
.LBB167_347:
	s_mov_b64 s[22:23], 0
                                        ; implicit-def: $vgpr9
.LBB167_348:
	s_andn2_b64 s[24:25], s[72:73], exec
	s_and_b64 s[20:21], s[20:21], exec
	s_or_b64 s[78:79], s[24:25], s[20:21]
	s_orn2_b64 s[22:23], s[22:23], exec
.LBB167_349:
	s_or_b64 exec, exec, s[76:77]
	s_mov_b64 s[20:21], 0
	s_mov_b64 s[26:27], 0
                                        ; implicit-def: $vgpr23
                                        ; implicit-def: $vgpr6_vgpr7
	s_and_saveexec_b64 s[76:77], s[22:23]
	s_cbranch_execz .LBB167_420
; %bb.350:
	v_cmp_gt_i32_e32 vcc, s83, v9
	s_mov_b64 s[22:23], 0
	s_mov_b64 s[24:25], s[78:79]
                                        ; implicit-def: $vgpr23
                                        ; implicit-def: $vgpr6_vgpr7
	s_and_saveexec_b64 s[80:81], vcc
	s_cbranch_execz .LBB167_419
; %bb.351:
	s_andn2_b64 vcc, exec, s[48:49]
	s_cbranch_vccnz .LBB167_356
; %bb.352:
	s_andn2_b64 vcc, exec, s[66:67]
	s_cbranch_vccnz .LBB167_357
; %bb.353:
	s_add_i32 s84, s84, 1
	s_mov_b32 s83, 0
	s_cmp_eq_u32 s82, 2
	v_mov_b32_e32 v2, 0
	s_cbranch_scc1 .LBB167_358
; %bb.354:
	s_and_b32 s83, s84, 28
	s_mov_b32 s85, 0
	v_mov_b32_e32 v2, 0
	s_mov_b64 s[66:67], s[4:5]
	v_mov_b32_e32 v5, v9
.LBB167_355:                            ; =>This Inner Loop Header: Depth=1
	s_load_dwordx8 s[20:27], s[66:67], 0x4
	s_load_dwordx4 s[40:43], s[66:67], 0x24
	s_load_dwordx4 s[44:47], s[64:65], 0x0
	s_add_u32 s66, s66, 48
	s_addc_u32 s67, s67, 0
	s_waitcnt lgkmcnt(0)
	v_mul_hi_u32 v3, s21, v5
	v_add_u32_e32 v3, v5, v3
	v_lshrrev_b32_e32 v3, s22, v3
	v_mul_lo_u32 v6, v3, s20
	v_mul_hi_u32 v7, s24, v3
	v_sub_u32_e32 v5, v5, v6
	v_add_u32_e32 v6, v3, v7
	v_lshrrev_b32_e32 v6, s25, v6
	v_mul_lo_u32 v7, v6, s23
	v_mul_hi_u32 v23, s27, v6
	v_sub_u32_e32 v3, v3, v7
	v_add_u32_e32 v7, v6, v23
	v_mul_lo_u32 v5, v5, s44
	v_mul_lo_u32 v3, v3, s45
	v_lshrrev_b32_e32 v7, s40, v7
	v_add3_u32 v2, v5, v2, v3
	v_mul_hi_u32 v5, s42, v7
	v_add_u32_e32 v5, v7, v5
	v_mul_lo_u32 v3, v7, s26
	v_lshrrev_b32_e32 v5, s43, v5
	s_add_i32 s85, s85, 4
	v_sub_u32_e32 v3, v6, v3
	v_mul_lo_u32 v6, v5, s41
	s_add_u32 s64, s64, 16
	v_sub_u32_e32 v6, v7, v6
	s_addc_u32 s65, s65, 0
	v_mul_lo_u32 v3, v3, s46
	v_mul_lo_u32 v6, v6, s47
	s_cmp_eq_u32 s83, s85
	v_add3_u32 v2, v3, v2, v6
	s_cbranch_scc0 .LBB167_355
	s_branch .LBB167_359
.LBB167_356:
	s_mov_b64 s[20:21], -1
                                        ; implicit-def: $vgpr2
	s_branch .LBB167_363
.LBB167_357:
	v_mov_b32_e32 v2, 0
	s_branch .LBB167_362
.LBB167_358:
	v_mov_b32_e32 v5, v9
.LBB167_359:
	s_and_b32 s24, s84, 3
	s_cmp_eq_u32 s24, 0
	s_cbranch_scc1 .LBB167_362
; %bb.360:
	s_lshl_b32 s20, s83, 2
	s_add_u32 s20, s20, s4
	s_addc_u32 s21, s5, 0
	s_add_u32 s20, s20, 0xc4
	s_addc_u32 s21, s21, 0
	s_mul_i32 s22, s83, 12
	s_add_u32 s22, s4, s22
	s_addc_u32 s23, s5, 0
.LBB167_361:                            ; =>This Inner Loop Header: Depth=1
	s_load_dwordx2 s[26:27], s[22:23], 0x4
	s_load_dword s25, s[22:23], 0xc
	s_load_dword s40, s[20:21], 0x0
	s_add_u32 s22, s22, 12
	s_addc_u32 s23, s23, 0
	s_waitcnt lgkmcnt(0)
	v_mul_hi_u32 v3, s27, v5
	v_add_u32_e32 v3, v5, v3
	v_lshrrev_b32_e32 v3, s25, v3
	s_add_u32 s20, s20, 4
	v_mul_lo_u32 v6, v3, s26
	s_addc_u32 s21, s21, 0
	s_add_i32 s24, s24, -1
	v_sub_u32_e32 v6, v5, v6
	s_cmp_lg_u32 s24, 0
	v_mov_b32_e32 v5, v3
	v_mad_u64_u32 v[2:3], s[26:27], v6, s40, v[2:3]
	s_cbranch_scc1 .LBB167_361
.LBB167_362:
	s_mov_b64 s[20:21], 0
.LBB167_363:
	s_andn2_b64 vcc, exec, s[20:21]
	s_cbranch_vccnz .LBB167_366
; %bb.364:
	v_mul_hi_u32 v2, s37, v9
	v_add_u32_e32 v2, v9, v2
	v_lshrrev_b32_e32 v3, s38, v2
	v_mul_lo_u32 v2, v3, s36
	v_sub_u32_e32 v2, v9, v2
	s_andn2_b64 vcc, exec, s[62:63]
	v_mul_lo_u32 v2, v2, s58
	s_cbranch_vccnz .LBB167_366
; %bb.365:
	v_mul_hi_u32 v5, s60, v3
	v_add_u32_e32 v5, v3, v5
	v_lshrrev_b32_e32 v5, s61, v5
	v_mul_lo_u32 v5, v5, s39
	v_sub_u32_e32 v3, v3, v5
	v_mad_u64_u32 v[2:3], s[20:21], v3, s59, v[2:3]
.LBB167_366:
	v_mov_b32_e32 v3, s29
	v_add_co_u32_e32 v6, vcc, s28, v2
	v_mov_b32_e32 v2, 0xff
	v_addc_co_u32_e32 v7, vcc, 0, v3, vcc
	v_and_b32_e32 v23, s31, v2
	v_cmp_gt_i16_e32 vcc, 11, v23
	s_cbranch_vccnz .LBB167_416
; %bb.367:
	v_cmp_lt_i16_e32 vcc, 25, v23
	s_mov_b64 s[22:23], -1
	s_mov_b64 s[20:21], s[78:79]
	s_cbranch_vccz .LBB167_395
; %bb.368:
	v_cmp_lt_i16_e32 vcc, 28, v23
	s_mov_b64 s[20:21], s[78:79]
	s_cbranch_vccz .LBB167_382
; %bb.369:
	v_cmp_lt_i16_e32 vcc, 43, v23
	s_mov_b64 s[20:21], s[78:79]
	s_cbranch_vccz .LBB167_378
; %bb.370:
	v_cmp_lt_i16_e32 vcc, 45, v23
	s_mov_b64 s[20:21], s[78:79]
	s_cbranch_vccz .LBB167_374
; %bb.371:
	v_cmp_eq_u16_e32 vcc, 46, v23
	s_mov_b64 s[20:21], -1
	s_cbranch_vccz .LBB167_373
; %bb.372:
	global_store_dword v[6:7], v11, off
	s_mov_b64 s[20:21], 0
.LBB167_373:
	s_mov_b64 s[22:23], 0
.LBB167_374:
	s_and_b64 vcc, exec, s[22:23]
	s_cbranch_vccz .LBB167_377
; %bb.375:
	v_cmp_eq_u16_e32 vcc, 44, v23
	s_mov_b64 s[20:21], -1
	s_cbranch_vccz .LBB167_377
; %bb.376:
	v_mov_b32_e32 v2, 0xff
	v_cndmask_b32_e64 v2, v22, v2, s[18:19]
	global_store_byte v[6:7], v2, off
	s_mov_b64 s[20:21], 0
.LBB167_377:
	s_mov_b64 s[22:23], 0
.LBB167_378:
	s_and_b64 vcc, exec, s[22:23]
	s_cbranch_vccz .LBB167_381
; %bb.379:
	v_cmp_eq_u16_e32 vcc, 29, v23
	s_mov_b64 s[20:21], -1
	s_cbranch_vccz .LBB167_381
; %bb.380:
	v_pk_mov_b32 v[2:3], s[52:53], s[52:53] op_sel:[0,1]
	global_store_dwordx2 v[6:7], v[2:3], off
	s_mov_b64 s[20:21], 0
.LBB167_381:
	s_mov_b64 s[22:23], 0
.LBB167_382:
	s_and_b64 vcc, exec, s[22:23]
	s_cbranch_vccz .LBB167_394
; %bb.383:
	v_cmp_gt_i16_e32 vcc, 27, v23
	s_mov_b64 s[18:19], -1
	s_cbranch_vccnz .LBB167_389
; %bb.384:
	v_cmp_lt_i16_e32 vcc, 27, v23
	s_cbranch_vccz .LBB167_386
; %bb.385:
	v_mov_b32_e32 v2, s30
	s_mov_b64 s[18:19], 0
	global_store_dword v[6:7], v2, off
.LBB167_386:
	s_andn2_b64 vcc, exec, s[18:19]
	s_cbranch_vccnz .LBB167_388
; %bb.387:
	v_mov_b32_e32 v2, s30
	global_store_short v[6:7], v2, off
.LBB167_388:
	s_mov_b64 s[18:19], 0
.LBB167_389:
	s_andn2_b64 vcc, exec, s[18:19]
	s_cbranch_vccnz .LBB167_394
; %bb.390:
	s_andn2_b64 vcc, exec, s[16:17]
	v_mov_b32_e32 v2, 0x80
	s_cbranch_vccnz .LBB167_393
; %bb.391:
	s_or_b64 s[16:17], s[14:15], s[56:57]
	s_andn2_b64 vcc, exec, s[16:17]
	v_mov_b32_e32 v2, 0
	s_cbranch_vccnz .LBB167_393
; %bb.392:
	v_cndmask_b32_e64 v2, v21, v20, s[14:15]
.LBB167_393:
	global_store_byte v[6:7], v2, off
.LBB167_394:
	s_mov_b64 s[22:23], 0
.LBB167_395:
	s_mov_b64 s[14:15], 0
	s_and_b64 vcc, exec, s[22:23]
	s_cbranch_vccz .LBB167_417
; %bb.396:
	v_cmp_lt_i16_e32 vcc, 22, v23
	s_mov_b64 s[16:17], -1
	s_cbranch_vccz .LBB167_409
; %bb.397:
	v_cmp_gt_i16_e32 vcc, 24, v23
	s_cbranch_vccnz .LBB167_406
; %bb.398:
	v_cmp_lt_i16_e32 vcc, 24, v23
	s_cbranch_vccz .LBB167_403
; %bb.399:
	s_andn2_b64 vcc, exec, s[12:13]
	v_mov_b32_e32 v2, 0x80
	s_cbranch_vccnz .LBB167_402
; %bb.400:
	s_or_b64 s[12:13], s[10:11], s[54:55]
	s_andn2_b64 vcc, exec, s[12:13]
	v_mov_b32_e32 v2, 0
	s_cbranch_vccnz .LBB167_402
; %bb.401:
	v_cndmask_b32_e64 v2, v18, v17, s[10:11]
.LBB167_402:
	s_mov_b64 s[16:17], 0
	global_store_byte v[6:7], v2, off
.LBB167_403:
	s_and_b64 vcc, exec, s[16:17]
	s_cbranch_vccz .LBB167_405
; %bb.404:
	v_cndmask_b32_e64 v2, v15, v16, s[8:9]
	v_cndmask_b32_e64 v2, v2, v19, s[6:7]
	global_store_byte v[6:7], v2, off
.LBB167_405:
	s_mov_b64 s[16:17], 0
.LBB167_406:
	s_andn2_b64 vcc, exec, s[16:17]
	s_cbranch_vccnz .LBB167_408
; %bb.407:
	v_cndmask_b32_e64 v2, v12, v13, s[2:3]
	v_cndmask_b32_e64 v2, v2, v14, s[0:1]
	global_store_byte v[6:7], v2, off
.LBB167_408:
	s_mov_b64 s[16:17], 0
.LBB167_409:
	s_andn2_b64 vcc, exec, s[16:17]
	s_mov_b64 s[0:1], 0
	s_cbranch_vccnz .LBB167_418
; %bb.410:
	v_cmp_lt_i16_e32 vcc, 14, v23
	s_mov_b64 s[2:3], -1
	s_cbranch_vccz .LBB167_414
; %bb.411:
	v_cmp_eq_u16_e32 vcc, 15, v23
	s_mov_b64 s[20:21], -1
	s_cbranch_vccz .LBB167_413
; %bb.412:
	global_store_short v[6:7], v11, off
	s_mov_b64 s[20:21], 0
.LBB167_413:
	s_mov_b64 s[2:3], 0
.LBB167_414:
	s_and_b64 vcc, exec, s[2:3]
	s_cbranch_vccz .LBB167_418
; %bb.415:
	v_cmp_ne_u16_e32 vcc, 11, v23
	s_andn2_b64 s[2:3], s[20:21], exec
	s_and_b64 s[6:7], vcc, exec
	s_mov_b64 s[0:1], -1
	s_or_b64 s[20:21], s[2:3], s[6:7]
	s_branch .LBB167_418
.LBB167_416:
	s_mov_b64 s[0:1], 0
	s_mov_b64 s[14:15], -1
	s_mov_b64 s[20:21], s[78:79]
	s_branch .LBB167_418
.LBB167_417:
	s_mov_b64 s[0:1], 0
.LBB167_418:
	s_and_b64 s[22:23], s[0:1], exec
	s_andn2_b64 s[0:1], s[78:79], exec
	s_and_b64 s[2:3], s[20:21], exec
	s_and_b64 s[26:27], s[14:15], exec
	s_or_b64 s[24:25], s[0:1], s[2:3]
.LBB167_419:
	s_or_b64 exec, exec, s[80:81]
	s_andn2_b64 s[0:1], s[78:79], exec
	s_and_b64 s[2:3], s[24:25], exec
	s_and_b64 s[26:27], s[26:27], exec
	;; [unrolled: 1-line block ×3, first 2 shown]
	s_or_b64 s[78:79], s[0:1], s[2:3]
.LBB167_420:
	s_or_b64 exec, exec, s[76:77]
	s_andn2_b64 s[0:1], s[72:73], exec
	s_and_b64 s[2:3], s[78:79], exec
	s_and_b64 s[24:25], s[26:27], exec
	;; [unrolled: 1-line block ×3, first 2 shown]
	s_or_b64 s[72:73], s[0:1], s[2:3]
.LBB167_421:
	s_or_b64 exec, exec, s[74:75]
	s_andn2_b64 s[0:1], s[68:69], exec
	s_and_b64 s[2:3], s[72:73], exec
	s_and_b64 s[20:21], s[24:25], exec
	;; [unrolled: 1-line block ×3, first 2 shown]
	s_or_b64 s[68:69], s[0:1], s[2:3]
	s_or_b64 exec, exec, s[70:71]
	s_mov_b64 s[0:1], 0
	s_and_saveexec_b64 s[2:3], s[68:69]
	s_cbranch_execz .LBB167_122
.LBB167_422:
	s_mov_b64 s[0:1], exec
	s_andn2_b64 s[74:75], s[74:75], exec
	s_trap 2
	s_or_b64 exec, exec, s[2:3]
	s_and_saveexec_b64 s[2:3], s[74:75]
	s_xor_b64 s[2:3], exec, s[2:3]
	s_cbranch_execnz .LBB167_123
.LBB167_423:
	s_or_b64 exec, exec, s[2:3]
	s_and_saveexec_b64 s[2:3], s[20:21]
	s_xor_b64 s[2:3], exec, s[2:3]
	s_cbranch_execz .LBB167_461
.LBB167_424:
	v_cmp_gt_i16_e32 vcc, 5, v23
	s_mov_b64 s[6:7], -1
	s_cbranch_vccnz .LBB167_445
; %bb.425:
	v_cmp_gt_i16_e32 vcc, 8, v23
	s_cbranch_vccnz .LBB167_435
; %bb.426:
	v_cmp_gt_i16_e32 vcc, 9, v23
	s_cbranch_vccnz .LBB167_432
; %bb.427:
	v_cmp_lt_i16_e32 vcc, 9, v23
	s_cbranch_vccz .LBB167_429
; %bb.428:
	v_mov_b32_e32 v2, 0
	v_mov_b32_e32 v3, v2
	s_mov_b64 s[6:7], 0
	global_store_dwordx4 v[6:7], v[0:3], off
.LBB167_429:
	s_andn2_b64 vcc, exec, s[6:7]
	s_cbranch_vccnz .LBB167_431
; %bb.430:
	v_mov_b32_e32 v5, 0
	global_store_dwordx2 v[6:7], v[4:5], off
.LBB167_431:
	s_mov_b64 s[6:7], 0
.LBB167_432:
	s_andn2_b64 vcc, exec, s[6:7]
	s_cbranch_vccnz .LBB167_434
; %bb.433:
	global_store_dword v[6:7], v8, off
.LBB167_434:
	s_mov_b64 s[6:7], 0
.LBB167_435:
	s_andn2_b64 vcc, exec, s[6:7]
	s_cbranch_vccnz .LBB167_444
; %bb.436:
	v_cmp_gt_i16_e32 vcc, 6, v23
	s_mov_b64 s[6:7], -1
	s_cbranch_vccnz .LBB167_442
; %bb.437:
	v_cmp_lt_i16_e32 vcc, 6, v23
	s_cbranch_vccz .LBB167_439
; %bb.438:
	s_mov_b64 s[6:7], 0
	global_store_dwordx2 v[6:7], v[0:1], off
.LBB167_439:
	s_andn2_b64 vcc, exec, s[6:7]
	s_cbranch_vccnz .LBB167_441
; %bb.440:
	global_store_dword v[6:7], v4, off
.LBB167_441:
	s_mov_b64 s[6:7], 0
.LBB167_442:
	s_andn2_b64 vcc, exec, s[6:7]
	s_cbranch_vccnz .LBB167_444
; %bb.443:
	global_store_short v[6:7], v8, off
.LBB167_444:
	s_mov_b64 s[6:7], 0
.LBB167_445:
	s_andn2_b64 vcc, exec, s[6:7]
	s_cbranch_vccnz .LBB167_461
; %bb.446:
	v_cmp_gt_i16_e32 vcc, 2, v23
	s_mov_b64 s[6:7], -1
	s_cbranch_vccnz .LBB167_456
; %bb.447:
	v_cmp_gt_i16_e32 vcc, 3, v23
	s_cbranch_vccnz .LBB167_453
; %bb.448:
	v_cmp_lt_i16_e32 vcc, 3, v23
	s_cbranch_vccz .LBB167_450
; %bb.449:
	v_pk_mov_b32 v[0:1], s[52:53], s[52:53] op_sel:[0,1]
	s_mov_b64 s[6:7], 0
	global_store_dwordx2 v[6:7], v[0:1], off
.LBB167_450:
	s_andn2_b64 vcc, exec, s[6:7]
	s_cbranch_vccnz .LBB167_452
; %bb.451:
	v_mov_b32_e32 v0, s30
	global_store_dword v[6:7], v0, off
.LBB167_452:
	s_mov_b64 s[6:7], 0
.LBB167_453:
	s_andn2_b64 vcc, exec, s[6:7]
	s_cbranch_vccnz .LBB167_455
; %bb.454:
	v_mov_b32_e32 v0, s30
	global_store_short v[6:7], v0, off
.LBB167_455:
	s_mov_b64 s[6:7], 0
.LBB167_456:
	s_andn2_b64 vcc, exec, s[6:7]
	s_cbranch_vccnz .LBB167_461
; %bb.457:
	v_cmp_lt_i16_e32 vcc, 0, v23
	s_mov_b64 s[6:7], -1
	s_cbranch_vccz .LBB167_459
; %bb.458:
	v_mov_b32_e32 v0, s30
	s_mov_b64 s[6:7], 0
	global_store_byte v[6:7], v0, off
.LBB167_459:
	s_andn2_b64 vcc, exec, s[6:7]
	s_cbranch_vccnz .LBB167_461
; %bb.460:
	v_mov_b32_e32 v0, s30
	global_store_byte v[6:7], v0, off
.LBB167_461:
	s_or_b64 exec, exec, s[2:3]
	s_and_b64 s[6:7], s[0:1], exec
                                        ; implicit-def: $vgpr8
                                        ; implicit-def: $vgpr9
.LBB167_462:
	s_or_saveexec_b64 s[24:25], s[50:51]
	s_mov_b64 s[0:1], 0
                                        ; implicit-def: $sgpr3
                                        ; implicit-def: $vgpr0_vgpr1
                                        ; implicit-def: $sgpr2
	s_xor_b64 exec, exec, s[24:25]
	s_cbranch_execz .LBB167_951
; %bb.463:
	v_cndmask_b32_e64 v0, 0, 1, s[48:49]
	v_cmp_ne_u32_e64 s[0:1], 1, v0
	s_andn2_b64 vcc, exec, s[48:49]
	s_cbranch_vccnz .LBB167_469
; %bb.464:
	s_mov_b32 s28, 0
	s_cmp_eq_u32 s33, 0
	v_mov_b32_e32 v6, 0
	s_cbranch_scc1 .LBB167_473
; %bb.465:
	s_min_u32 s29, s82, 15
	s_add_i32 s29, s29, 1
	s_cmp_eq_u32 s82, 2
	v_mov_b32_e32 v6, 0
	s_cbranch_scc1 .LBB167_470
; %bb.466:
	s_add_u32 s2, s4, 0xc4
	s_addc_u32 s3, s5, 0
	s_and_b32 s28, s29, 28
	s_mov_b32 s30, 0
	v_mov_b32_e32 v6, 0
	s_mov_b64 s[26:27], s[4:5]
	v_mov_b32_e32 v0, v9
.LBB167_467:                            ; =>This Inner Loop Header: Depth=1
	s_load_dwordx8 s[8:15], s[26:27], 0x4
	s_load_dwordx4 s[16:19], s[26:27], 0x24
	s_load_dwordx4 s[20:23], s[2:3], 0x0
	s_add_u32 s26, s26, 48
	s_addc_u32 s27, s27, 0
	s_waitcnt lgkmcnt(0)
	v_mul_hi_u32 v1, s9, v0
	v_add_u32_e32 v1, v0, v1
	v_lshrrev_b32_e32 v1, s10, v1
	v_mul_lo_u32 v2, v1, s8
	v_mul_hi_u32 v3, s12, v1
	v_sub_u32_e32 v0, v0, v2
	v_add_u32_e32 v2, v1, v3
	v_lshrrev_b32_e32 v2, s13, v2
	v_mul_lo_u32 v3, v2, s11
	v_mul_hi_u32 v4, s15, v2
	v_sub_u32_e32 v1, v1, v3
	v_add_u32_e32 v3, v2, v4
	v_mul_lo_u32 v0, v0, s20
	v_mul_lo_u32 v1, v1, s21
	v_lshrrev_b32_e32 v3, s16, v3
	v_add3_u32 v1, v0, v6, v1
	v_mul_lo_u32 v0, v3, s14
	v_mul_hi_u32 v4, s18, v3
	v_sub_u32_e32 v0, v2, v0
	v_add_u32_e32 v2, v3, v4
	v_mul_lo_u32 v4, v0, s22
	v_lshrrev_b32_e32 v0, s19, v2
	s_add_i32 s30, s30, 4
	v_mul_lo_u32 v2, v0, s17
	s_add_u32 s2, s2, 16
	v_sub_u32_e32 v2, v3, v2
	s_addc_u32 s3, s3, 0
	v_mul_lo_u32 v2, v2, s23
	s_cmp_lg_u32 s28, s30
	v_add3_u32 v6, v4, v1, v2
	s_cbranch_scc1 .LBB167_467
; %bb.468:
	s_and_b32 s10, s29, 3
	s_cmp_eq_u32 s10, 0
	s_cbranch_scc0 .LBB167_471
	s_branch .LBB167_473
.LBB167_469:
                                        ; implicit-def: $vgpr6
	s_branch .LBB167_474
.LBB167_470:
	v_mov_b32_e32 v0, v9
	s_and_b32 s10, s29, 3
	s_cmp_eq_u32 s10, 0
	s_cbranch_scc1 .LBB167_473
.LBB167_471:
	s_lshl_b32 s2, s28, 2
	s_add_u32 s2, s2, s4
	s_addc_u32 s3, 0, s5
	s_add_u32 s2, s2, 0xc4
	s_addc_u32 s3, s3, 0
	s_mul_i32 s8, s28, 12
	s_add_u32 s8, s4, s8
	s_addc_u32 s9, 0, s5
.LBB167_472:                            ; =>This Inner Loop Header: Depth=1
	s_load_dwordx2 s[12:13], s[8:9], 0x4
	s_load_dword s11, s[8:9], 0xc
	s_load_dword s14, s[2:3], 0x0
	s_add_u32 s8, s8, 12
	s_addc_u32 s9, s9, 0
	s_waitcnt lgkmcnt(0)
	v_mul_hi_u32 v1, s13, v0
	v_add_u32_e32 v1, v0, v1
	v_lshrrev_b32_e32 v1, s11, v1
	s_add_u32 s2, s2, 4
	v_mul_lo_u32 v2, v1, s12
	s_addc_u32 s3, s3, 0
	s_add_i32 s10, s10, -1
	v_sub_u32_e32 v2, v0, v2
	s_cmp_lg_u32 s10, 0
	v_mov_b32_e32 v0, v1
	v_mad_u64_u32 v[6:7], s[12:13], v2, s14, v[6:7]
	s_cbranch_scc1 .LBB167_472
.LBB167_473:
	s_cbranch_execnz .LBB167_476
.LBB167_474:
	s_load_dwordx4 s[8:11], s[4:5], 0x4
	s_load_dword s2, s[4:5], 0xc4
	s_cmp_lt_u32 s33, 2
	s_waitcnt lgkmcnt(0)
	v_mul_hi_u32 v0, s9, v9
	v_add_u32_e32 v0, v9, v0
	v_lshrrev_b32_e32 v0, s10, v0
	v_mul_lo_u32 v1, v0, s8
	v_sub_u32_e32 v1, v9, v1
	v_mul_lo_u32 v6, v1, s2
	s_cbranch_scc1 .LBB167_476
; %bb.475:
	s_load_dwordx4 s[8:11], s[4:5], 0x10
	s_load_dword s2, s[4:5], 0xc8
	s_waitcnt lgkmcnt(0)
	v_mul_hi_u32 v1, s9, v0
	v_add_u32_e32 v1, v0, v1
	v_lshrrev_b32_e32 v1, s10, v1
	v_mul_lo_u32 v1, v1, s8
	v_sub_u32_e32 v0, v0, v1
	v_mad_u64_u32 v[6:7], s[2:3], v0, s2, v[6:7]
.LBB167_476:
	s_and_b64 vcc, exec, s[0:1]
	v_add_u32_e32 v0, 0x80, v9
	s_cbranch_vccnz .LBB167_482
; %bb.477:
	s_mov_b32 s28, 0
	s_cmp_eq_u32 s33, 0
	v_mov_b32_e32 v4, 0
	s_cbranch_scc1 .LBB167_486
; %bb.478:
	s_min_u32 s29, s82, 15
	s_add_i32 s29, s29, 1
	s_cmp_eq_u32 s82, 2
	v_mov_b32_e32 v4, 0
	s_cbranch_scc1 .LBB167_483
; %bb.479:
	s_add_u32 s2, s4, 0xc4
	s_addc_u32 s3, s5, 0
	s_and_b32 s28, s29, 28
	s_mov_b32 s30, 0
	v_mov_b32_e32 v4, 0
	s_mov_b64 s[26:27], s[4:5]
	v_mov_b32_e32 v1, v0
.LBB167_480:                            ; =>This Inner Loop Header: Depth=1
	s_load_dwordx8 s[8:15], s[26:27], 0x4
	s_load_dwordx4 s[16:19], s[26:27], 0x24
	s_load_dwordx4 s[20:23], s[2:3], 0x0
	s_add_u32 s26, s26, 48
	s_addc_u32 s27, s27, 0
	s_waitcnt lgkmcnt(0)
	v_mul_hi_u32 v2, s9, v1
	v_add_u32_e32 v2, v1, v2
	v_lshrrev_b32_e32 v2, s10, v2
	v_mul_lo_u32 v3, v2, s8
	v_mul_hi_u32 v5, s12, v2
	v_sub_u32_e32 v1, v1, v3
	v_add_u32_e32 v3, v2, v5
	v_lshrrev_b32_e32 v3, s13, v3
	v_mul_lo_u32 v5, v3, s11
	v_mul_hi_u32 v7, s15, v3
	v_sub_u32_e32 v2, v2, v5
	v_add_u32_e32 v5, v3, v7
	v_mul_lo_u32 v1, v1, s20
	v_mul_lo_u32 v2, v2, s21
	v_lshrrev_b32_e32 v5, s16, v5
	v_add3_u32 v2, v1, v4, v2
	v_mul_lo_u32 v1, v5, s14
	v_mul_hi_u32 v4, s18, v5
	v_sub_u32_e32 v1, v3, v1
	v_add_u32_e32 v3, v5, v4
	v_mul_lo_u32 v4, v1, s22
	v_lshrrev_b32_e32 v1, s19, v3
	s_add_i32 s30, s30, 4
	v_mul_lo_u32 v3, v1, s17
	s_add_u32 s2, s2, 16
	v_sub_u32_e32 v3, v5, v3
	s_addc_u32 s3, s3, 0
	v_mul_lo_u32 v3, v3, s23
	s_cmp_lg_u32 s28, s30
	v_add3_u32 v4, v4, v2, v3
	s_cbranch_scc1 .LBB167_480
; %bb.481:
	s_and_b32 s10, s29, 3
	s_cmp_eq_u32 s10, 0
	s_cbranch_scc0 .LBB167_484
	s_branch .LBB167_486
.LBB167_482:
                                        ; implicit-def: $vgpr4
	s_branch .LBB167_487
.LBB167_483:
	v_mov_b32_e32 v1, v0
	s_and_b32 s10, s29, 3
	s_cmp_eq_u32 s10, 0
	s_cbranch_scc1 .LBB167_486
.LBB167_484:
	s_lshl_b32 s2, s28, 2
	s_add_u32 s2, s2, s4
	s_addc_u32 s3, 0, s5
	s_add_u32 s2, s2, 0xc4
	s_addc_u32 s3, s3, 0
	s_mul_i32 s8, s28, 12
	s_add_u32 s8, s4, s8
	s_addc_u32 s9, 0, s5
.LBB167_485:                            ; =>This Inner Loop Header: Depth=1
	s_load_dwordx2 s[12:13], s[8:9], 0x4
	s_load_dword s11, s[8:9], 0xc
	s_load_dword s14, s[2:3], 0x0
	s_add_u32 s8, s8, 12
	s_addc_u32 s9, s9, 0
	s_waitcnt lgkmcnt(0)
	v_mul_hi_u32 v2, s13, v1
	v_add_u32_e32 v2, v1, v2
	v_lshrrev_b32_e32 v2, s11, v2
	s_add_u32 s2, s2, 4
	v_mul_lo_u32 v3, v2, s12
	s_addc_u32 s3, s3, 0
	s_add_i32 s10, s10, -1
	v_sub_u32_e32 v3, v1, v3
	s_cmp_lg_u32 s10, 0
	v_mov_b32_e32 v1, v2
	v_mad_u64_u32 v[4:5], s[12:13], v3, s14, v[4:5]
	s_cbranch_scc1 .LBB167_485
.LBB167_486:
	s_cbranch_execnz .LBB167_489
.LBB167_487:
	s_load_dwordx4 s[8:11], s[4:5], 0x4
	s_load_dword s2, s[4:5], 0xc4
	s_cmp_lt_u32 s33, 2
	s_waitcnt lgkmcnt(0)
	v_mul_hi_u32 v1, s9, v0
	v_add_u32_e32 v1, v0, v1
	v_lshrrev_b32_e32 v1, s10, v1
	v_mul_lo_u32 v2, v1, s8
	v_sub_u32_e32 v0, v0, v2
	v_mul_lo_u32 v4, v0, s2
	s_cbranch_scc1 .LBB167_489
; %bb.488:
	s_load_dwordx4 s[8:11], s[4:5], 0x10
	s_load_dword s2, s[4:5], 0xc8
	s_waitcnt lgkmcnt(0)
	v_mul_hi_u32 v0, s9, v1
	v_add_u32_e32 v0, v1, v0
	v_lshrrev_b32_e32 v0, s10, v0
	v_mul_lo_u32 v0, v0, s8
	v_sub_u32_e32 v0, v1, v0
	v_mad_u64_u32 v[4:5], s[2:3], v0, s2, v[4:5]
.LBB167_489:
	s_and_b64 vcc, exec, s[0:1]
	v_add_u32_e32 v0, 0x100, v9
	s_cbranch_vccnz .LBB167_495
; %bb.490:
	s_mov_b32 s28, 0
	s_cmp_eq_u32 s33, 0
	v_mov_b32_e32 v2, 0
	s_cbranch_scc1 .LBB167_499
; %bb.491:
	s_min_u32 s29, s82, 15
	s_add_i32 s29, s29, 1
	s_cmp_eq_u32 s82, 2
	v_mov_b32_e32 v2, 0
	s_cbranch_scc1 .LBB167_496
; %bb.492:
	s_add_u32 s2, s4, 0xc4
	s_addc_u32 s3, s5, 0
	s_and_b32 s28, s29, 28
	s_mov_b32 s30, 0
	v_mov_b32_e32 v2, 0
	s_mov_b64 s[26:27], s[4:5]
	v_mov_b32_e32 v1, v0
.LBB167_493:                            ; =>This Inner Loop Header: Depth=1
	s_load_dwordx8 s[8:15], s[26:27], 0x4
	s_load_dwordx4 s[16:19], s[26:27], 0x24
	s_load_dwordx4 s[20:23], s[2:3], 0x0
	s_add_u32 s26, s26, 48
	s_addc_u32 s27, s27, 0
	s_waitcnt lgkmcnt(0)
	v_mul_hi_u32 v3, s9, v1
	v_add_u32_e32 v3, v1, v3
	v_lshrrev_b32_e32 v3, s10, v3
	v_mul_lo_u32 v5, v3, s8
	v_mul_hi_u32 v7, s12, v3
	v_sub_u32_e32 v1, v1, v5
	v_add_u32_e32 v5, v3, v7
	v_lshrrev_b32_e32 v5, s13, v5
	v_mul_lo_u32 v7, v5, s11
	v_mul_hi_u32 v9, s15, v5
	v_sub_u32_e32 v3, v3, v7
	v_add_u32_e32 v7, v5, v9
	v_mul_lo_u32 v1, v1, s20
	v_mul_lo_u32 v3, v3, s21
	v_lshrrev_b32_e32 v7, s16, v7
	v_add3_u32 v2, v1, v2, v3
	v_mul_lo_u32 v1, v7, s14
	v_mul_hi_u32 v3, s18, v7
	v_sub_u32_e32 v1, v5, v1
	v_add_u32_e32 v3, v7, v3
	v_mul_lo_u32 v5, v1, s22
	v_lshrrev_b32_e32 v1, s19, v3
	s_add_i32 s30, s30, 4
	v_mul_lo_u32 v3, v1, s17
	s_add_u32 s2, s2, 16
	v_sub_u32_e32 v3, v7, v3
	s_addc_u32 s3, s3, 0
	v_mul_lo_u32 v3, v3, s23
	s_cmp_lg_u32 s28, s30
	v_add3_u32 v2, v5, v2, v3
	s_cbranch_scc1 .LBB167_493
; %bb.494:
	s_and_b32 s10, s29, 3
	s_cmp_eq_u32 s10, 0
	s_cbranch_scc0 .LBB167_497
	s_branch .LBB167_499
.LBB167_495:
                                        ; implicit-def: $vgpr2
	s_branch .LBB167_500
.LBB167_496:
	v_mov_b32_e32 v1, v0
	s_and_b32 s10, s29, 3
	s_cmp_eq_u32 s10, 0
	s_cbranch_scc1 .LBB167_499
.LBB167_497:
	s_lshl_b32 s2, s28, 2
	s_add_u32 s2, s2, s4
	s_addc_u32 s3, 0, s5
	s_add_u32 s2, s2, 0xc4
	s_addc_u32 s3, s3, 0
	s_mul_i32 s8, s28, 12
	s_add_u32 s8, s4, s8
	s_addc_u32 s9, 0, s5
.LBB167_498:                            ; =>This Inner Loop Header: Depth=1
	s_load_dwordx2 s[12:13], s[8:9], 0x4
	s_load_dword s11, s[8:9], 0xc
	s_load_dword s14, s[2:3], 0x0
	s_add_u32 s8, s8, 12
	s_addc_u32 s9, s9, 0
	s_waitcnt lgkmcnt(0)
	v_mul_hi_u32 v3, s13, v1
	v_add_u32_e32 v3, v1, v3
	v_lshrrev_b32_e32 v3, s11, v3
	s_add_u32 s2, s2, 4
	v_mul_lo_u32 v5, v3, s12
	s_addc_u32 s3, s3, 0
	s_add_i32 s10, s10, -1
	v_sub_u32_e32 v5, v1, v5
	s_cmp_lg_u32 s10, 0
	v_mov_b32_e32 v1, v3
	v_mad_u64_u32 v[2:3], s[12:13], v5, s14, v[2:3]
	s_cbranch_scc1 .LBB167_498
.LBB167_499:
	s_cbranch_execnz .LBB167_502
.LBB167_500:
	s_load_dwordx4 s[8:11], s[4:5], 0x4
	s_load_dword s2, s[4:5], 0xc4
	s_cmp_lt_u32 s33, 2
	s_waitcnt lgkmcnt(0)
	v_mul_hi_u32 v1, s9, v0
	v_add_u32_e32 v1, v0, v1
	v_lshrrev_b32_e32 v1, s10, v1
	v_mul_lo_u32 v2, v1, s8
	v_sub_u32_e32 v0, v0, v2
	v_mul_lo_u32 v2, v0, s2
	s_cbranch_scc1 .LBB167_502
; %bb.501:
	s_load_dwordx4 s[8:11], s[4:5], 0x10
	s_load_dword s2, s[4:5], 0xc8
	s_waitcnt lgkmcnt(0)
	v_mul_hi_u32 v0, s9, v1
	v_add_u32_e32 v0, v1, v0
	v_lshrrev_b32_e32 v0, s10, v0
	v_mul_lo_u32 v0, v0, s8
	v_sub_u32_e32 v0, v1, v0
	v_mad_u64_u32 v[2:3], s[2:3], v0, s2, v[2:3]
.LBB167_502:
	s_and_b64 vcc, exec, s[0:1]
	s_cbranch_vccnz .LBB167_508
; %bb.503:
	s_mov_b32 s26, 0
	s_cmp_eq_u32 s33, 0
	v_mov_b32_e32 v0, 0
	s_cbranch_scc1 .LBB167_512
; %bb.504:
	s_min_u32 s27, s82, 15
	s_add_i32 s27, s27, 1
	s_cmp_eq_u32 s82, 2
	v_mov_b32_e32 v0, 0
	s_cbranch_scc1 .LBB167_509
; %bb.505:
	s_add_u32 s20, s4, 0xc4
	s_addc_u32 s21, s5, 0
	s_and_b32 s26, s27, 28
	s_mov_b32 s28, 0
	v_mov_b32_e32 v0, 0
	s_mov_b64 s[22:23], s[4:5]
	v_mov_b32_e32 v3, v8
.LBB167_506:                            ; =>This Inner Loop Header: Depth=1
	s_load_dwordx8 s[8:15], s[22:23], 0x4
	s_load_dwordx4 s[0:3], s[22:23], 0x24
	s_load_dwordx4 s[16:19], s[20:21], 0x0
	s_add_u32 s22, s22, 48
	s_addc_u32 s23, s23, 0
	s_waitcnt lgkmcnt(0)
	v_mul_hi_u32 v1, s9, v3
	v_add_u32_e32 v1, v3, v1
	v_lshrrev_b32_e32 v1, s10, v1
	v_mul_lo_u32 v5, v1, s8
	v_mul_hi_u32 v7, s12, v1
	v_sub_u32_e32 v3, v3, v5
	v_add_u32_e32 v5, v1, v7
	v_lshrrev_b32_e32 v5, s13, v5
	v_mul_lo_u32 v7, v5, s11
	v_mul_hi_u32 v9, s15, v5
	v_sub_u32_e32 v1, v1, v7
	v_add_u32_e32 v7, v5, v9
	v_mul_lo_u32 v3, v3, s16
	v_mul_lo_u32 v1, v1, s17
	v_lshrrev_b32_e32 v7, s0, v7
	v_add3_u32 v0, v3, v0, v1
	v_mul_hi_u32 v3, s2, v7
	v_add_u32_e32 v3, v7, v3
	v_mul_lo_u32 v1, v7, s14
	v_lshrrev_b32_e32 v3, s3, v3
	s_add_i32 s28, s28, 4
	v_sub_u32_e32 v1, v5, v1
	v_mul_lo_u32 v5, v3, s1
	s_add_u32 s20, s20, 16
	v_sub_u32_e32 v5, v7, v5
	s_addc_u32 s21, s21, 0
	v_mul_lo_u32 v1, v1, s18
	v_mul_lo_u32 v5, v5, s19
	s_cmp_lg_u32 s26, s28
	v_add3_u32 v0, v1, v0, v5
	s_cbranch_scc1 .LBB167_506
; %bb.507:
	s_and_b32 s8, s27, 3
	s_cmp_eq_u32 s8, 0
	s_cbranch_scc0 .LBB167_510
	s_branch .LBB167_512
.LBB167_508:
                                        ; implicit-def: $vgpr0
	s_branch .LBB167_513
.LBB167_509:
	v_mov_b32_e32 v3, v8
	s_and_b32 s8, s27, 3
	s_cmp_eq_u32 s8, 0
	s_cbranch_scc1 .LBB167_512
.LBB167_510:
	s_lshl_b32 s0, s26, 2
	s_add_u32 s0, s0, s4
	s_addc_u32 s1, 0, s5
	s_add_u32 s0, s0, 0xc4
	s_addc_u32 s1, s1, 0
	s_mul_i32 s2, s26, 12
	s_add_u32 s2, s4, s2
	s_addc_u32 s3, 0, s5
.LBB167_511:                            ; =>This Inner Loop Header: Depth=1
	s_load_dwordx2 s[10:11], s[2:3], 0x4
	s_load_dword s9, s[2:3], 0xc
	s_load_dword s12, s[0:1], 0x0
	s_add_u32 s2, s2, 12
	s_addc_u32 s3, s3, 0
	s_waitcnt lgkmcnt(0)
	v_mul_hi_u32 v1, s11, v3
	v_add_u32_e32 v1, v3, v1
	v_lshrrev_b32_e32 v1, s9, v1
	s_add_u32 s0, s0, 4
	v_mul_lo_u32 v5, v1, s10
	s_addc_u32 s1, s1, 0
	s_add_i32 s8, s8, -1
	v_sub_u32_e32 v5, v3, v5
	s_cmp_lg_u32 s8, 0
	v_mov_b32_e32 v3, v1
	v_mad_u64_u32 v[0:1], s[10:11], v5, s12, v[0:1]
	s_cbranch_scc1 .LBB167_511
.LBB167_512:
	s_cbranch_execnz .LBB167_515
.LBB167_513:
	s_load_dwordx4 s[0:3], s[4:5], 0x4
	s_waitcnt lgkmcnt(0)
	s_load_dword s3, s[4:5], 0xc4
	s_cmp_lt_u32 s33, 2
	v_mul_hi_u32 v0, s1, v8
	v_add_u32_e32 v0, v8, v0
	v_lshrrev_b32_e32 v1, s2, v0
	v_mul_lo_u32 v0, v1, s0
	v_sub_u32_e32 v0, v8, v0
	s_waitcnt lgkmcnt(0)
	v_mul_lo_u32 v0, v0, s3
	s_cbranch_scc1 .LBB167_515
; %bb.514:
	s_load_dwordx4 s[0:3], s[4:5], 0x10
	s_waitcnt lgkmcnt(0)
	s_load_dword s3, s[4:5], 0xc8
	v_mul_hi_u32 v3, s1, v1
	v_add_u32_e32 v3, v1, v3
	v_lshrrev_b32_e32 v3, s2, v3
	v_mul_lo_u32 v3, v3, s0
	v_sub_u32_e32 v1, v1, v3
	s_waitcnt lgkmcnt(0)
	v_mad_u64_u32 v[0:1], s[0:1], v1, s3, v[0:1]
.LBB167_515:
	s_load_dwordx4 s[0:3], s[4:5], 0x108
	s_waitcnt lgkmcnt(0)
	v_mov_b32_e32 v1, s1
	s_and_b32 s3, s3, 0xff
	v_add_co_u32_e32 v6, vcc, s0, v6
	v_addc_co_u32_e32 v7, vcc, 0, v1, vcc
	v_cmp_lt_i16_e64 s[8:9], s3, 11
	s_and_b64 vcc, exec, s[8:9]
	s_cbranch_vccnz .LBB167_522
; %bb.516:
	v_cmp_gt_i16_e64 s[4:5], s3, 25
	s_mov_b64 s[14:15], -1
	s_mov_b64 s[10:11], 0
	s_and_b64 vcc, exec, s[4:5]
	s_mov_b64 s[12:13], 0
	s_mov_b64 s[4:5], 0
	s_cbranch_vccz .LBB167_554
; %bb.517:
	v_cmp_gt_i16_e64 s[4:5], s3, 28
	s_and_b64 vcc, exec, s[4:5]
	s_cbranch_vccz .LBB167_524
; %bb.518:
	v_cmp_gt_i16_e64 s[4:5], s3, 43
	s_and_b64 vcc, exec, s[4:5]
	;; [unrolled: 4-line block ×3, first 2 shown]
	s_cbranch_vccz .LBB167_526
; %bb.520:
	v_cmp_eq_u16_e64 s[12:13], s3, 46
	s_mov_b64 s[4:5], -1
	s_mov_b64 s[14:15], 0
	s_and_b64 vcc, exec, s[12:13]
	s_mov_b64 s[12:13], 0
	s_cbranch_vccz .LBB167_527
; %bb.521:
	v_cvt_f32_u32_e32 v1, s2
	s_mov_b64 s[4:5], 0
	s_mov_b64 s[12:13], -1
	v_bfe_u32 v3, v1, 16, 1
	v_add_u32_e32 v1, v1, v3
	v_add_u32_e32 v1, 0x7fff, v1
	v_lshrrev_b32_e32 v1, 16, v1
	global_store_dword v[6:7], v1, off
	s_branch .LBB167_527
.LBB167_522:
	s_mov_b64 s[12:13], 0
	s_mov_b64 s[4:5], s[6:7]
	s_cbranch_execnz .LBB167_604
.LBB167_523:
	s_andn2_b64 vcc, exec, s[12:13]
	s_cbranch_vccz .LBB167_642
	s_branch .LBB167_949
.LBB167_524:
	s_mov_b64 s[4:5], 0
	s_and_b64 vcc, exec, s[14:15]
	s_cbranch_vccz .LBB167_553
	s_branch .LBB167_536
.LBB167_525:
	s_mov_b64 s[4:5], 0
	s_and_b64 vcc, exec, s[14:15]
	s_cbranch_vccnz .LBB167_533
	s_branch .LBB167_535
.LBB167_526:
	s_mov_b64 s[4:5], 0
.LBB167_527:
	s_and_b64 vcc, exec, s[14:15]
	s_cbranch_vccz .LBB167_532
; %bb.528:
	v_cmp_eq_u16_e64 s[14:15], s3, 44
	s_mov_b64 s[4:5], -1
	s_and_b64 vcc, exec, s[14:15]
	s_cbranch_vccz .LBB167_532
; %bb.529:
	v_cvt_f32_u32_e32 v1, s2
	v_readfirstlane_b32 s5, v1
	s_lshr_b32 s4, s5, 23
	s_cmpk_eq_i32 s4, 0xff
	v_mov_b32_e32 v1, 0xff
	s_cbranch_scc1 .LBB167_531
; %bb.530:
	s_bitcmp1_b32 s5, 22
	s_cselect_b64 s[12:13], -1, 0
	s_and_b32 s5, s5, 0x3fffff
	s_or_b32 s5, s4, s5
	s_cmp_lg_u32 s5, 0
	s_cselect_b64 s[14:15], -1, 0
	s_and_b64 s[12:13], s[12:13], s[14:15]
	v_cndmask_b32_e64 v1, 0, 1, s[12:13]
	v_add_u32_e32 v1, s4, v1
.LBB167_531:
	s_mov_b64 s[4:5], 0
	s_mov_b64 s[12:13], -1
	global_store_byte v[6:7], v1, off
.LBB167_532:
	s_branch .LBB167_535
.LBB167_533:
	v_cmp_eq_u16_e64 s[14:15], s3, 29
	s_mov_b64 s[4:5], -1
	s_and_b64 vcc, exec, s[14:15]
	s_cbranch_vccz .LBB167_535
; %bb.534:
	v_mov_b32_e32 v8, s2
	v_mov_b32_e32 v9, 0
	global_store_dwordx2 v[6:7], v[8:9], off
	s_mov_b64 s[4:5], 0
	s_mov_b64 s[12:13], -1
.LBB167_535:
	s_branch .LBB167_553
.LBB167_536:
	v_cmp_lt_i16_e64 s[14:15], s3, 27
	s_mov_b64 s[12:13], -1
	s_and_b64 vcc, exec, s[14:15]
	s_cbranch_vccnz .LBB167_542
; %bb.537:
	v_cmp_gt_i16_e64 s[14:15], s3, 27
	s_and_b64 vcc, exec, s[14:15]
	s_cbranch_vccz .LBB167_539
; %bb.538:
	v_mov_b32_e32 v1, s2
	s_mov_b64 s[12:13], 0
	global_store_dword v[6:7], v1, off
.LBB167_539:
	s_andn2_b64 vcc, exec, s[12:13]
	s_cbranch_vccnz .LBB167_541
; %bb.540:
	v_mov_b32_e32 v1, s2
	global_store_short v[6:7], v1, off
.LBB167_541:
	s_mov_b64 s[12:13], 0
.LBB167_542:
	s_andn2_b64 vcc, exec, s[12:13]
	s_cbranch_vccnz .LBB167_552
; %bb.543:
	v_cvt_f32_u32_e32 v1, s2
	s_mov_b32 s13, 0x437fffff
	v_mov_b32_e32 v5, 0x80
	v_cmp_lt_u32_e32 vcc, s13, v1
	v_readfirstlane_b32 s12, v1
	s_cbranch_vccnz .LBB167_551
; %bb.544:
	s_cmp_gt_u32 s12, 0x3bffffff
	s_cbranch_scc0 .LBB167_546
; %bb.545:
	s_bfe_u32 s13, s12, 0x10014
	s_add_i32 s12, s12, s13
	s_add_i32 s12, s12, 0x487ffff
	s_lshr_b32 s16, s12, 20
	s_mov_b64 s[14:15], 0
	s_mov_b64 s[12:13], -1
	s_branch .LBB167_547
.LBB167_546:
	s_mov_b64 s[14:15], -1
	s_mov_b64 s[12:13], 0
                                        ; implicit-def: $sgpr16
.LBB167_547:
	s_andn2_b64 vcc, exec, s[14:15]
	v_mov_b32_e32 v3, s16
                                        ; implicit-def: $sgpr14
	s_cbranch_vccnz .LBB167_549
; %bb.548:
	v_add_f32_e32 v1, 0x46000000, v1
	v_and_b32_e32 v3, 0xff, v1
	s_mov_b32 s14, 0
	v_cmp_ne_u32_e64 s[12:13], 0, v3
.LBB167_549:
	s_andn2_b64 vcc, exec, s[12:13]
	v_mov_b32_e32 v5, s14
	s_cbranch_vccnz .LBB167_551
; %bb.550:
	v_mov_b32_e32 v5, v3
.LBB167_551:
	global_store_byte v[6:7], v5, off
.LBB167_552:
	s_mov_b64 s[12:13], -1
.LBB167_553:
	s_mov_b64 s[14:15], 0
.LBB167_554:
	s_and_b64 vcc, exec, s[14:15]
	s_cbranch_vccz .LBB167_600
; %bb.555:
	v_cmp_gt_i16_e64 s[14:15], s3, 22
	s_mov_b64 s[10:11], -1
	s_and_b64 vcc, exec, s[14:15]
	s_cbranch_vccz .LBB167_593
; %bb.556:
	v_cmp_lt_i16_e64 s[12:13], s3, 24
	s_and_b64 vcc, exec, s[12:13]
	s_cbranch_vccnz .LBB167_580
; %bb.557:
	v_cmp_gt_i16_e64 s[12:13], s3, 24
	s_and_b64 vcc, exec, s[12:13]
	s_cbranch_vccz .LBB167_567
; %bb.558:
	v_cvt_f32_u32_e32 v1, s2
	s_mov_b32 s11, 0x477fffff
	v_mov_b32_e32 v5, 0x80
	v_cmp_lt_u32_e32 vcc, s11, v1
	v_readfirstlane_b32 s10, v1
	s_cbranch_vccnz .LBB167_566
; %bb.559:
	s_cmp_gt_u32 s10, 0x37ffffff
	s_cbranch_scc0 .LBB167_561
; %bb.560:
	s_bfe_u32 s11, s10, 0x10015
	s_add_i32 s10, s10, s11
	s_add_i32 s10, s10, 0x88fffff
	s_lshr_b32 s14, s10, 21
	s_mov_b64 s[12:13], 0
	s_mov_b64 s[10:11], -1
	s_branch .LBB167_562
.LBB167_561:
	s_mov_b64 s[12:13], -1
	s_mov_b64 s[10:11], 0
                                        ; implicit-def: $sgpr14
.LBB167_562:
	s_andn2_b64 vcc, exec, s[12:13]
	v_mov_b32_e32 v3, s14
                                        ; implicit-def: $sgpr12
	s_cbranch_vccnz .LBB167_564
; %bb.563:
	v_add_f32_e32 v1, 0x42800000, v1
	v_and_b32_e32 v3, 0xff, v1
	s_mov_b32 s12, 0
	v_cmp_ne_u32_e64 s[10:11], 0, v3
.LBB167_564:
	s_andn2_b64 vcc, exec, s[10:11]
	v_mov_b32_e32 v5, s12
	s_cbranch_vccnz .LBB167_566
; %bb.565:
	v_mov_b32_e32 v5, v3
.LBB167_566:
	s_mov_b64 s[10:11], 0
	global_store_byte v[6:7], v5, off
.LBB167_567:
	s_and_b64 vcc, exec, s[10:11]
	s_cbranch_vccz .LBB167_579
; %bb.568:
	v_cvt_f32_u32_e32 v1, s2
	s_mov_b32 s10, 0x43f00000
	v_cmp_gt_u32_e32 vcc, s10, v1
	v_readfirstlane_b32 s12, v1
	s_cbranch_vccz .LBB167_571
; %bb.569:
	s_cmp_gt_u32 s12, 0x3c7fffff
	s_cbranch_scc0 .LBB167_572
; %bb.570:
	s_bfe_u32 s10, s12, 0x10014
	s_add_i32 s10, s12, s10
	s_add_i32 s10, s10, 0x407ffff
	s_lshr_b32 s11, s10, 20
	s_and_b32 s10, s10, 0xff00000
	s_cmp_lg_u32 s10, 0x7f00000
	s_cselect_b32 s13, s11, 0x7e
	s_mov_b64 s[10:11], 0
	s_branch .LBB167_573
.LBB167_571:
	s_mov_b64 s[10:11], -1
                                        ; implicit-def: $vgpr3
	s_branch .LBB167_576
.LBB167_572:
	s_mov_b64 s[10:11], -1
                                        ; implicit-def: $sgpr13
.LBB167_573:
	s_andn2_b64 vcc, exec, s[10:11]
	v_mov_b32_e32 v3, s13
	s_cbranch_vccnz .LBB167_575
; %bb.574:
	v_add_f32_e32 v3, 0x46800000, v1
.LBB167_575:
	s_mov_b64 s[10:11], 0
.LBB167_576:
	s_andn2_b64 vcc, exec, s[10:11]
	s_cbranch_vccnz .LBB167_578
; %bb.577:
	s_cmp_gt_u32 s12, 0x7f800000
	s_movk_i32 s10, 0x7f
	s_cselect_b32 s10, s10, 0x7e
	v_mov_b32_e32 v3, s10
.LBB167_578:
	global_store_byte v[6:7], v3, off
.LBB167_579:
	s_mov_b64 s[10:11], 0
.LBB167_580:
	s_andn2_b64 vcc, exec, s[10:11]
	s_cbranch_vccnz .LBB167_592
; %bb.581:
	v_cvt_f32_u32_e32 v1, s2
	s_mov_b32 s10, 0x47800000
	v_cmp_gt_u32_e32 vcc, s10, v1
	v_readfirstlane_b32 s12, v1
	s_cbranch_vccz .LBB167_584
; %bb.582:
	s_cmp_gt_u32 s12, 0x387fffff
	s_cbranch_scc0 .LBB167_585
; %bb.583:
	s_bfe_u32 s10, s12, 0x10015
	s_add_i32 s10, s12, s10
	s_add_i32 s10, s10, 0x80fffff
	s_lshr_b32 s13, s10, 21
	s_mov_b64 s[10:11], 0
	s_branch .LBB167_586
.LBB167_584:
	s_mov_b64 s[10:11], -1
                                        ; implicit-def: $vgpr3
	s_branch .LBB167_589
.LBB167_585:
	s_mov_b64 s[10:11], -1
                                        ; implicit-def: $sgpr13
.LBB167_586:
	s_andn2_b64 vcc, exec, s[10:11]
	v_mov_b32_e32 v3, s13
	s_cbranch_vccnz .LBB167_588
; %bb.587:
	v_add_f32_e32 v3, 0x43000000, v1
.LBB167_588:
	s_mov_b64 s[10:11], 0
.LBB167_589:
	s_andn2_b64 vcc, exec, s[10:11]
	s_cbranch_vccnz .LBB167_591
; %bb.590:
	s_cmp_gt_u32 s12, 0x7f800000
	s_movk_i32 s10, 0x7f
	s_cselect_b32 s10, s10, 0x7c
	v_mov_b32_e32 v3, s10
.LBB167_591:
	global_store_byte v[6:7], v3, off
.LBB167_592:
	s_mov_b64 s[10:11], 0
	s_mov_b64 s[12:13], -1
.LBB167_593:
	s_andn2_b64 vcc, exec, s[10:11]
	s_mov_b64 s[10:11], 0
	s_cbranch_vccnz .LBB167_600
; %bb.594:
	v_cmp_gt_i16_e64 s[10:11], s3, 14
	s_mov_b64 s[14:15], -1
	s_and_b64 vcc, exec, s[10:11]
	s_cbranch_vccz .LBB167_598
; %bb.595:
	v_cmp_eq_u16_e64 s[10:11], s3, 15
	s_mov_b64 s[4:5], -1
	s_and_b64 vcc, exec, s[10:11]
	s_cbranch_vccz .LBB167_597
; %bb.596:
	v_cvt_f32_u32_e32 v1, s2
	s_mov_b64 s[4:5], 0
	s_mov_b64 s[12:13], -1
	v_bfe_u32 v3, v1, 16, 1
	v_add_u32_e32 v1, v1, v3
	v_add_u32_e32 v1, 0x7fff, v1
	global_store_short_d16_hi v[6:7], v1, off
.LBB167_597:
	s_mov_b64 s[14:15], 0
.LBB167_598:
	s_mov_b64 s[10:11], 0
	s_and_b64 vcc, exec, s[14:15]
	s_cbranch_vccz .LBB167_600
; %bb.599:
	v_cmp_ne_u16_e64 s[4:5], s3, 11
	s_mov_b64 s[10:11], -1
.LBB167_600:
	s_and_b64 vcc, exec, s[4:5]
	s_mov_b64 s[4:5], s[6:7]
	s_cbranch_vccnz .LBB167_653
; %bb.601:
	s_andn2_b64 vcc, exec, s[10:11]
	s_cbranch_vccnz .LBB167_603
.LBB167_602:
	s_cmp_lg_u32 s2, 0
	s_cselect_b64 s[10:11], -1, 0
	v_cndmask_b32_e64 v1, 0, 1, s[10:11]
	global_store_byte v[6:7], v1, off
	s_mov_b64 s[12:13], -1
.LBB167_603:
	s_branch .LBB167_523
.LBB167_604:
	v_cmp_lt_i16_e64 s[12:13], s3, 5
	s_mov_b64 s[10:11], -1
	s_and_b64 vcc, exec, s[12:13]
	s_cbranch_vccnz .LBB167_625
; %bb.605:
	v_cmp_lt_i16_e64 s[12:13], s3, 8
	s_and_b64 vcc, exec, s[12:13]
	s_cbranch_vccnz .LBB167_615
; %bb.606:
	v_cmp_lt_i16_e64 s[12:13], s3, 9
	s_and_b64 vcc, exec, s[12:13]
	s_cbranch_vccnz .LBB167_612
; %bb.607:
	v_cmp_gt_i16_e64 s[12:13], s3, 9
	s_and_b64 vcc, exec, s[12:13]
	s_cbranch_vccz .LBB167_609
; %bb.608:
	v_mov_b32_e32 v10, 0
	v_cvt_f64_u32_e32 v[8:9], s2
	v_mov_b32_e32 v11, v10
	global_store_dwordx4 v[6:7], v[8:11], off
	s_mov_b64 s[10:11], 0
.LBB167_609:
	s_andn2_b64 vcc, exec, s[10:11]
	s_cbranch_vccnz .LBB167_611
; %bb.610:
	v_cvt_f32_u32_e32 v8, s2
	v_mov_b32_e32 v9, 0
	global_store_dwordx2 v[6:7], v[8:9], off
.LBB167_611:
	s_mov_b64 s[10:11], 0
.LBB167_612:
	s_andn2_b64 vcc, exec, s[10:11]
	s_cbranch_vccnz .LBB167_614
; %bb.613:
	v_cvt_f32_u32_e32 v1, s2
	v_cvt_f16_f32_e32 v1, v1
	global_store_dword v[6:7], v1, off
.LBB167_614:
	s_mov_b64 s[10:11], 0
.LBB167_615:
	s_andn2_b64 vcc, exec, s[10:11]
	s_cbranch_vccnz .LBB167_624
; %bb.616:
	v_cmp_lt_i16_e64 s[12:13], s3, 6
	s_mov_b64 s[10:11], -1
	s_and_b64 vcc, exec, s[12:13]
	s_cbranch_vccnz .LBB167_622
; %bb.617:
	v_cmp_gt_i16_e64 s[12:13], s3, 6
	s_and_b64 vcc, exec, s[12:13]
	s_cbranch_vccz .LBB167_619
; %bb.618:
	v_cvt_f64_u32_e32 v[8:9], s2
	global_store_dwordx2 v[6:7], v[8:9], off
	s_mov_b64 s[10:11], 0
.LBB167_619:
	s_andn2_b64 vcc, exec, s[10:11]
	s_cbranch_vccnz .LBB167_621
; %bb.620:
	v_cvt_f32_u32_e32 v1, s2
	global_store_dword v[6:7], v1, off
.LBB167_621:
	s_mov_b64 s[10:11], 0
.LBB167_622:
	s_andn2_b64 vcc, exec, s[10:11]
	s_cbranch_vccnz .LBB167_624
; %bb.623:
	v_cvt_f32_u32_e32 v1, s2
	v_cvt_f16_f32_e32 v1, v1
	global_store_short v[6:7], v1, off
.LBB167_624:
	s_mov_b64 s[10:11], 0
.LBB167_625:
	s_andn2_b64 vcc, exec, s[10:11]
	s_cbranch_vccnz .LBB167_641
; %bb.626:
	v_cmp_lt_i16_e64 s[12:13], s3, 2
	s_mov_b64 s[10:11], -1
	s_and_b64 vcc, exec, s[12:13]
	s_cbranch_vccnz .LBB167_636
; %bb.627:
	v_cmp_lt_i16_e64 s[12:13], s3, 3
	s_and_b64 vcc, exec, s[12:13]
	s_cbranch_vccnz .LBB167_633
; %bb.628:
	v_cmp_gt_i16_e64 s[12:13], s3, 3
	s_and_b64 vcc, exec, s[12:13]
	s_cbranch_vccz .LBB167_630
; %bb.629:
	v_mov_b32_e32 v8, s2
	v_mov_b32_e32 v9, 0
	global_store_dwordx2 v[6:7], v[8:9], off
	s_mov_b64 s[10:11], 0
.LBB167_630:
	s_andn2_b64 vcc, exec, s[10:11]
	s_cbranch_vccnz .LBB167_632
; %bb.631:
	v_mov_b32_e32 v1, s2
	global_store_dword v[6:7], v1, off
.LBB167_632:
	s_mov_b64 s[10:11], 0
.LBB167_633:
	s_andn2_b64 vcc, exec, s[10:11]
	s_cbranch_vccnz .LBB167_635
; %bb.634:
	v_mov_b32_e32 v1, s2
	global_store_short v[6:7], v1, off
.LBB167_635:
	s_mov_b64 s[10:11], 0
.LBB167_636:
	s_andn2_b64 vcc, exec, s[10:11]
	s_cbranch_vccnz .LBB167_641
; %bb.637:
	v_cmp_gt_i16_e64 s[12:13], s3, 0
	s_mov_b64 s[10:11], -1
	s_and_b64 vcc, exec, s[12:13]
	s_cbranch_vccz .LBB167_639
; %bb.638:
	v_mov_b32_e32 v1, s2
	global_store_byte v[6:7], v1, off
	s_mov_b64 s[10:11], 0
.LBB167_639:
	s_andn2_b64 vcc, exec, s[10:11]
	s_cbranch_vccnz .LBB167_641
; %bb.640:
	v_mov_b32_e32 v1, s2
	global_store_byte v[6:7], v1, off
.LBB167_641:
.LBB167_642:
	v_mov_b32_e32 v1, s1
	v_add_co_u32_e32 v4, vcc, s0, v4
	v_addc_co_u32_e32 v5, vcc, 0, v1, vcc
	s_and_b64 vcc, exec, s[8:9]
	s_cbranch_vccnz .LBB167_649
; %bb.643:
	v_cmp_gt_i16_e64 s[10:11], s3, 25
	s_mov_b64 s[16:17], -1
	s_mov_b64 s[12:13], 0
	s_and_b64 vcc, exec, s[10:11]
	s_mov_b64 s[14:15], 0
	s_mov_b64 s[10:11], 0
	s_cbranch_vccz .LBB167_684
; %bb.644:
	v_cmp_gt_i16_e64 s[10:11], s3, 28
	s_and_b64 vcc, exec, s[10:11]
	s_cbranch_vccz .LBB167_651
; %bb.645:
	v_cmp_gt_i16_e64 s[10:11], s3, 43
	s_and_b64 vcc, exec, s[10:11]
	;; [unrolled: 4-line block ×3, first 2 shown]
	s_cbranch_vccz .LBB167_654
; %bb.647:
	v_cmp_eq_u16_e64 s[14:15], s3, 46
	s_mov_b64 s[10:11], -1
	s_mov_b64 s[16:17], 0
	s_and_b64 vcc, exec, s[14:15]
	s_mov_b64 s[14:15], 0
	s_cbranch_vccz .LBB167_655
; %bb.648:
	v_cvt_f32_u32_e32 v1, s2
	s_mov_b64 s[10:11], 0
	s_mov_b64 s[14:15], -1
	v_bfe_u32 v3, v1, 16, 1
	v_add_u32_e32 v1, v1, v3
	v_add_u32_e32 v1, 0x7fff, v1
	v_lshrrev_b32_e32 v1, 16, v1
	global_store_dword v[4:5], v1, off
	s_branch .LBB167_655
.LBB167_649:
	s_mov_b64 s[14:15], 0
	s_cbranch_execnz .LBB167_734
.LBB167_650:
	s_andn2_b64 vcc, exec, s[14:15]
	s_cbranch_vccz .LBB167_772
	s_branch .LBB167_949
.LBB167_651:
	s_mov_b64 s[10:11], 0
	s_branch .LBB167_665
.LBB167_652:
	s_mov_b64 s[10:11], 0
	s_branch .LBB167_661
.LBB167_653:
	s_or_b64 s[4:5], s[6:7], exec
	s_trap 2
	s_cbranch_execz .LBB167_602
	s_branch .LBB167_603
.LBB167_654:
	s_mov_b64 s[10:11], 0
.LBB167_655:
	s_and_b64 vcc, exec, s[16:17]
	s_cbranch_vccz .LBB167_660
; %bb.656:
	v_cmp_eq_u16_e64 s[16:17], s3, 44
	s_mov_b64 s[10:11], -1
	s_and_b64 vcc, exec, s[16:17]
	s_cbranch_vccz .LBB167_660
; %bb.657:
	v_cvt_f32_u32_e32 v1, s2
	v_readfirstlane_b32 s11, v1
	s_lshr_b32 s10, s11, 23
	s_cmpk_eq_i32 s10, 0xff
	v_mov_b32_e32 v1, 0xff
	s_cbranch_scc1 .LBB167_659
; %bb.658:
	s_bitcmp1_b32 s11, 22
	s_cselect_b64 s[14:15], -1, 0
	s_and_b32 s11, s11, 0x3fffff
	s_or_b32 s11, s10, s11
	s_cmp_lg_u32 s11, 0
	s_cselect_b64 s[16:17], -1, 0
	s_and_b64 s[14:15], s[14:15], s[16:17]
	v_cndmask_b32_e64 v1, 0, 1, s[14:15]
	v_add_u32_e32 v1, s10, v1
.LBB167_659:
	s_mov_b64 s[10:11], 0
	s_mov_b64 s[14:15], -1
	global_store_byte v[4:5], v1, off
.LBB167_660:
	s_mov_b64 s[16:17], 0
.LBB167_661:
	s_and_b64 vcc, exec, s[16:17]
	s_cbranch_vccz .LBB167_664
; %bb.662:
	v_cmp_eq_u16_e64 s[16:17], s3, 29
	s_mov_b64 s[10:11], -1
	s_and_b64 vcc, exec, s[16:17]
	s_cbranch_vccz .LBB167_664
; %bb.663:
	v_mov_b32_e32 v6, s2
	v_mov_b32_e32 v7, 0
	global_store_dwordx2 v[4:5], v[6:7], off
	s_mov_b64 s[10:11], 0
	s_mov_b64 s[14:15], -1
.LBB167_664:
	s_mov_b64 s[16:17], 0
.LBB167_665:
	s_and_b64 vcc, exec, s[16:17]
	s_cbranch_vccz .LBB167_683
; %bb.666:
	v_cmp_lt_i16_e64 s[16:17], s3, 27
	s_mov_b64 s[14:15], -1
	s_and_b64 vcc, exec, s[16:17]
	s_cbranch_vccnz .LBB167_672
; %bb.667:
	v_cmp_gt_i16_e64 s[16:17], s3, 27
	s_and_b64 vcc, exec, s[16:17]
	s_cbranch_vccz .LBB167_669
; %bb.668:
	v_mov_b32_e32 v1, s2
	s_mov_b64 s[14:15], 0
	global_store_dword v[4:5], v1, off
.LBB167_669:
	s_andn2_b64 vcc, exec, s[14:15]
	s_cbranch_vccnz .LBB167_671
; %bb.670:
	v_mov_b32_e32 v1, s2
	global_store_short v[4:5], v1, off
.LBB167_671:
	s_mov_b64 s[14:15], 0
.LBB167_672:
	s_andn2_b64 vcc, exec, s[14:15]
	s_cbranch_vccnz .LBB167_682
; %bb.673:
	v_cvt_f32_u32_e32 v1, s2
	s_mov_b32 s15, 0x437fffff
	v_mov_b32_e32 v6, 0x80
	v_cmp_lt_u32_e32 vcc, s15, v1
	v_readfirstlane_b32 s14, v1
	s_cbranch_vccnz .LBB167_681
; %bb.674:
	s_cmp_gt_u32 s14, 0x3bffffff
	s_cbranch_scc0 .LBB167_676
; %bb.675:
	s_bfe_u32 s15, s14, 0x10014
	s_add_i32 s14, s14, s15
	s_add_i32 s14, s14, 0x487ffff
	s_lshr_b32 s18, s14, 20
	s_mov_b64 s[16:17], 0
	s_mov_b64 s[14:15], -1
	s_branch .LBB167_677
.LBB167_676:
	s_mov_b64 s[16:17], -1
	s_mov_b64 s[14:15], 0
                                        ; implicit-def: $sgpr18
.LBB167_677:
	s_andn2_b64 vcc, exec, s[16:17]
	v_mov_b32_e32 v3, s18
                                        ; implicit-def: $sgpr16
	s_cbranch_vccnz .LBB167_679
; %bb.678:
	v_add_f32_e32 v1, 0x46000000, v1
	v_and_b32_e32 v3, 0xff, v1
	s_mov_b32 s16, 0
	v_cmp_ne_u32_e64 s[14:15], 0, v3
.LBB167_679:
	s_andn2_b64 vcc, exec, s[14:15]
	v_mov_b32_e32 v6, s16
	s_cbranch_vccnz .LBB167_681
; %bb.680:
	v_mov_b32_e32 v6, v3
.LBB167_681:
	global_store_byte v[4:5], v6, off
.LBB167_682:
	s_mov_b64 s[14:15], -1
.LBB167_683:
	s_mov_b64 s[16:17], 0
.LBB167_684:
	s_and_b64 vcc, exec, s[16:17]
	s_cbranch_vccz .LBB167_730
; %bb.685:
	v_cmp_gt_i16_e64 s[16:17], s3, 22
	s_mov_b64 s[12:13], -1
	s_and_b64 vcc, exec, s[16:17]
	s_cbranch_vccz .LBB167_723
; %bb.686:
	v_cmp_lt_i16_e64 s[14:15], s3, 24
	s_and_b64 vcc, exec, s[14:15]
	s_cbranch_vccnz .LBB167_710
; %bb.687:
	v_cmp_gt_i16_e64 s[14:15], s3, 24
	s_and_b64 vcc, exec, s[14:15]
	s_cbranch_vccz .LBB167_697
; %bb.688:
	v_cvt_f32_u32_e32 v1, s2
	s_mov_b32 s13, 0x477fffff
	v_mov_b32_e32 v6, 0x80
	v_cmp_lt_u32_e32 vcc, s13, v1
	v_readfirstlane_b32 s12, v1
	s_cbranch_vccnz .LBB167_696
; %bb.689:
	s_cmp_gt_u32 s12, 0x37ffffff
	s_cbranch_scc0 .LBB167_691
; %bb.690:
	s_bfe_u32 s13, s12, 0x10015
	s_add_i32 s12, s12, s13
	s_add_i32 s12, s12, 0x88fffff
	s_lshr_b32 s16, s12, 21
	s_mov_b64 s[14:15], 0
	s_mov_b64 s[12:13], -1
	s_branch .LBB167_692
.LBB167_691:
	s_mov_b64 s[14:15], -1
	s_mov_b64 s[12:13], 0
                                        ; implicit-def: $sgpr16
.LBB167_692:
	s_andn2_b64 vcc, exec, s[14:15]
	v_mov_b32_e32 v3, s16
                                        ; implicit-def: $sgpr14
	s_cbranch_vccnz .LBB167_694
; %bb.693:
	v_add_f32_e32 v1, 0x42800000, v1
	v_and_b32_e32 v3, 0xff, v1
	s_mov_b32 s14, 0
	v_cmp_ne_u32_e64 s[12:13], 0, v3
.LBB167_694:
	s_andn2_b64 vcc, exec, s[12:13]
	v_mov_b32_e32 v6, s14
	s_cbranch_vccnz .LBB167_696
; %bb.695:
	v_mov_b32_e32 v6, v3
.LBB167_696:
	s_mov_b64 s[12:13], 0
	global_store_byte v[4:5], v6, off
.LBB167_697:
	s_and_b64 vcc, exec, s[12:13]
	s_cbranch_vccz .LBB167_709
; %bb.698:
	v_cvt_f32_u32_e32 v1, s2
	s_mov_b32 s12, 0x43f00000
	v_cmp_gt_u32_e32 vcc, s12, v1
	v_readfirstlane_b32 s14, v1
	s_cbranch_vccz .LBB167_701
; %bb.699:
	s_cmp_gt_u32 s14, 0x3c7fffff
	s_cbranch_scc0 .LBB167_702
; %bb.700:
	s_bfe_u32 s12, s14, 0x10014
	s_add_i32 s12, s14, s12
	s_add_i32 s12, s12, 0x407ffff
	s_lshr_b32 s13, s12, 20
	s_and_b32 s12, s12, 0xff00000
	s_cmp_lg_u32 s12, 0x7f00000
	s_cselect_b32 s15, s13, 0x7e
	s_mov_b64 s[12:13], 0
	s_branch .LBB167_703
.LBB167_701:
	s_mov_b64 s[12:13], -1
                                        ; implicit-def: $vgpr3
	s_branch .LBB167_706
.LBB167_702:
	s_mov_b64 s[12:13], -1
                                        ; implicit-def: $sgpr15
.LBB167_703:
	s_andn2_b64 vcc, exec, s[12:13]
	v_mov_b32_e32 v3, s15
	s_cbranch_vccnz .LBB167_705
; %bb.704:
	v_add_f32_e32 v3, 0x46800000, v1
.LBB167_705:
	s_mov_b64 s[12:13], 0
.LBB167_706:
	s_andn2_b64 vcc, exec, s[12:13]
	s_cbranch_vccnz .LBB167_708
; %bb.707:
	s_cmp_gt_u32 s14, 0x7f800000
	s_movk_i32 s12, 0x7f
	s_cselect_b32 s12, s12, 0x7e
	v_mov_b32_e32 v3, s12
.LBB167_708:
	global_store_byte v[4:5], v3, off
.LBB167_709:
	s_mov_b64 s[12:13], 0
.LBB167_710:
	s_andn2_b64 vcc, exec, s[12:13]
	s_cbranch_vccnz .LBB167_722
; %bb.711:
	v_cvt_f32_u32_e32 v1, s2
	s_mov_b32 s12, 0x47800000
	v_cmp_gt_u32_e32 vcc, s12, v1
	v_readfirstlane_b32 s14, v1
	s_cbranch_vccz .LBB167_714
; %bb.712:
	s_cmp_gt_u32 s14, 0x387fffff
	s_cbranch_scc0 .LBB167_715
; %bb.713:
	s_bfe_u32 s12, s14, 0x10015
	s_add_i32 s12, s14, s12
	s_add_i32 s12, s12, 0x80fffff
	s_lshr_b32 s15, s12, 21
	s_mov_b64 s[12:13], 0
	s_branch .LBB167_716
.LBB167_714:
	s_mov_b64 s[12:13], -1
                                        ; implicit-def: $vgpr3
	s_branch .LBB167_719
.LBB167_715:
	s_mov_b64 s[12:13], -1
                                        ; implicit-def: $sgpr15
.LBB167_716:
	s_andn2_b64 vcc, exec, s[12:13]
	v_mov_b32_e32 v3, s15
	s_cbranch_vccnz .LBB167_718
; %bb.717:
	v_add_f32_e32 v3, 0x43000000, v1
.LBB167_718:
	s_mov_b64 s[12:13], 0
.LBB167_719:
	s_andn2_b64 vcc, exec, s[12:13]
	s_cbranch_vccnz .LBB167_721
; %bb.720:
	s_cmp_gt_u32 s14, 0x7f800000
	s_movk_i32 s12, 0x7f
	s_cselect_b32 s12, s12, 0x7c
	v_mov_b32_e32 v3, s12
.LBB167_721:
	global_store_byte v[4:5], v3, off
.LBB167_722:
	s_mov_b64 s[12:13], 0
	s_mov_b64 s[14:15], -1
.LBB167_723:
	s_andn2_b64 vcc, exec, s[12:13]
	s_mov_b64 s[12:13], 0
	s_cbranch_vccnz .LBB167_730
; %bb.724:
	v_cmp_gt_i16_e64 s[12:13], s3, 14
	s_mov_b64 s[16:17], -1
	s_and_b64 vcc, exec, s[12:13]
	s_cbranch_vccz .LBB167_728
; %bb.725:
	v_cmp_eq_u16_e64 s[12:13], s3, 15
	s_mov_b64 s[10:11], -1
	s_and_b64 vcc, exec, s[12:13]
	s_cbranch_vccz .LBB167_727
; %bb.726:
	v_cvt_f32_u32_e32 v1, s2
	s_mov_b64 s[10:11], 0
	s_mov_b64 s[14:15], -1
	v_bfe_u32 v3, v1, 16, 1
	v_add_u32_e32 v1, v1, v3
	v_add_u32_e32 v1, 0x7fff, v1
	global_store_short_d16_hi v[4:5], v1, off
.LBB167_727:
	s_mov_b64 s[16:17], 0
.LBB167_728:
	s_mov_b64 s[12:13], 0
	s_and_b64 vcc, exec, s[16:17]
	s_cbranch_vccz .LBB167_730
; %bb.729:
	v_cmp_ne_u16_e64 s[10:11], s3, 11
	s_mov_b64 s[12:13], -1
.LBB167_730:
	s_and_b64 vcc, exec, s[10:11]
	s_cbranch_vccnz .LBB167_793
; %bb.731:
	s_andn2_b64 vcc, exec, s[12:13]
	s_cbranch_vccnz .LBB167_733
.LBB167_732:
	s_cmp_lg_u32 s2, 0
	s_cselect_b64 s[10:11], -1, 0
	v_cndmask_b32_e64 v1, 0, 1, s[10:11]
	s_mov_b64 s[14:15], -1
	global_store_byte v[4:5], v1, off
.LBB167_733:
	s_branch .LBB167_650
.LBB167_734:
	v_cmp_lt_i16_e64 s[12:13], s3, 5
	s_mov_b64 s[10:11], -1
	s_and_b64 vcc, exec, s[12:13]
	s_cbranch_vccnz .LBB167_755
; %bb.735:
	v_cmp_lt_i16_e64 s[12:13], s3, 8
	s_and_b64 vcc, exec, s[12:13]
	s_cbranch_vccnz .LBB167_745
; %bb.736:
	v_cmp_lt_i16_e64 s[12:13], s3, 9
	s_and_b64 vcc, exec, s[12:13]
	s_cbranch_vccnz .LBB167_742
; %bb.737:
	v_cmp_gt_i16_e64 s[12:13], s3, 9
	s_and_b64 vcc, exec, s[12:13]
	s_cbranch_vccz .LBB167_739
; %bb.738:
	v_mov_b32_e32 v8, 0
	v_cvt_f64_u32_e32 v[6:7], s2
	v_mov_b32_e32 v9, v8
	global_store_dwordx4 v[4:5], v[6:9], off
	s_mov_b64 s[10:11], 0
.LBB167_739:
	s_andn2_b64 vcc, exec, s[10:11]
	s_cbranch_vccnz .LBB167_741
; %bb.740:
	v_cvt_f32_u32_e32 v6, s2
	v_mov_b32_e32 v7, 0
	global_store_dwordx2 v[4:5], v[6:7], off
.LBB167_741:
	s_mov_b64 s[10:11], 0
.LBB167_742:
	s_andn2_b64 vcc, exec, s[10:11]
	s_cbranch_vccnz .LBB167_744
; %bb.743:
	v_cvt_f32_u32_e32 v1, s2
	v_cvt_f16_f32_e32 v1, v1
	global_store_dword v[4:5], v1, off
.LBB167_744:
	s_mov_b64 s[10:11], 0
.LBB167_745:
	s_andn2_b64 vcc, exec, s[10:11]
	s_cbranch_vccnz .LBB167_754
; %bb.746:
	v_cmp_lt_i16_e64 s[12:13], s3, 6
	s_mov_b64 s[10:11], -1
	s_and_b64 vcc, exec, s[12:13]
	s_cbranch_vccnz .LBB167_752
; %bb.747:
	v_cmp_gt_i16_e64 s[12:13], s3, 6
	s_and_b64 vcc, exec, s[12:13]
	s_cbranch_vccz .LBB167_749
; %bb.748:
	v_cvt_f64_u32_e32 v[6:7], s2
	global_store_dwordx2 v[4:5], v[6:7], off
	s_mov_b64 s[10:11], 0
.LBB167_749:
	s_andn2_b64 vcc, exec, s[10:11]
	s_cbranch_vccnz .LBB167_751
; %bb.750:
	v_cvt_f32_u32_e32 v1, s2
	global_store_dword v[4:5], v1, off
.LBB167_751:
	s_mov_b64 s[10:11], 0
.LBB167_752:
	s_andn2_b64 vcc, exec, s[10:11]
	s_cbranch_vccnz .LBB167_754
; %bb.753:
	v_cvt_f32_u32_e32 v1, s2
	v_cvt_f16_f32_e32 v1, v1
	global_store_short v[4:5], v1, off
.LBB167_754:
	s_mov_b64 s[10:11], 0
.LBB167_755:
	s_andn2_b64 vcc, exec, s[10:11]
	s_cbranch_vccnz .LBB167_771
; %bb.756:
	v_cmp_lt_i16_e64 s[12:13], s3, 2
	s_mov_b64 s[10:11], -1
	s_and_b64 vcc, exec, s[12:13]
	s_cbranch_vccnz .LBB167_766
; %bb.757:
	v_cmp_lt_i16_e64 s[12:13], s3, 3
	s_and_b64 vcc, exec, s[12:13]
	s_cbranch_vccnz .LBB167_763
; %bb.758:
	v_cmp_gt_i16_e64 s[12:13], s3, 3
	s_and_b64 vcc, exec, s[12:13]
	s_cbranch_vccz .LBB167_760
; %bb.759:
	v_mov_b32_e32 v6, s2
	v_mov_b32_e32 v7, 0
	global_store_dwordx2 v[4:5], v[6:7], off
	s_mov_b64 s[10:11], 0
.LBB167_760:
	s_andn2_b64 vcc, exec, s[10:11]
	s_cbranch_vccnz .LBB167_762
; %bb.761:
	v_mov_b32_e32 v1, s2
	global_store_dword v[4:5], v1, off
.LBB167_762:
	s_mov_b64 s[10:11], 0
.LBB167_763:
	s_andn2_b64 vcc, exec, s[10:11]
	s_cbranch_vccnz .LBB167_765
; %bb.764:
	v_mov_b32_e32 v1, s2
	global_store_short v[4:5], v1, off
.LBB167_765:
	s_mov_b64 s[10:11], 0
.LBB167_766:
	s_andn2_b64 vcc, exec, s[10:11]
	s_cbranch_vccnz .LBB167_771
; %bb.767:
	v_cmp_gt_i16_e64 s[12:13], s3, 0
	s_mov_b64 s[10:11], -1
	s_and_b64 vcc, exec, s[12:13]
	s_cbranch_vccz .LBB167_769
; %bb.768:
	v_mov_b32_e32 v1, s2
	global_store_byte v[4:5], v1, off
	s_mov_b64 s[10:11], 0
.LBB167_769:
	s_andn2_b64 vcc, exec, s[10:11]
	s_cbranch_vccnz .LBB167_771
; %bb.770:
	v_mov_b32_e32 v1, s2
	global_store_byte v[4:5], v1, off
.LBB167_771:
.LBB167_772:
	v_mov_b32_e32 v1, s1
	v_add_co_u32_e32 v2, vcc, s0, v2
	v_addc_co_u32_e32 v3, vcc, 0, v1, vcc
	s_and_b64 vcc, exec, s[8:9]
	s_cbranch_vccnz .LBB167_779
; %bb.773:
	v_cmp_gt_i16_e64 s[10:11], s3, 25
	s_mov_b64 s[16:17], -1
	s_mov_b64 s[12:13], 0
	s_and_b64 vcc, exec, s[10:11]
	s_mov_b64 s[14:15], 0
	s_mov_b64 s[10:11], 0
	s_cbranch_vccz .LBB167_847
; %bb.774:
	v_cmp_gt_i16_e64 s[10:11], s3, 28
	s_and_b64 vcc, exec, s[10:11]
	s_cbranch_vccz .LBB167_790
; %bb.775:
	v_cmp_gt_i16_e64 s[10:11], s3, 43
	s_and_b64 vcc, exec, s[10:11]
	s_cbranch_vccz .LBB167_791
; %bb.776:
	v_cmp_gt_i16_e64 s[10:11], s3, 45
	s_and_b64 vcc, exec, s[10:11]
	s_cbranch_vccz .LBB167_794
; %bb.777:
	v_cmp_eq_u16_e64 s[14:15], s3, 46
	s_mov_b64 s[10:11], -1
	s_mov_b64 s[16:17], 0
	s_and_b64 vcc, exec, s[14:15]
	s_mov_b64 s[14:15], 0
	s_cbranch_vccz .LBB167_795
; %bb.778:
	v_cvt_f32_u32_e32 v1, s2
	s_mov_b64 s[10:11], 0
	s_mov_b64 s[14:15], -1
	v_bfe_u32 v4, v1, 16, 1
	v_add_u32_e32 v1, v1, v4
	v_add_u32_e32 v1, 0x7fff, v1
	v_lshrrev_b32_e32 v1, 16, v1
	global_store_dword v[2:3], v1, off
	s_branch .LBB167_795
.LBB167_779:
	s_mov_b64 s[14:15], 0
	s_cbranch_execnz .LBB167_911
.LBB167_780:
	s_andn2_b64 vcc, exec, s[14:15]
	s_cbranch_vccnz .LBB167_949
.LBB167_781:
	v_mov_b32_e32 v1, s1
	v_add_co_u32_e32 v0, vcc, s0, v0
	v_addc_co_u32_e32 v1, vcc, 0, v1, vcc
	s_and_b64 vcc, exec, s[8:9]
	s_cbranch_vccnz .LBB167_789
; %bb.782:
	v_cmp_gt_i16_e64 s[0:1], s3, 25
	s_mov_b64 s[10:11], -1
	s_mov_b64 s[8:9], 0
	s_and_b64 vcc, exec, s[0:1]
	s_mov_b64 s[0:1], 0
	s_cbranch_vccz .LBB167_861
; %bb.783:
	v_cmp_gt_i16_e64 s[0:1], s3, 28
	s_and_b64 vcc, exec, s[0:1]
	s_cbranch_vccz .LBB167_792
; %bb.784:
	v_cmp_gt_i16_e64 s[0:1], s3, 43
	s_and_b64 vcc, exec, s[0:1]
	;; [unrolled: 4-line block ×3, first 2 shown]
	s_cbranch_vccz .LBB167_817
; %bb.786:
	v_cmp_eq_u16_e64 s[10:11], s3, 46
	s_mov_b64 s[0:1], -1
	s_and_b64 vcc, exec, s[10:11]
	s_cbranch_vccz .LBB167_788
; %bb.787:
	v_cvt_f32_u32_e32 v2, s2
	s_mov_b64 s[0:1], 0
	v_bfe_u32 v3, v2, 16, 1
	v_add_u32_e32 v2, v2, v3
	v_add_u32_e32 v2, 0x7fff, v2
	v_lshrrev_b32_e32 v2, 16, v2
	global_store_dword v[0:1], v2, off
.LBB167_788:
	s_mov_b64 s[10:11], 0
	s_branch .LBB167_818
.LBB167_789:
	s_mov_b64 s[8:9], 0
	s_mov_b64 s[0:1], -1
	s_branch .LBB167_950
.LBB167_790:
	s_mov_b64 s[10:11], 0
	s_branch .LBB167_805
.LBB167_791:
	s_mov_b64 s[10:11], 0
	s_branch .LBB167_801
.LBB167_792:
	s_mov_b64 s[0:1], 0
	s_branch .LBB167_828
.LBB167_793:
	s_trap 2
	s_or_b64 s[4:5], s[4:5], exec
	s_cbranch_execz .LBB167_732
	s_branch .LBB167_733
.LBB167_794:
	s_mov_b64 s[10:11], 0
.LBB167_795:
	s_and_b64 vcc, exec, s[16:17]
	s_cbranch_vccz .LBB167_800
; %bb.796:
	v_cmp_eq_u16_e64 s[16:17], s3, 44
	s_mov_b64 s[10:11], -1
	s_and_b64 vcc, exec, s[16:17]
	s_cbranch_vccz .LBB167_800
; %bb.797:
	v_cvt_f32_u32_e32 v1, s2
	v_readfirstlane_b32 s11, v1
	s_lshr_b32 s10, s11, 23
	s_cmpk_eq_i32 s10, 0xff
	v_mov_b32_e32 v1, 0xff
	s_cbranch_scc1 .LBB167_799
; %bb.798:
	s_bitcmp1_b32 s11, 22
	s_cselect_b64 s[14:15], -1, 0
	s_and_b32 s11, s11, 0x3fffff
	s_or_b32 s11, s10, s11
	s_cmp_lg_u32 s11, 0
	s_cselect_b64 s[16:17], -1, 0
	s_and_b64 s[14:15], s[14:15], s[16:17]
	v_cndmask_b32_e64 v1, 0, 1, s[14:15]
	v_add_u32_e32 v1, s10, v1
.LBB167_799:
	s_mov_b64 s[10:11], 0
	s_mov_b64 s[14:15], -1
	global_store_byte v[2:3], v1, off
.LBB167_800:
	s_mov_b64 s[16:17], 0
.LBB167_801:
	s_and_b64 vcc, exec, s[16:17]
	s_cbranch_vccz .LBB167_804
; %bb.802:
	v_cmp_eq_u16_e64 s[16:17], s3, 29
	s_mov_b64 s[10:11], -1
	s_and_b64 vcc, exec, s[16:17]
	s_cbranch_vccz .LBB167_804
; %bb.803:
	v_mov_b32_e32 v4, s2
	v_mov_b32_e32 v5, 0
	global_store_dwordx2 v[2:3], v[4:5], off
	s_mov_b64 s[10:11], 0
	s_mov_b64 s[14:15], -1
.LBB167_804:
	s_mov_b64 s[16:17], 0
.LBB167_805:
	s_and_b64 vcc, exec, s[16:17]
	s_cbranch_vccz .LBB167_846
; %bb.806:
	v_cmp_lt_i16_e64 s[16:17], s3, 27
	s_mov_b64 s[14:15], -1
	s_and_b64 vcc, exec, s[16:17]
	s_cbranch_vccnz .LBB167_812
; %bb.807:
	v_cmp_gt_i16_e64 s[16:17], s3, 27
	s_and_b64 vcc, exec, s[16:17]
	s_cbranch_vccz .LBB167_809
; %bb.808:
	v_mov_b32_e32 v1, s2
	s_mov_b64 s[14:15], 0
	global_store_dword v[2:3], v1, off
.LBB167_809:
	s_andn2_b64 vcc, exec, s[14:15]
	s_cbranch_vccnz .LBB167_811
; %bb.810:
	v_mov_b32_e32 v1, s2
	global_store_short v[2:3], v1, off
.LBB167_811:
	s_mov_b64 s[14:15], 0
.LBB167_812:
	s_andn2_b64 vcc, exec, s[14:15]
	s_cbranch_vccnz .LBB167_845
; %bb.813:
	v_cvt_f32_u32_e32 v1, s2
	s_mov_b32 s15, 0x437fffff
	v_mov_b32_e32 v5, 0x80
	v_cmp_lt_u32_e32 vcc, s15, v1
	v_readfirstlane_b32 s14, v1
	s_cbranch_vccnz .LBB167_844
; %bb.814:
	s_cmp_gt_u32 s14, 0x3bffffff
	s_cbranch_scc0 .LBB167_839
; %bb.815:
	s_bfe_u32 s15, s14, 0x10014
	s_add_i32 s14, s14, s15
	s_add_i32 s14, s14, 0x487ffff
	s_lshr_b32 s18, s14, 20
	s_mov_b64 s[16:17], 0
	s_mov_b64 s[14:15], -1
	s_branch .LBB167_840
.LBB167_816:
	s_mov_b64 s[0:1], 0
	s_branch .LBB167_824
.LBB167_817:
	s_mov_b64 s[0:1], 0
.LBB167_818:
	s_and_b64 vcc, exec, s[10:11]
	s_cbranch_vccz .LBB167_823
; %bb.819:
	v_cmp_eq_u16_e64 s[10:11], s3, 44
	s_mov_b64 s[0:1], -1
	s_and_b64 vcc, exec, s[10:11]
	s_cbranch_vccz .LBB167_823
; %bb.820:
	v_cvt_f32_u32_e32 v2, s2
	v_readfirstlane_b32 s1, v2
	s_lshr_b32 s0, s1, 23
	s_cmpk_eq_i32 s0, 0xff
	v_mov_b32_e32 v2, 0xff
	s_cbranch_scc1 .LBB167_822
; %bb.821:
	s_bitcmp1_b32 s1, 22
	s_cselect_b64 s[10:11], -1, 0
	s_and_b32 s1, s1, 0x3fffff
	s_or_b32 s1, s0, s1
	s_cmp_lg_u32 s1, 0
	s_cselect_b64 s[12:13], -1, 0
	s_and_b64 s[10:11], s[10:11], s[12:13]
	v_cndmask_b32_e64 v2, 0, 1, s[10:11]
	v_add_u32_e32 v2, s0, v2
.LBB167_822:
	s_mov_b64 s[0:1], 0
	global_store_byte v[0:1], v2, off
.LBB167_823:
	s_mov_b64 s[10:11], 0
.LBB167_824:
	s_and_b64 vcc, exec, s[10:11]
	s_cbranch_vccz .LBB167_827
; %bb.825:
	v_cmp_eq_u16_e64 s[10:11], s3, 29
	s_mov_b64 s[0:1], -1
	s_and_b64 vcc, exec, s[10:11]
	s_cbranch_vccz .LBB167_827
; %bb.826:
	v_mov_b32_e32 v2, s2
	v_mov_b32_e32 v3, 0
	global_store_dwordx2 v[0:1], v[2:3], off
	s_mov_b64 s[0:1], 0
.LBB167_827:
	s_mov_b64 s[10:11], 0
.LBB167_828:
	s_and_b64 vcc, exec, s[10:11]
	s_cbranch_vccz .LBB167_860
; %bb.829:
	v_cmp_lt_i16_e64 s[12:13], s3, 27
	s_mov_b64 s[10:11], -1
	s_and_b64 vcc, exec, s[12:13]
	s_cbranch_vccnz .LBB167_835
; %bb.830:
	v_cmp_gt_i16_e64 s[12:13], s3, 27
	s_and_b64 vcc, exec, s[12:13]
	s_cbranch_vccz .LBB167_832
; %bb.831:
	v_mov_b32_e32 v2, s2
	global_store_dword v[0:1], v2, off
	s_mov_b64 s[10:11], 0
.LBB167_832:
	s_andn2_b64 vcc, exec, s[10:11]
	s_cbranch_vccnz .LBB167_834
; %bb.833:
	v_mov_b32_e32 v2, s2
	global_store_short v[0:1], v2, off
.LBB167_834:
	s_mov_b64 s[10:11], 0
.LBB167_835:
	s_andn2_b64 vcc, exec, s[10:11]
	s_cbranch_vccnz .LBB167_860
; %bb.836:
	v_cvt_f32_u32_e32 v2, s2
	s_mov_b32 s11, 0x437fffff
	v_mov_b32_e32 v4, 0x80
	v_cmp_lt_u32_e32 vcc, s11, v2
	v_readfirstlane_b32 s10, v2
	s_cbranch_vccnz .LBB167_859
; %bb.837:
	s_cmp_gt_u32 s10, 0x3bffffff
	s_cbranch_scc0 .LBB167_854
; %bb.838:
	s_bfe_u32 s11, s10, 0x10014
	s_add_i32 s10, s10, s11
	s_add_i32 s10, s10, 0x487ffff
	s_lshr_b32 s14, s10, 20
	s_mov_b64 s[12:13], 0
	s_mov_b64 s[10:11], -1
	s_branch .LBB167_855
.LBB167_839:
	s_mov_b64 s[16:17], -1
	s_mov_b64 s[14:15], 0
                                        ; implicit-def: $sgpr18
.LBB167_840:
	s_andn2_b64 vcc, exec, s[16:17]
	v_mov_b32_e32 v4, s18
                                        ; implicit-def: $sgpr16
	s_cbranch_vccnz .LBB167_842
; %bb.841:
	v_add_f32_e32 v1, 0x46000000, v1
	v_and_b32_e32 v4, 0xff, v1
	s_mov_b32 s16, 0
	v_cmp_ne_u32_e64 s[14:15], 0, v4
.LBB167_842:
	s_andn2_b64 vcc, exec, s[14:15]
	v_mov_b32_e32 v5, s16
	s_cbranch_vccnz .LBB167_844
; %bb.843:
	v_mov_b32_e32 v5, v4
.LBB167_844:
	global_store_byte v[2:3], v5, off
.LBB167_845:
	s_mov_b64 s[14:15], -1
.LBB167_846:
	s_mov_b64 s[16:17], 0
.LBB167_847:
	s_and_b64 vcc, exec, s[16:17]
	s_cbranch_vccz .LBB167_907
; %bb.848:
	v_cmp_gt_i16_e64 s[16:17], s3, 22
	s_mov_b64 s[12:13], -1
	s_and_b64 vcc, exec, s[16:17]
	s_cbranch_vccz .LBB167_900
; %bb.849:
	v_cmp_lt_i16_e64 s[14:15], s3, 24
	s_and_b64 vcc, exec, s[14:15]
	s_cbranch_vccnz .LBB167_887
; %bb.850:
	v_cmp_gt_i16_e64 s[14:15], s3, 24
	s_and_b64 vcc, exec, s[14:15]
	s_cbranch_vccz .LBB167_874
; %bb.851:
	v_cvt_f32_u32_e32 v1, s2
	s_mov_b32 s13, 0x477fffff
	v_mov_b32_e32 v5, 0x80
	v_cmp_lt_u32_e32 vcc, s13, v1
	v_readfirstlane_b32 s12, v1
	s_cbranch_vccnz .LBB167_873
; %bb.852:
	s_cmp_gt_u32 s12, 0x37ffffff
	s_cbranch_scc0 .LBB167_868
; %bb.853:
	s_bfe_u32 s13, s12, 0x10015
	s_add_i32 s12, s12, s13
	s_add_i32 s12, s12, 0x88fffff
	s_lshr_b32 s16, s12, 21
	s_mov_b64 s[14:15], 0
	s_mov_b64 s[12:13], -1
	s_branch .LBB167_869
.LBB167_854:
	s_mov_b64 s[12:13], -1
	s_mov_b64 s[10:11], 0
                                        ; implicit-def: $sgpr14
.LBB167_855:
	s_andn2_b64 vcc, exec, s[12:13]
	v_mov_b32_e32 v3, s14
                                        ; implicit-def: $sgpr12
	s_cbranch_vccnz .LBB167_857
; %bb.856:
	v_add_f32_e32 v2, 0x46000000, v2
	v_and_b32_e32 v3, 0xff, v2
	s_mov_b32 s12, 0
	v_cmp_ne_u32_e64 s[10:11], 0, v3
.LBB167_857:
	s_andn2_b64 vcc, exec, s[10:11]
	v_mov_b32_e32 v4, s12
	s_cbranch_vccnz .LBB167_859
; %bb.858:
	v_mov_b32_e32 v4, v3
.LBB167_859:
	global_store_byte v[0:1], v4, off
.LBB167_860:
	s_mov_b64 s[10:11], 0
.LBB167_861:
	s_and_b64 vcc, exec, s[10:11]
	s_cbranch_vccz .LBB167_1034
; %bb.862:
	v_cmp_gt_i16_e64 s[10:11], s3, 22
	s_mov_b64 s[8:9], -1
	s_and_b64 vcc, exec, s[10:11]
	s_cbranch_vccz .LBB167_1027
; %bb.863:
	v_cmp_lt_i16_e64 s[10:11], s3, 24
	s_and_b64 vcc, exec, s[10:11]
	s_cbranch_vccnz .LBB167_1014
; %bb.864:
	v_cmp_gt_i16_e64 s[10:11], s3, 24
	s_and_b64 vcc, exec, s[10:11]
	s_cbranch_vccz .LBB167_1001
; %bb.865:
	v_cvt_f32_u32_e32 v2, s2
	s_mov_b32 s9, 0x477fffff
	v_mov_b32_e32 v4, 0x80
	v_cmp_lt_u32_e32 vcc, s9, v2
	v_readfirstlane_b32 s8, v2
	s_cbranch_vccnz .LBB167_1000
; %bb.866:
	s_cmp_gt_u32 s8, 0x37ffffff
	s_cbranch_scc0 .LBB167_995
; %bb.867:
	s_bfe_u32 s9, s8, 0x10015
	s_add_i32 s8, s8, s9
	s_add_i32 s8, s8, 0x88fffff
	s_lshr_b32 s12, s8, 21
	s_mov_b64 s[10:11], 0
	s_mov_b64 s[8:9], -1
	s_branch .LBB167_996
.LBB167_868:
	s_mov_b64 s[14:15], -1
	s_mov_b64 s[12:13], 0
                                        ; implicit-def: $sgpr16
.LBB167_869:
	s_andn2_b64 vcc, exec, s[14:15]
	v_mov_b32_e32 v4, s16
                                        ; implicit-def: $sgpr14
	s_cbranch_vccnz .LBB167_871
; %bb.870:
	v_add_f32_e32 v1, 0x42800000, v1
	v_and_b32_e32 v4, 0xff, v1
	s_mov_b32 s14, 0
	v_cmp_ne_u32_e64 s[12:13], 0, v4
.LBB167_871:
	s_andn2_b64 vcc, exec, s[12:13]
	v_mov_b32_e32 v5, s14
	s_cbranch_vccnz .LBB167_873
; %bb.872:
	v_mov_b32_e32 v5, v4
.LBB167_873:
	s_mov_b64 s[12:13], 0
	global_store_byte v[2:3], v5, off
.LBB167_874:
	s_and_b64 vcc, exec, s[12:13]
	s_cbranch_vccz .LBB167_886
; %bb.875:
	v_cvt_f32_u32_e32 v1, s2
	s_mov_b32 s12, 0x43f00000
	v_cmp_gt_u32_e32 vcc, s12, v1
	v_readfirstlane_b32 s14, v1
	s_cbranch_vccz .LBB167_878
; %bb.876:
	s_cmp_gt_u32 s14, 0x3c7fffff
	s_cbranch_scc0 .LBB167_879
; %bb.877:
	s_bfe_u32 s12, s14, 0x10014
	s_add_i32 s12, s14, s12
	s_add_i32 s12, s12, 0x407ffff
	s_lshr_b32 s13, s12, 20
	s_and_b32 s12, s12, 0xff00000
	s_cmp_lg_u32 s12, 0x7f00000
	s_cselect_b32 s15, s13, 0x7e
	s_mov_b64 s[12:13], 0
	s_branch .LBB167_880
.LBB167_878:
	s_mov_b64 s[12:13], -1
                                        ; implicit-def: $vgpr4
	s_branch .LBB167_883
.LBB167_879:
	s_mov_b64 s[12:13], -1
                                        ; implicit-def: $sgpr15
.LBB167_880:
	s_andn2_b64 vcc, exec, s[12:13]
	v_mov_b32_e32 v4, s15
	s_cbranch_vccnz .LBB167_882
; %bb.881:
	v_add_f32_e32 v4, 0x46800000, v1
.LBB167_882:
	s_mov_b64 s[12:13], 0
.LBB167_883:
	s_andn2_b64 vcc, exec, s[12:13]
	s_cbranch_vccnz .LBB167_885
; %bb.884:
	s_cmp_gt_u32 s14, 0x7f800000
	s_movk_i32 s12, 0x7f
	s_cselect_b32 s12, s12, 0x7e
	v_mov_b32_e32 v4, s12
.LBB167_885:
	global_store_byte v[2:3], v4, off
.LBB167_886:
	s_mov_b64 s[12:13], 0
.LBB167_887:
	s_andn2_b64 vcc, exec, s[12:13]
	s_cbranch_vccnz .LBB167_899
; %bb.888:
	v_cvt_f32_u32_e32 v1, s2
	s_mov_b32 s12, 0x47800000
	v_cmp_gt_u32_e32 vcc, s12, v1
	v_readfirstlane_b32 s14, v1
	s_cbranch_vccz .LBB167_891
; %bb.889:
	s_cmp_gt_u32 s14, 0x387fffff
	s_cbranch_scc0 .LBB167_892
; %bb.890:
	s_bfe_u32 s12, s14, 0x10015
	s_add_i32 s12, s14, s12
	s_add_i32 s12, s12, 0x80fffff
	s_lshr_b32 s15, s12, 21
	s_mov_b64 s[12:13], 0
	s_branch .LBB167_893
.LBB167_891:
	s_mov_b64 s[12:13], -1
                                        ; implicit-def: $vgpr4
	s_branch .LBB167_896
.LBB167_892:
	s_mov_b64 s[12:13], -1
                                        ; implicit-def: $sgpr15
.LBB167_893:
	s_andn2_b64 vcc, exec, s[12:13]
	v_mov_b32_e32 v4, s15
	s_cbranch_vccnz .LBB167_895
; %bb.894:
	v_add_f32_e32 v4, 0x43000000, v1
.LBB167_895:
	s_mov_b64 s[12:13], 0
.LBB167_896:
	s_andn2_b64 vcc, exec, s[12:13]
	s_cbranch_vccnz .LBB167_898
; %bb.897:
	s_cmp_gt_u32 s14, 0x7f800000
	s_movk_i32 s12, 0x7f
	s_cselect_b32 s12, s12, 0x7c
	v_mov_b32_e32 v4, s12
.LBB167_898:
	global_store_byte v[2:3], v4, off
.LBB167_899:
	s_mov_b64 s[12:13], 0
	s_mov_b64 s[14:15], -1
.LBB167_900:
	s_andn2_b64 vcc, exec, s[12:13]
	s_mov_b64 s[12:13], 0
	s_cbranch_vccnz .LBB167_907
; %bb.901:
	v_cmp_gt_i16_e64 s[12:13], s3, 14
	s_mov_b64 s[16:17], -1
	s_and_b64 vcc, exec, s[12:13]
	s_cbranch_vccz .LBB167_905
; %bb.902:
	v_cmp_eq_u16_e64 s[12:13], s3, 15
	s_mov_b64 s[10:11], -1
	s_and_b64 vcc, exec, s[12:13]
	s_cbranch_vccz .LBB167_904
; %bb.903:
	v_cvt_f32_u32_e32 v1, s2
	s_mov_b64 s[10:11], 0
	s_mov_b64 s[14:15], -1
	v_bfe_u32 v4, v1, 16, 1
	v_add_u32_e32 v1, v1, v4
	v_add_u32_e32 v1, 0x7fff, v1
	global_store_short_d16_hi v[2:3], v1, off
.LBB167_904:
	s_mov_b64 s[16:17], 0
.LBB167_905:
	s_mov_b64 s[12:13], 0
	s_and_b64 vcc, exec, s[16:17]
	s_cbranch_vccz .LBB167_907
; %bb.906:
	v_cmp_ne_u16_e64 s[10:11], s3, 11
	s_mov_b64 s[12:13], -1
.LBB167_907:
	s_and_b64 vcc, exec, s[10:11]
	s_cbranch_vccnz .LBB167_994
; %bb.908:
	s_andn2_b64 vcc, exec, s[12:13]
	s_cbranch_vccnz .LBB167_910
.LBB167_909:
	s_cmp_lg_u32 s2, 0
	s_cselect_b64 s[10:11], -1, 0
	v_cndmask_b32_e64 v1, 0, 1, s[10:11]
	s_mov_b64 s[14:15], -1
	global_store_byte v[2:3], v1, off
.LBB167_910:
	s_branch .LBB167_780
.LBB167_911:
	v_cmp_lt_i16_e64 s[12:13], s3, 5
	s_mov_b64 s[10:11], -1
	s_and_b64 vcc, exec, s[12:13]
	s_cbranch_vccnz .LBB167_932
; %bb.912:
	v_cmp_lt_i16_e64 s[12:13], s3, 8
	s_and_b64 vcc, exec, s[12:13]
	s_cbranch_vccnz .LBB167_922
; %bb.913:
	v_cmp_lt_i16_e64 s[12:13], s3, 9
	s_and_b64 vcc, exec, s[12:13]
	s_cbranch_vccnz .LBB167_919
; %bb.914:
	v_cmp_gt_i16_e64 s[12:13], s3, 9
	s_and_b64 vcc, exec, s[12:13]
	s_cbranch_vccz .LBB167_916
; %bb.915:
	v_mov_b32_e32 v6, 0
	v_cvt_f64_u32_e32 v[4:5], s2
	v_mov_b32_e32 v7, v6
	global_store_dwordx4 v[2:3], v[4:7], off
	s_mov_b64 s[10:11], 0
.LBB167_916:
	s_andn2_b64 vcc, exec, s[10:11]
	s_cbranch_vccnz .LBB167_918
; %bb.917:
	v_cvt_f32_u32_e32 v4, s2
	v_mov_b32_e32 v5, 0
	global_store_dwordx2 v[2:3], v[4:5], off
.LBB167_918:
	s_mov_b64 s[10:11], 0
.LBB167_919:
	s_andn2_b64 vcc, exec, s[10:11]
	s_cbranch_vccnz .LBB167_921
; %bb.920:
	v_cvt_f32_u32_e32 v1, s2
	v_cvt_f16_f32_e32 v1, v1
	global_store_dword v[2:3], v1, off
.LBB167_921:
	s_mov_b64 s[10:11], 0
.LBB167_922:
	s_andn2_b64 vcc, exec, s[10:11]
	s_cbranch_vccnz .LBB167_931
; %bb.923:
	v_cmp_lt_i16_e64 s[12:13], s3, 6
	s_mov_b64 s[10:11], -1
	s_and_b64 vcc, exec, s[12:13]
	s_cbranch_vccnz .LBB167_929
; %bb.924:
	v_cmp_gt_i16_e64 s[12:13], s3, 6
	s_and_b64 vcc, exec, s[12:13]
	s_cbranch_vccz .LBB167_926
; %bb.925:
	v_cvt_f64_u32_e32 v[4:5], s2
	global_store_dwordx2 v[2:3], v[4:5], off
	s_mov_b64 s[10:11], 0
.LBB167_926:
	s_andn2_b64 vcc, exec, s[10:11]
	s_cbranch_vccnz .LBB167_928
; %bb.927:
	v_cvt_f32_u32_e32 v1, s2
	global_store_dword v[2:3], v1, off
.LBB167_928:
	s_mov_b64 s[10:11], 0
.LBB167_929:
	s_andn2_b64 vcc, exec, s[10:11]
	s_cbranch_vccnz .LBB167_931
; %bb.930:
	v_cvt_f32_u32_e32 v1, s2
	v_cvt_f16_f32_e32 v1, v1
	global_store_short v[2:3], v1, off
.LBB167_931:
	s_mov_b64 s[10:11], 0
.LBB167_932:
	s_andn2_b64 vcc, exec, s[10:11]
	s_cbranch_vccnz .LBB167_948
; %bb.933:
	v_cmp_lt_i16_e64 s[12:13], s3, 2
	s_mov_b64 s[10:11], -1
	s_and_b64 vcc, exec, s[12:13]
	s_cbranch_vccnz .LBB167_943
; %bb.934:
	v_cmp_lt_i16_e64 s[12:13], s3, 3
	s_and_b64 vcc, exec, s[12:13]
	s_cbranch_vccnz .LBB167_940
; %bb.935:
	v_cmp_gt_i16_e64 s[12:13], s3, 3
	s_and_b64 vcc, exec, s[12:13]
	s_cbranch_vccz .LBB167_937
; %bb.936:
	v_mov_b32_e32 v4, s2
	v_mov_b32_e32 v5, 0
	global_store_dwordx2 v[2:3], v[4:5], off
	s_mov_b64 s[10:11], 0
.LBB167_937:
	s_andn2_b64 vcc, exec, s[10:11]
	s_cbranch_vccnz .LBB167_939
; %bb.938:
	v_mov_b32_e32 v1, s2
	global_store_dword v[2:3], v1, off
.LBB167_939:
	s_mov_b64 s[10:11], 0
.LBB167_940:
	s_andn2_b64 vcc, exec, s[10:11]
	s_cbranch_vccnz .LBB167_942
; %bb.941:
	v_mov_b32_e32 v1, s2
	global_store_short v[2:3], v1, off
.LBB167_942:
	s_mov_b64 s[10:11], 0
.LBB167_943:
	s_andn2_b64 vcc, exec, s[10:11]
	s_cbranch_vccnz .LBB167_948
; %bb.944:
	v_cmp_gt_i16_e64 s[12:13], s3, 0
	s_mov_b64 s[10:11], -1
	s_and_b64 vcc, exec, s[12:13]
	s_cbranch_vccz .LBB167_946
; %bb.945:
	v_mov_b32_e32 v1, s2
	global_store_byte v[2:3], v1, off
	s_mov_b64 s[10:11], 0
.LBB167_946:
	s_andn2_b64 vcc, exec, s[10:11]
	s_cbranch_vccnz .LBB167_948
; %bb.947:
	v_mov_b32_e32 v1, s2
	global_store_byte v[2:3], v1, off
.LBB167_948:
	s_branch .LBB167_781
.LBB167_949:
	s_mov_b64 s[0:1], 0
	s_mov_b64 s[8:9], 0
                                        ; implicit-def: $sgpr3
                                        ; implicit-def: $vgpr0_vgpr1
.LBB167_950:
	s_andn2_b64 s[6:7], s[6:7], exec
	s_and_b64 s[4:5], s[4:5], exec
	s_and_b64 s[0:1], s[0:1], exec
	;; [unrolled: 1-line block ×3, first 2 shown]
	s_or_b64 s[6:7], s[6:7], s[4:5]
.LBB167_951:
	s_or_b64 exec, exec, s[24:25]
	s_and_saveexec_b64 s[4:5], s[6:7]
	s_cbranch_execz .LBB167_954
; %bb.952:
	; divergent unreachable
	s_or_b64 exec, exec, s[4:5]
	s_and_saveexec_b64 s[4:5], s[34:35]
	s_xor_b64 s[4:5], exec, s[4:5]
	s_cbranch_execnz .LBB167_955
.LBB167_953:
	s_or_b64 exec, exec, s[4:5]
	s_and_saveexec_b64 s[4:5], s[0:1]
	s_cbranch_execnz .LBB167_956
	s_branch .LBB167_993
.LBB167_954:
	s_or_b64 exec, exec, s[4:5]
	s_and_saveexec_b64 s[4:5], s[34:35]
	s_xor_b64 s[4:5], exec, s[4:5]
	s_cbranch_execz .LBB167_953
.LBB167_955:
	s_cmp_lg_u32 s2, 0
	s_cselect_b64 s[6:7], -1, 0
	v_cndmask_b32_e64 v2, 0, 1, s[6:7]
	global_store_byte v[0:1], v2, off
	s_or_b64 exec, exec, s[4:5]
	s_and_saveexec_b64 s[4:5], s[0:1]
	s_cbranch_execz .LBB167_993
.LBB167_956:
	v_cmp_lt_i16_e64 s[4:5], s3, 5
	s_mov_b64 s[0:1], -1
	s_and_b64 vcc, exec, s[4:5]
	s_cbranch_vccnz .LBB167_977
; %bb.957:
	v_cmp_lt_i16_e64 s[4:5], s3, 8
	s_and_b64 vcc, exec, s[4:5]
	s_cbranch_vccnz .LBB167_967
; %bb.958:
	v_cmp_lt_i16_e64 s[4:5], s3, 9
	s_and_b64 vcc, exec, s[4:5]
	s_cbranch_vccnz .LBB167_964
; %bb.959:
	v_cmp_gt_i16_e64 s[4:5], s3, 9
	s_and_b64 vcc, exec, s[4:5]
	s_cbranch_vccz .LBB167_961
; %bb.960:
	v_mov_b32_e32 v4, 0
	v_cvt_f64_u32_e32 v[2:3], s2
	v_mov_b32_e32 v5, v4
	global_store_dwordx4 v[0:1], v[2:5], off
	s_mov_b64 s[0:1], 0
.LBB167_961:
	s_andn2_b64 vcc, exec, s[0:1]
	s_cbranch_vccnz .LBB167_963
; %bb.962:
	v_cvt_f32_u32_e32 v2, s2
	v_mov_b32_e32 v3, 0
	global_store_dwordx2 v[0:1], v[2:3], off
.LBB167_963:
	s_mov_b64 s[0:1], 0
.LBB167_964:
	s_andn2_b64 vcc, exec, s[0:1]
	s_cbranch_vccnz .LBB167_966
; %bb.965:
	v_cvt_f32_u32_e32 v2, s2
	v_cvt_f16_f32_e32 v2, v2
	global_store_dword v[0:1], v2, off
.LBB167_966:
	s_mov_b64 s[0:1], 0
.LBB167_967:
	s_andn2_b64 vcc, exec, s[0:1]
	s_cbranch_vccnz .LBB167_976
; %bb.968:
	v_cmp_lt_i16_e64 s[4:5], s3, 6
	s_mov_b64 s[0:1], -1
	s_and_b64 vcc, exec, s[4:5]
	s_cbranch_vccnz .LBB167_974
; %bb.969:
	v_cmp_gt_i16_e64 s[4:5], s3, 6
	s_and_b64 vcc, exec, s[4:5]
	s_cbranch_vccz .LBB167_971
; %bb.970:
	v_cvt_f64_u32_e32 v[2:3], s2
	global_store_dwordx2 v[0:1], v[2:3], off
	s_mov_b64 s[0:1], 0
.LBB167_971:
	s_andn2_b64 vcc, exec, s[0:1]
	s_cbranch_vccnz .LBB167_973
; %bb.972:
	v_cvt_f32_u32_e32 v2, s2
	global_store_dword v[0:1], v2, off
.LBB167_973:
	s_mov_b64 s[0:1], 0
.LBB167_974:
	s_andn2_b64 vcc, exec, s[0:1]
	s_cbranch_vccnz .LBB167_976
; %bb.975:
	v_cvt_f32_u32_e32 v2, s2
	v_cvt_f16_f32_e32 v2, v2
	global_store_short v[0:1], v2, off
.LBB167_976:
	s_mov_b64 s[0:1], 0
.LBB167_977:
	s_andn2_b64 vcc, exec, s[0:1]
	s_cbranch_vccnz .LBB167_993
; %bb.978:
	v_cmp_lt_i16_e64 s[4:5], s3, 2
	s_mov_b64 s[0:1], -1
	s_and_b64 vcc, exec, s[4:5]
	s_cbranch_vccnz .LBB167_988
; %bb.979:
	v_cmp_lt_i16_e64 s[4:5], s3, 3
	s_and_b64 vcc, exec, s[4:5]
	s_cbranch_vccnz .LBB167_985
; %bb.980:
	v_cmp_gt_i16_e64 s[4:5], s3, 3
	s_and_b64 vcc, exec, s[4:5]
	s_cbranch_vccz .LBB167_982
; %bb.981:
	v_mov_b32_e32 v2, s2
	v_mov_b32_e32 v3, 0
	global_store_dwordx2 v[0:1], v[2:3], off
	s_mov_b64 s[0:1], 0
.LBB167_982:
	s_andn2_b64 vcc, exec, s[0:1]
	s_cbranch_vccnz .LBB167_984
; %bb.983:
	v_mov_b32_e32 v2, s2
	global_store_dword v[0:1], v2, off
.LBB167_984:
	s_mov_b64 s[0:1], 0
.LBB167_985:
	s_andn2_b64 vcc, exec, s[0:1]
	s_cbranch_vccnz .LBB167_987
; %bb.986:
	v_mov_b32_e32 v2, s2
	global_store_short v[0:1], v2, off
.LBB167_987:
	s_mov_b64 s[0:1], 0
.LBB167_988:
	s_andn2_b64 vcc, exec, s[0:1]
	s_cbranch_vccnz .LBB167_993
; %bb.989:
	v_cmp_gt_i16_e64 s[4:5], s3, 0
	s_mov_b64 s[0:1], -1
	s_and_b64 vcc, exec, s[4:5]
	s_cbranch_vccz .LBB167_991
; %bb.990:
	v_mov_b32_e32 v2, s2
	global_store_byte v[0:1], v2, off
	s_mov_b64 s[0:1], 0
.LBB167_991:
	s_andn2_b64 vcc, exec, s[0:1]
	s_cbranch_vccnz .LBB167_993
; %bb.992:
	v_mov_b32_e32 v2, s2
	global_store_byte v[0:1], v2, off
	s_endpgm
.LBB167_993:
	s_endpgm
.LBB167_994:
	s_trap 2
	s_or_b64 s[4:5], s[4:5], exec
	s_cbranch_execz .LBB167_909
	s_branch .LBB167_910
.LBB167_995:
	s_mov_b64 s[10:11], -1
	s_mov_b64 s[8:9], 0
                                        ; implicit-def: $sgpr12
.LBB167_996:
	s_andn2_b64 vcc, exec, s[10:11]
	v_mov_b32_e32 v3, s12
                                        ; implicit-def: $sgpr10
	s_cbranch_vccnz .LBB167_998
; %bb.997:
	v_add_f32_e32 v2, 0x42800000, v2
	v_and_b32_e32 v3, 0xff, v2
	s_mov_b32 s10, 0
	v_cmp_ne_u32_e64 s[8:9], 0, v3
.LBB167_998:
	s_andn2_b64 vcc, exec, s[8:9]
	v_mov_b32_e32 v4, s10
	s_cbranch_vccnz .LBB167_1000
; %bb.999:
	v_mov_b32_e32 v4, v3
.LBB167_1000:
	s_mov_b64 s[8:9], 0
	global_store_byte v[0:1], v4, off
.LBB167_1001:
	s_and_b64 vcc, exec, s[8:9]
	s_cbranch_vccz .LBB167_1013
; %bb.1002:
	v_cvt_f32_u32_e32 v2, s2
	s_mov_b32 s8, 0x43f00000
	v_cmp_gt_u32_e32 vcc, s8, v2
	v_readfirstlane_b32 s10, v2
	s_cbranch_vccz .LBB167_1005
; %bb.1003:
	s_cmp_gt_u32 s10, 0x3c7fffff
	s_cbranch_scc0 .LBB167_1006
; %bb.1004:
	s_bfe_u32 s8, s10, 0x10014
	s_add_i32 s8, s10, s8
	s_add_i32 s8, s8, 0x407ffff
	s_lshr_b32 s9, s8, 20
	s_and_b32 s8, s8, 0xff00000
	s_cmp_lg_u32 s8, 0x7f00000
	s_cselect_b32 s11, s9, 0x7e
	s_mov_b64 s[8:9], 0
	s_branch .LBB167_1007
.LBB167_1005:
	s_mov_b64 s[8:9], -1
                                        ; implicit-def: $vgpr3
	s_branch .LBB167_1010
.LBB167_1006:
	s_mov_b64 s[8:9], -1
                                        ; implicit-def: $sgpr11
.LBB167_1007:
	s_andn2_b64 vcc, exec, s[8:9]
	v_mov_b32_e32 v3, s11
	s_cbranch_vccnz .LBB167_1009
; %bb.1008:
	v_add_f32_e32 v3, 0x46800000, v2
.LBB167_1009:
	s_mov_b64 s[8:9], 0
.LBB167_1010:
	s_andn2_b64 vcc, exec, s[8:9]
	s_cbranch_vccnz .LBB167_1012
; %bb.1011:
	s_cmp_gt_u32 s10, 0x7f800000
	s_movk_i32 s8, 0x7f
	s_cselect_b32 s8, s8, 0x7e
	v_mov_b32_e32 v3, s8
.LBB167_1012:
	global_store_byte v[0:1], v3, off
.LBB167_1013:
	s_mov_b64 s[8:9], 0
.LBB167_1014:
	s_andn2_b64 vcc, exec, s[8:9]
	s_cbranch_vccnz .LBB167_1026
; %bb.1015:
	v_cvt_f32_u32_e32 v2, s2
	s_mov_b32 s8, 0x47800000
	v_cmp_gt_u32_e32 vcc, s8, v2
	v_readfirstlane_b32 s10, v2
	s_cbranch_vccz .LBB167_1018
; %bb.1016:
	s_cmp_gt_u32 s10, 0x387fffff
	s_cbranch_scc0 .LBB167_1019
; %bb.1017:
	s_bfe_u32 s8, s10, 0x10015
	s_add_i32 s8, s10, s8
	s_add_i32 s8, s8, 0x80fffff
	s_lshr_b32 s11, s8, 21
	s_mov_b64 s[8:9], 0
	s_branch .LBB167_1020
.LBB167_1018:
	s_mov_b64 s[8:9], -1
                                        ; implicit-def: $vgpr3
	s_branch .LBB167_1023
.LBB167_1019:
	s_mov_b64 s[8:9], -1
                                        ; implicit-def: $sgpr11
.LBB167_1020:
	s_andn2_b64 vcc, exec, s[8:9]
	v_mov_b32_e32 v3, s11
	s_cbranch_vccnz .LBB167_1022
; %bb.1021:
	v_add_f32_e32 v3, 0x43000000, v2
.LBB167_1022:
	s_mov_b64 s[8:9], 0
.LBB167_1023:
	s_andn2_b64 vcc, exec, s[8:9]
	s_cbranch_vccnz .LBB167_1025
; %bb.1024:
	s_cmp_gt_u32 s10, 0x7f800000
	s_movk_i32 s8, 0x7f
	s_cselect_b32 s8, s8, 0x7c
	v_mov_b32_e32 v3, s8
.LBB167_1025:
	global_store_byte v[0:1], v3, off
.LBB167_1026:
	s_mov_b64 s[8:9], 0
.LBB167_1027:
	s_andn2_b64 vcc, exec, s[8:9]
	s_mov_b64 s[8:9], 0
	s_cbranch_vccnz .LBB167_1034
; %bb.1028:
	v_cmp_gt_i16_e64 s[8:9], s3, 14
	s_mov_b64 s[10:11], -1
	s_and_b64 vcc, exec, s[8:9]
	s_cbranch_vccz .LBB167_1032
; %bb.1029:
	v_cmp_eq_u16_e64 s[8:9], s3, 15
	s_mov_b64 s[0:1], -1
	s_and_b64 vcc, exec, s[8:9]
	s_cbranch_vccz .LBB167_1031
; %bb.1030:
	v_cvt_f32_u32_e32 v2, s2
	s_mov_b64 s[0:1], 0
	v_bfe_u32 v3, v2, 16, 1
	v_add_u32_e32 v2, v2, v3
	v_add_u32_e32 v2, 0x7fff, v2
	global_store_short_d16_hi v[0:1], v2, off
.LBB167_1031:
	s_mov_b64 s[10:11], 0
.LBB167_1032:
	s_mov_b64 s[8:9], 0
	s_and_b64 vcc, exec, s[10:11]
	s_cbranch_vccz .LBB167_1034
; %bb.1033:
	v_cmp_ne_u16_e64 s[0:1], s3, 11
	s_mov_b64 s[8:9], -1
.LBB167_1034:
	s_and_b64 vcc, exec, s[0:1]
	s_cbranch_vccnz .LBB167_1036
.LBB167_1035:
	s_mov_b64 s[0:1], 0
	s_branch .LBB167_950
.LBB167_1036:
	s_mov_b64 s[8:9], 0
	s_or_b64 s[4:5], s[4:5], exec
	s_trap 2
	s_branch .LBB167_1035
	.section	.rodata,"a",@progbits
	.p2align	6, 0x0
	.amdhsa_kernel _ZN2at6native32elementwise_kernel_manual_unrollILi128ELi4EZNS0_15gpu_kernel_implINS0_11FillFunctorIjEEEEvRNS_18TensorIteratorBaseERKT_EUlibE0_EEviT1_
		.amdhsa_group_segment_fixed_size 0
		.amdhsa_private_segment_fixed_size 0
		.amdhsa_kernarg_size 288
		.amdhsa_user_sgpr_count 6
		.amdhsa_user_sgpr_private_segment_buffer 1
		.amdhsa_user_sgpr_dispatch_ptr 0
		.amdhsa_user_sgpr_queue_ptr 0
		.amdhsa_user_sgpr_kernarg_segment_ptr 1
		.amdhsa_user_sgpr_dispatch_id 0
		.amdhsa_user_sgpr_flat_scratch_init 0
		.amdhsa_user_sgpr_kernarg_preload_length 0
		.amdhsa_user_sgpr_kernarg_preload_offset 0
		.amdhsa_user_sgpr_private_segment_size 0
		.amdhsa_uses_dynamic_stack 0
		.amdhsa_system_sgpr_private_segment_wavefront_offset 0
		.amdhsa_system_sgpr_workgroup_id_x 1
		.amdhsa_system_sgpr_workgroup_id_y 0
		.amdhsa_system_sgpr_workgroup_id_z 0
		.amdhsa_system_sgpr_workgroup_info 0
		.amdhsa_system_vgpr_workitem_id 0
		.amdhsa_next_free_vgpr 24
		.amdhsa_next_free_sgpr 88
		.amdhsa_accum_offset 24
		.amdhsa_reserve_vcc 1
		.amdhsa_reserve_flat_scratch 0
		.amdhsa_float_round_mode_32 0
		.amdhsa_float_round_mode_16_64 0
		.amdhsa_float_denorm_mode_32 3
		.amdhsa_float_denorm_mode_16_64 3
		.amdhsa_dx10_clamp 1
		.amdhsa_ieee_mode 1
		.amdhsa_fp16_overflow 0
		.amdhsa_tg_split 0
		.amdhsa_exception_fp_ieee_invalid_op 0
		.amdhsa_exception_fp_denorm_src 0
		.amdhsa_exception_fp_ieee_div_zero 0
		.amdhsa_exception_fp_ieee_overflow 0
		.amdhsa_exception_fp_ieee_underflow 0
		.amdhsa_exception_fp_ieee_inexact 0
		.amdhsa_exception_int_div_zero 0
	.end_amdhsa_kernel
	.section	.text._ZN2at6native32elementwise_kernel_manual_unrollILi128ELi4EZNS0_15gpu_kernel_implINS0_11FillFunctorIjEEEEvRNS_18TensorIteratorBaseERKT_EUlibE0_EEviT1_,"axG",@progbits,_ZN2at6native32elementwise_kernel_manual_unrollILi128ELi4EZNS0_15gpu_kernel_implINS0_11FillFunctorIjEEEEvRNS_18TensorIteratorBaseERKT_EUlibE0_EEviT1_,comdat
.Lfunc_end167:
	.size	_ZN2at6native32elementwise_kernel_manual_unrollILi128ELi4EZNS0_15gpu_kernel_implINS0_11FillFunctorIjEEEEvRNS_18TensorIteratorBaseERKT_EUlibE0_EEviT1_, .Lfunc_end167-_ZN2at6native32elementwise_kernel_manual_unrollILi128ELi4EZNS0_15gpu_kernel_implINS0_11FillFunctorIjEEEEvRNS_18TensorIteratorBaseERKT_EUlibE0_EEviT1_
                                        ; -- End function
	.section	.AMDGPU.csdata,"",@progbits
; Kernel info:
; codeLenInByte = 17884
; NumSgprs: 92
; NumVgprs: 24
; NumAgprs: 0
; TotalNumVgprs: 24
; ScratchSize: 0
; MemoryBound: 0
; FloatMode: 240
; IeeeMode: 1
; LDSByteSize: 0 bytes/workgroup (compile time only)
; SGPRBlocks: 11
; VGPRBlocks: 2
; NumSGPRsForWavesPerEU: 92
; NumVGPRsForWavesPerEU: 24
; AccumOffset: 24
; Occupancy: 8
; WaveLimiterHint : 1
; COMPUTE_PGM_RSRC2:SCRATCH_EN: 0
; COMPUTE_PGM_RSRC2:USER_SGPR: 6
; COMPUTE_PGM_RSRC2:TRAP_HANDLER: 0
; COMPUTE_PGM_RSRC2:TGID_X_EN: 1
; COMPUTE_PGM_RSRC2:TGID_Y_EN: 0
; COMPUTE_PGM_RSRC2:TGID_Z_EN: 0
; COMPUTE_PGM_RSRC2:TIDIG_COMP_CNT: 0
; COMPUTE_PGM_RSRC3_GFX90A:ACCUM_OFFSET: 5
; COMPUTE_PGM_RSRC3_GFX90A:TG_SPLIT: 0
	.section	.text._ZN2at6native29vectorized_elementwise_kernelILi16ENS0_11FillFunctorImEESt5arrayIPcLm1EEEEviT0_T1_,"axG",@progbits,_ZN2at6native29vectorized_elementwise_kernelILi16ENS0_11FillFunctorImEESt5arrayIPcLm1EEEEviT0_T1_,comdat
	.protected	_ZN2at6native29vectorized_elementwise_kernelILi16ENS0_11FillFunctorImEESt5arrayIPcLm1EEEEviT0_T1_ ; -- Begin function _ZN2at6native29vectorized_elementwise_kernelILi16ENS0_11FillFunctorImEESt5arrayIPcLm1EEEEviT0_T1_
	.globl	_ZN2at6native29vectorized_elementwise_kernelILi16ENS0_11FillFunctorImEESt5arrayIPcLm1EEEEviT0_T1_
	.p2align	8
	.type	_ZN2at6native29vectorized_elementwise_kernelILi16ENS0_11FillFunctorImEESt5arrayIPcLm1EEEEviT0_T1_,@function
_ZN2at6native29vectorized_elementwise_kernelILi16ENS0_11FillFunctorImEESt5arrayIPcLm1EEEEviT0_T1_: ; @_ZN2at6native29vectorized_elementwise_kernelILi16ENS0_11FillFunctorImEESt5arrayIPcLm1EEEEviT0_T1_
; %bb.0:
	s_load_dword s7, s[4:5], 0x0
	s_load_dwordx4 s[0:3], s[4:5], 0x8
	s_lshl_b32 s4, s6, 10
	s_waitcnt lgkmcnt(0)
	s_sub_i32 s8, s7, s4
	s_cmpk_gt_i32 s8, 0x3ff
	s_mov_b64 s[6:7], -1
	s_cbranch_scc0 .LBB168_2
; %bb.1:
	s_ashr_i32 s5, s4, 31
	s_lshl_b64 s[6:7], s[4:5], 3
	s_mov_b32 s12, s0
	s_mov_b32 s13, s1
	s_add_u32 s6, s2, s6
	s_mov_b32 s14, s0
	s_mov_b32 s15, s1
	v_pk_mov_b32 v[2:3], s[12:13], s[12:13] op_sel:[0,1]
	s_addc_u32 s7, s3, s7
	v_lshlrev_b32_e32 v1, 5, v0
	v_pk_mov_b32 v[4:5], s[14:15], s[14:15] op_sel:[0,1]
	global_store_dwordx4 v1, v[2:5], s[6:7]
	global_store_dwordx4 v1, v[2:5], s[6:7] offset:16
	s_mov_b64 s[6:7], 0
.LBB168_2:
	s_andn2_b64 vcc, exec, s[6:7]
	s_cbranch_vccnz .LBB168_8
; %bb.3:
	v_cmp_gt_i32_e32 vcc, s8, v0
	s_and_saveexec_b64 s[6:7], vcc
	s_cbranch_execnz .LBB168_9
; %bb.4:
	s_or_b64 exec, exec, s[6:7]
	v_cmp_gt_i32_e32 vcc, s8, v0
	s_and_saveexec_b64 s[6:7], vcc
	s_cbranch_execnz .LBB168_10
.LBB168_5:
	s_or_b64 exec, exec, s[6:7]
	v_cmp_gt_i32_e32 vcc, s8, v0
	s_and_saveexec_b64 s[6:7], vcc
	s_cbranch_execnz .LBB168_11
.LBB168_6:
	s_or_b64 exec, exec, s[6:7]
	v_cmp_gt_i32_e32 vcc, s8, v0
	s_and_saveexec_b64 s[6:7], vcc
	s_cbranch_execz .LBB168_8
.LBB168_7:
	v_add_u32_e32 v0, s4, v0
	v_mov_b32_e32 v1, 0
	v_lshlrev_b64 v[0:1], 3, v[0:1]
	v_mov_b32_e32 v4, s3
	v_add_co_u32_e32 v0, vcc, s2, v0
	v_mov_b32_e32 v3, s1
	v_mov_b32_e32 v2, s0
	v_addc_co_u32_e32 v1, vcc, v4, v1, vcc
	global_store_dwordx2 v[0:1], v[2:3], off
.LBB168_8:
	s_endpgm
.LBB168_9:
	v_or_b32_e32 v4, 0x100, v0
	v_or_b32_e32 v0, s4, v0
	v_mov_b32_e32 v1, 0
	v_lshlrev_b64 v[0:1], 3, v[0:1]
	v_mov_b32_e32 v5, s3
	v_add_co_u32_e32 v0, vcc, s2, v0
	v_mov_b32_e32 v3, s1
	v_mov_b32_e32 v2, s0
	v_addc_co_u32_e32 v1, vcc, v5, v1, vcc
	global_store_dwordx2 v[0:1], v[2:3], off
	v_mov_b32_e32 v0, v4
	s_or_b64 exec, exec, s[6:7]
	v_cmp_gt_i32_e32 vcc, s8, v0
	s_and_saveexec_b64 s[6:7], vcc
	s_cbranch_execz .LBB168_5
.LBB168_10:
	v_add_u32_e32 v4, s4, v0
	v_mov_b32_e32 v5, 0
	v_lshlrev_b64 v[4:5], 3, v[4:5]
	v_mov_b32_e32 v1, s3
	v_add_co_u32_e32 v4, vcc, s2, v4
	v_mov_b32_e32 v3, s1
	v_mov_b32_e32 v2, s0
	v_addc_co_u32_e32 v5, vcc, v1, v5, vcc
	v_add_u32_e32 v0, 0x100, v0
	global_store_dwordx2 v[4:5], v[2:3], off
	s_or_b64 exec, exec, s[6:7]
	v_cmp_gt_i32_e32 vcc, s8, v0
	s_and_saveexec_b64 s[6:7], vcc
	s_cbranch_execz .LBB168_6
.LBB168_11:
	v_add_u32_e32 v4, s4, v0
	v_mov_b32_e32 v5, 0
	v_lshlrev_b64 v[4:5], 3, v[4:5]
	v_mov_b32_e32 v1, s3
	v_add_co_u32_e32 v4, vcc, s2, v4
	v_mov_b32_e32 v3, s1
	v_mov_b32_e32 v2, s0
	v_addc_co_u32_e32 v5, vcc, v1, v5, vcc
	v_add_u32_e32 v0, 0x100, v0
	global_store_dwordx2 v[4:5], v[2:3], off
	s_or_b64 exec, exec, s[6:7]
	v_cmp_gt_i32_e32 vcc, s8, v0
	s_and_saveexec_b64 s[6:7], vcc
	s_cbranch_execnz .LBB168_7
	s_branch .LBB168_8
	.section	.rodata,"a",@progbits
	.p2align	6, 0x0
	.amdhsa_kernel _ZN2at6native29vectorized_elementwise_kernelILi16ENS0_11FillFunctorImEESt5arrayIPcLm1EEEEviT0_T1_
		.amdhsa_group_segment_fixed_size 0
		.amdhsa_private_segment_fixed_size 0
		.amdhsa_kernarg_size 24
		.amdhsa_user_sgpr_count 6
		.amdhsa_user_sgpr_private_segment_buffer 1
		.amdhsa_user_sgpr_dispatch_ptr 0
		.amdhsa_user_sgpr_queue_ptr 0
		.amdhsa_user_sgpr_kernarg_segment_ptr 1
		.amdhsa_user_sgpr_dispatch_id 0
		.amdhsa_user_sgpr_flat_scratch_init 0
		.amdhsa_user_sgpr_kernarg_preload_length 0
		.amdhsa_user_sgpr_kernarg_preload_offset 0
		.amdhsa_user_sgpr_private_segment_size 0
		.amdhsa_uses_dynamic_stack 0
		.amdhsa_system_sgpr_private_segment_wavefront_offset 0
		.amdhsa_system_sgpr_workgroup_id_x 1
		.amdhsa_system_sgpr_workgroup_id_y 0
		.amdhsa_system_sgpr_workgroup_id_z 0
		.amdhsa_system_sgpr_workgroup_info 0
		.amdhsa_system_vgpr_workitem_id 0
		.amdhsa_next_free_vgpr 6
		.amdhsa_next_free_sgpr 16
		.amdhsa_accum_offset 8
		.amdhsa_reserve_vcc 1
		.amdhsa_reserve_flat_scratch 0
		.amdhsa_float_round_mode_32 0
		.amdhsa_float_round_mode_16_64 0
		.amdhsa_float_denorm_mode_32 3
		.amdhsa_float_denorm_mode_16_64 3
		.amdhsa_dx10_clamp 1
		.amdhsa_ieee_mode 1
		.amdhsa_fp16_overflow 0
		.amdhsa_tg_split 0
		.amdhsa_exception_fp_ieee_invalid_op 0
		.amdhsa_exception_fp_denorm_src 0
		.amdhsa_exception_fp_ieee_div_zero 0
		.amdhsa_exception_fp_ieee_overflow 0
		.amdhsa_exception_fp_ieee_underflow 0
		.amdhsa_exception_fp_ieee_inexact 0
		.amdhsa_exception_int_div_zero 0
	.end_amdhsa_kernel
	.section	.text._ZN2at6native29vectorized_elementwise_kernelILi16ENS0_11FillFunctorImEESt5arrayIPcLm1EEEEviT0_T1_,"axG",@progbits,_ZN2at6native29vectorized_elementwise_kernelILi16ENS0_11FillFunctorImEESt5arrayIPcLm1EEEEviT0_T1_,comdat
.Lfunc_end168:
	.size	_ZN2at6native29vectorized_elementwise_kernelILi16ENS0_11FillFunctorImEESt5arrayIPcLm1EEEEviT0_T1_, .Lfunc_end168-_ZN2at6native29vectorized_elementwise_kernelILi16ENS0_11FillFunctorImEESt5arrayIPcLm1EEEEviT0_T1_
                                        ; -- End function
	.section	.AMDGPU.csdata,"",@progbits
; Kernel info:
; codeLenInByte = 440
; NumSgprs: 20
; NumVgprs: 6
; NumAgprs: 0
; TotalNumVgprs: 6
; ScratchSize: 0
; MemoryBound: 0
; FloatMode: 240
; IeeeMode: 1
; LDSByteSize: 0 bytes/workgroup (compile time only)
; SGPRBlocks: 2
; VGPRBlocks: 0
; NumSGPRsForWavesPerEU: 20
; NumVGPRsForWavesPerEU: 6
; AccumOffset: 8
; Occupancy: 8
; WaveLimiterHint : 0
; COMPUTE_PGM_RSRC2:SCRATCH_EN: 0
; COMPUTE_PGM_RSRC2:USER_SGPR: 6
; COMPUTE_PGM_RSRC2:TRAP_HANDLER: 0
; COMPUTE_PGM_RSRC2:TGID_X_EN: 1
; COMPUTE_PGM_RSRC2:TGID_Y_EN: 0
; COMPUTE_PGM_RSRC2:TGID_Z_EN: 0
; COMPUTE_PGM_RSRC2:TIDIG_COMP_CNT: 0
; COMPUTE_PGM_RSRC3_GFX90A:ACCUM_OFFSET: 1
; COMPUTE_PGM_RSRC3_GFX90A:TG_SPLIT: 0
	.section	.text._ZN2at6native29vectorized_elementwise_kernelILi8ENS0_11FillFunctorImEESt5arrayIPcLm1EEEEviT0_T1_,"axG",@progbits,_ZN2at6native29vectorized_elementwise_kernelILi8ENS0_11FillFunctorImEESt5arrayIPcLm1EEEEviT0_T1_,comdat
	.protected	_ZN2at6native29vectorized_elementwise_kernelILi8ENS0_11FillFunctorImEESt5arrayIPcLm1EEEEviT0_T1_ ; -- Begin function _ZN2at6native29vectorized_elementwise_kernelILi8ENS0_11FillFunctorImEESt5arrayIPcLm1EEEEviT0_T1_
	.globl	_ZN2at6native29vectorized_elementwise_kernelILi8ENS0_11FillFunctorImEESt5arrayIPcLm1EEEEviT0_T1_
	.p2align	8
	.type	_ZN2at6native29vectorized_elementwise_kernelILi8ENS0_11FillFunctorImEESt5arrayIPcLm1EEEEviT0_T1_,@function
_ZN2at6native29vectorized_elementwise_kernelILi8ENS0_11FillFunctorImEESt5arrayIPcLm1EEEEviT0_T1_: ; @_ZN2at6native29vectorized_elementwise_kernelILi8ENS0_11FillFunctorImEESt5arrayIPcLm1EEEEviT0_T1_
; %bb.0:
	s_load_dword s7, s[4:5], 0x0
	s_load_dwordx4 s[0:3], s[4:5], 0x8
	s_lshl_b32 s4, s6, 10
	s_waitcnt lgkmcnt(0)
	s_sub_i32 s8, s7, s4
	s_cmpk_gt_i32 s8, 0x3ff
	s_mov_b64 s[6:7], -1
	s_cbranch_scc0 .LBB169_2
; %bb.1:
	s_ashr_i32 s5, s4, 31
	s_lshl_b64 s[6:7], s[4:5], 3
	s_mov_b32 s12, s0
	s_mov_b32 s13, s1
	s_add_u32 s6, s2, s6
	s_mov_b32 s14, s0
	s_mov_b32 s15, s1
	v_pk_mov_b32 v[2:3], s[12:13], s[12:13] op_sel:[0,1]
	s_addc_u32 s7, s3, s7
	v_lshlrev_b32_e32 v1, 5, v0
	v_pk_mov_b32 v[4:5], s[14:15], s[14:15] op_sel:[0,1]
	global_store_dwordx4 v1, v[2:5], s[6:7]
	global_store_dwordx4 v1, v[2:5], s[6:7] offset:16
	s_mov_b64 s[6:7], 0
.LBB169_2:
	s_andn2_b64 vcc, exec, s[6:7]
	s_cbranch_vccnz .LBB169_8
; %bb.3:
	v_cmp_gt_i32_e32 vcc, s8, v0
	s_and_saveexec_b64 s[6:7], vcc
	s_cbranch_execnz .LBB169_9
; %bb.4:
	s_or_b64 exec, exec, s[6:7]
	v_cmp_gt_i32_e32 vcc, s8, v0
	s_and_saveexec_b64 s[6:7], vcc
	s_cbranch_execnz .LBB169_10
.LBB169_5:
	s_or_b64 exec, exec, s[6:7]
	v_cmp_gt_i32_e32 vcc, s8, v0
	s_and_saveexec_b64 s[6:7], vcc
	s_cbranch_execnz .LBB169_11
.LBB169_6:
	s_or_b64 exec, exec, s[6:7]
	v_cmp_gt_i32_e32 vcc, s8, v0
	s_and_saveexec_b64 s[6:7], vcc
	s_cbranch_execz .LBB169_8
.LBB169_7:
	v_add_u32_e32 v0, s4, v0
	v_mov_b32_e32 v1, 0
	v_lshlrev_b64 v[0:1], 3, v[0:1]
	v_mov_b32_e32 v4, s3
	v_add_co_u32_e32 v0, vcc, s2, v0
	v_mov_b32_e32 v3, s1
	v_mov_b32_e32 v2, s0
	v_addc_co_u32_e32 v1, vcc, v4, v1, vcc
	global_store_dwordx2 v[0:1], v[2:3], off
.LBB169_8:
	s_endpgm
.LBB169_9:
	v_or_b32_e32 v4, 0x100, v0
	v_or_b32_e32 v0, s4, v0
	v_mov_b32_e32 v1, 0
	v_lshlrev_b64 v[0:1], 3, v[0:1]
	v_mov_b32_e32 v5, s3
	v_add_co_u32_e32 v0, vcc, s2, v0
	v_mov_b32_e32 v3, s1
	v_mov_b32_e32 v2, s0
	v_addc_co_u32_e32 v1, vcc, v5, v1, vcc
	global_store_dwordx2 v[0:1], v[2:3], off
	v_mov_b32_e32 v0, v4
	s_or_b64 exec, exec, s[6:7]
	v_cmp_gt_i32_e32 vcc, s8, v0
	s_and_saveexec_b64 s[6:7], vcc
	s_cbranch_execz .LBB169_5
.LBB169_10:
	v_add_u32_e32 v4, s4, v0
	v_mov_b32_e32 v5, 0
	v_lshlrev_b64 v[4:5], 3, v[4:5]
	v_mov_b32_e32 v1, s3
	v_add_co_u32_e32 v4, vcc, s2, v4
	v_mov_b32_e32 v3, s1
	v_mov_b32_e32 v2, s0
	v_addc_co_u32_e32 v5, vcc, v1, v5, vcc
	v_add_u32_e32 v0, 0x100, v0
	global_store_dwordx2 v[4:5], v[2:3], off
	s_or_b64 exec, exec, s[6:7]
	v_cmp_gt_i32_e32 vcc, s8, v0
	s_and_saveexec_b64 s[6:7], vcc
	s_cbranch_execz .LBB169_6
.LBB169_11:
	v_add_u32_e32 v4, s4, v0
	v_mov_b32_e32 v5, 0
	v_lshlrev_b64 v[4:5], 3, v[4:5]
	v_mov_b32_e32 v1, s3
	v_add_co_u32_e32 v4, vcc, s2, v4
	v_mov_b32_e32 v3, s1
	v_mov_b32_e32 v2, s0
	v_addc_co_u32_e32 v5, vcc, v1, v5, vcc
	v_add_u32_e32 v0, 0x100, v0
	global_store_dwordx2 v[4:5], v[2:3], off
	s_or_b64 exec, exec, s[6:7]
	v_cmp_gt_i32_e32 vcc, s8, v0
	s_and_saveexec_b64 s[6:7], vcc
	s_cbranch_execnz .LBB169_7
	s_branch .LBB169_8
	.section	.rodata,"a",@progbits
	.p2align	6, 0x0
	.amdhsa_kernel _ZN2at6native29vectorized_elementwise_kernelILi8ENS0_11FillFunctorImEESt5arrayIPcLm1EEEEviT0_T1_
		.amdhsa_group_segment_fixed_size 0
		.amdhsa_private_segment_fixed_size 0
		.amdhsa_kernarg_size 24
		.amdhsa_user_sgpr_count 6
		.amdhsa_user_sgpr_private_segment_buffer 1
		.amdhsa_user_sgpr_dispatch_ptr 0
		.amdhsa_user_sgpr_queue_ptr 0
		.amdhsa_user_sgpr_kernarg_segment_ptr 1
		.amdhsa_user_sgpr_dispatch_id 0
		.amdhsa_user_sgpr_flat_scratch_init 0
		.amdhsa_user_sgpr_kernarg_preload_length 0
		.amdhsa_user_sgpr_kernarg_preload_offset 0
		.amdhsa_user_sgpr_private_segment_size 0
		.amdhsa_uses_dynamic_stack 0
		.amdhsa_system_sgpr_private_segment_wavefront_offset 0
		.amdhsa_system_sgpr_workgroup_id_x 1
		.amdhsa_system_sgpr_workgroup_id_y 0
		.amdhsa_system_sgpr_workgroup_id_z 0
		.amdhsa_system_sgpr_workgroup_info 0
		.amdhsa_system_vgpr_workitem_id 0
		.amdhsa_next_free_vgpr 6
		.amdhsa_next_free_sgpr 16
		.amdhsa_accum_offset 8
		.amdhsa_reserve_vcc 1
		.amdhsa_reserve_flat_scratch 0
		.amdhsa_float_round_mode_32 0
		.amdhsa_float_round_mode_16_64 0
		.amdhsa_float_denorm_mode_32 3
		.amdhsa_float_denorm_mode_16_64 3
		.amdhsa_dx10_clamp 1
		.amdhsa_ieee_mode 1
		.amdhsa_fp16_overflow 0
		.amdhsa_tg_split 0
		.amdhsa_exception_fp_ieee_invalid_op 0
		.amdhsa_exception_fp_denorm_src 0
		.amdhsa_exception_fp_ieee_div_zero 0
		.amdhsa_exception_fp_ieee_overflow 0
		.amdhsa_exception_fp_ieee_underflow 0
		.amdhsa_exception_fp_ieee_inexact 0
		.amdhsa_exception_int_div_zero 0
	.end_amdhsa_kernel
	.section	.text._ZN2at6native29vectorized_elementwise_kernelILi8ENS0_11FillFunctorImEESt5arrayIPcLm1EEEEviT0_T1_,"axG",@progbits,_ZN2at6native29vectorized_elementwise_kernelILi8ENS0_11FillFunctorImEESt5arrayIPcLm1EEEEviT0_T1_,comdat
.Lfunc_end169:
	.size	_ZN2at6native29vectorized_elementwise_kernelILi8ENS0_11FillFunctorImEESt5arrayIPcLm1EEEEviT0_T1_, .Lfunc_end169-_ZN2at6native29vectorized_elementwise_kernelILi8ENS0_11FillFunctorImEESt5arrayIPcLm1EEEEviT0_T1_
                                        ; -- End function
	.section	.AMDGPU.csdata,"",@progbits
; Kernel info:
; codeLenInByte = 440
; NumSgprs: 20
; NumVgprs: 6
; NumAgprs: 0
; TotalNumVgprs: 6
; ScratchSize: 0
; MemoryBound: 0
; FloatMode: 240
; IeeeMode: 1
; LDSByteSize: 0 bytes/workgroup (compile time only)
; SGPRBlocks: 2
; VGPRBlocks: 0
; NumSGPRsForWavesPerEU: 20
; NumVGPRsForWavesPerEU: 6
; AccumOffset: 8
; Occupancy: 8
; WaveLimiterHint : 0
; COMPUTE_PGM_RSRC2:SCRATCH_EN: 0
; COMPUTE_PGM_RSRC2:USER_SGPR: 6
; COMPUTE_PGM_RSRC2:TRAP_HANDLER: 0
; COMPUTE_PGM_RSRC2:TGID_X_EN: 1
; COMPUTE_PGM_RSRC2:TGID_Y_EN: 0
; COMPUTE_PGM_RSRC2:TGID_Z_EN: 0
; COMPUTE_PGM_RSRC2:TIDIG_COMP_CNT: 0
; COMPUTE_PGM_RSRC3_GFX90A:ACCUM_OFFSET: 1
; COMPUTE_PGM_RSRC3_GFX90A:TG_SPLIT: 0
	.section	.text._ZN2at6native29vectorized_elementwise_kernelILi4ENS0_11FillFunctorImEESt5arrayIPcLm1EEEEviT0_T1_,"axG",@progbits,_ZN2at6native29vectorized_elementwise_kernelILi4ENS0_11FillFunctorImEESt5arrayIPcLm1EEEEviT0_T1_,comdat
	.protected	_ZN2at6native29vectorized_elementwise_kernelILi4ENS0_11FillFunctorImEESt5arrayIPcLm1EEEEviT0_T1_ ; -- Begin function _ZN2at6native29vectorized_elementwise_kernelILi4ENS0_11FillFunctorImEESt5arrayIPcLm1EEEEviT0_T1_
	.globl	_ZN2at6native29vectorized_elementwise_kernelILi4ENS0_11FillFunctorImEESt5arrayIPcLm1EEEEviT0_T1_
	.p2align	8
	.type	_ZN2at6native29vectorized_elementwise_kernelILi4ENS0_11FillFunctorImEESt5arrayIPcLm1EEEEviT0_T1_,@function
_ZN2at6native29vectorized_elementwise_kernelILi4ENS0_11FillFunctorImEESt5arrayIPcLm1EEEEviT0_T1_: ; @_ZN2at6native29vectorized_elementwise_kernelILi4ENS0_11FillFunctorImEESt5arrayIPcLm1EEEEviT0_T1_
; %bb.0:
	s_load_dword s7, s[4:5], 0x0
	s_load_dwordx4 s[0:3], s[4:5], 0x8
	s_lshl_b32 s4, s6, 10
	s_waitcnt lgkmcnt(0)
	s_sub_i32 s8, s7, s4
	s_cmpk_gt_i32 s8, 0x3ff
	s_mov_b64 s[6:7], -1
	s_cbranch_scc0 .LBB170_2
; %bb.1:
	s_ashr_i32 s5, s4, 31
	s_lshl_b64 s[6:7], s[4:5], 3
	s_mov_b32 s12, s0
	s_mov_b32 s13, s1
	s_add_u32 s6, s2, s6
	s_mov_b32 s14, s0
	s_mov_b32 s15, s1
	v_pk_mov_b32 v[2:3], s[12:13], s[12:13] op_sel:[0,1]
	s_addc_u32 s7, s3, s7
	v_lshlrev_b32_e32 v1, 5, v0
	v_pk_mov_b32 v[4:5], s[14:15], s[14:15] op_sel:[0,1]
	global_store_dwordx4 v1, v[2:5], s[6:7]
	global_store_dwordx4 v1, v[2:5], s[6:7] offset:16
	s_mov_b64 s[6:7], 0
.LBB170_2:
	s_andn2_b64 vcc, exec, s[6:7]
	s_cbranch_vccnz .LBB170_8
; %bb.3:
	v_cmp_gt_i32_e32 vcc, s8, v0
	s_and_saveexec_b64 s[6:7], vcc
	s_cbranch_execnz .LBB170_9
; %bb.4:
	s_or_b64 exec, exec, s[6:7]
	v_cmp_gt_i32_e32 vcc, s8, v0
	s_and_saveexec_b64 s[6:7], vcc
	s_cbranch_execnz .LBB170_10
.LBB170_5:
	s_or_b64 exec, exec, s[6:7]
	v_cmp_gt_i32_e32 vcc, s8, v0
	s_and_saveexec_b64 s[6:7], vcc
	s_cbranch_execnz .LBB170_11
.LBB170_6:
	s_or_b64 exec, exec, s[6:7]
	v_cmp_gt_i32_e32 vcc, s8, v0
	s_and_saveexec_b64 s[6:7], vcc
	s_cbranch_execz .LBB170_8
.LBB170_7:
	v_add_u32_e32 v0, s4, v0
	v_mov_b32_e32 v1, 0
	v_lshlrev_b64 v[0:1], 3, v[0:1]
	v_mov_b32_e32 v4, s3
	v_add_co_u32_e32 v0, vcc, s2, v0
	v_mov_b32_e32 v3, s1
	v_mov_b32_e32 v2, s0
	v_addc_co_u32_e32 v1, vcc, v4, v1, vcc
	global_store_dwordx2 v[0:1], v[2:3], off
.LBB170_8:
	s_endpgm
.LBB170_9:
	v_or_b32_e32 v4, 0x100, v0
	v_or_b32_e32 v0, s4, v0
	v_mov_b32_e32 v1, 0
	v_lshlrev_b64 v[0:1], 3, v[0:1]
	v_mov_b32_e32 v5, s3
	v_add_co_u32_e32 v0, vcc, s2, v0
	v_mov_b32_e32 v3, s1
	v_mov_b32_e32 v2, s0
	v_addc_co_u32_e32 v1, vcc, v5, v1, vcc
	global_store_dwordx2 v[0:1], v[2:3], off
	v_mov_b32_e32 v0, v4
	s_or_b64 exec, exec, s[6:7]
	v_cmp_gt_i32_e32 vcc, s8, v0
	s_and_saveexec_b64 s[6:7], vcc
	s_cbranch_execz .LBB170_5
.LBB170_10:
	v_add_u32_e32 v4, s4, v0
	v_mov_b32_e32 v5, 0
	v_lshlrev_b64 v[4:5], 3, v[4:5]
	v_mov_b32_e32 v1, s3
	v_add_co_u32_e32 v4, vcc, s2, v4
	v_mov_b32_e32 v3, s1
	v_mov_b32_e32 v2, s0
	v_addc_co_u32_e32 v5, vcc, v1, v5, vcc
	v_add_u32_e32 v0, 0x100, v0
	global_store_dwordx2 v[4:5], v[2:3], off
	s_or_b64 exec, exec, s[6:7]
	v_cmp_gt_i32_e32 vcc, s8, v0
	s_and_saveexec_b64 s[6:7], vcc
	s_cbranch_execz .LBB170_6
.LBB170_11:
	v_add_u32_e32 v4, s4, v0
	v_mov_b32_e32 v5, 0
	v_lshlrev_b64 v[4:5], 3, v[4:5]
	v_mov_b32_e32 v1, s3
	v_add_co_u32_e32 v4, vcc, s2, v4
	v_mov_b32_e32 v3, s1
	v_mov_b32_e32 v2, s0
	v_addc_co_u32_e32 v5, vcc, v1, v5, vcc
	v_add_u32_e32 v0, 0x100, v0
	global_store_dwordx2 v[4:5], v[2:3], off
	s_or_b64 exec, exec, s[6:7]
	v_cmp_gt_i32_e32 vcc, s8, v0
	s_and_saveexec_b64 s[6:7], vcc
	s_cbranch_execnz .LBB170_7
	s_branch .LBB170_8
	.section	.rodata,"a",@progbits
	.p2align	6, 0x0
	.amdhsa_kernel _ZN2at6native29vectorized_elementwise_kernelILi4ENS0_11FillFunctorImEESt5arrayIPcLm1EEEEviT0_T1_
		.amdhsa_group_segment_fixed_size 0
		.amdhsa_private_segment_fixed_size 0
		.amdhsa_kernarg_size 24
		.amdhsa_user_sgpr_count 6
		.amdhsa_user_sgpr_private_segment_buffer 1
		.amdhsa_user_sgpr_dispatch_ptr 0
		.amdhsa_user_sgpr_queue_ptr 0
		.amdhsa_user_sgpr_kernarg_segment_ptr 1
		.amdhsa_user_sgpr_dispatch_id 0
		.amdhsa_user_sgpr_flat_scratch_init 0
		.amdhsa_user_sgpr_kernarg_preload_length 0
		.amdhsa_user_sgpr_kernarg_preload_offset 0
		.amdhsa_user_sgpr_private_segment_size 0
		.amdhsa_uses_dynamic_stack 0
		.amdhsa_system_sgpr_private_segment_wavefront_offset 0
		.amdhsa_system_sgpr_workgroup_id_x 1
		.amdhsa_system_sgpr_workgroup_id_y 0
		.amdhsa_system_sgpr_workgroup_id_z 0
		.amdhsa_system_sgpr_workgroup_info 0
		.amdhsa_system_vgpr_workitem_id 0
		.amdhsa_next_free_vgpr 6
		.amdhsa_next_free_sgpr 16
		.amdhsa_accum_offset 8
		.amdhsa_reserve_vcc 1
		.amdhsa_reserve_flat_scratch 0
		.amdhsa_float_round_mode_32 0
		.amdhsa_float_round_mode_16_64 0
		.amdhsa_float_denorm_mode_32 3
		.amdhsa_float_denorm_mode_16_64 3
		.amdhsa_dx10_clamp 1
		.amdhsa_ieee_mode 1
		.amdhsa_fp16_overflow 0
		.amdhsa_tg_split 0
		.amdhsa_exception_fp_ieee_invalid_op 0
		.amdhsa_exception_fp_denorm_src 0
		.amdhsa_exception_fp_ieee_div_zero 0
		.amdhsa_exception_fp_ieee_overflow 0
		.amdhsa_exception_fp_ieee_underflow 0
		.amdhsa_exception_fp_ieee_inexact 0
		.amdhsa_exception_int_div_zero 0
	.end_amdhsa_kernel
	.section	.text._ZN2at6native29vectorized_elementwise_kernelILi4ENS0_11FillFunctorImEESt5arrayIPcLm1EEEEviT0_T1_,"axG",@progbits,_ZN2at6native29vectorized_elementwise_kernelILi4ENS0_11FillFunctorImEESt5arrayIPcLm1EEEEviT0_T1_,comdat
.Lfunc_end170:
	.size	_ZN2at6native29vectorized_elementwise_kernelILi4ENS0_11FillFunctorImEESt5arrayIPcLm1EEEEviT0_T1_, .Lfunc_end170-_ZN2at6native29vectorized_elementwise_kernelILi4ENS0_11FillFunctorImEESt5arrayIPcLm1EEEEviT0_T1_
                                        ; -- End function
	.section	.AMDGPU.csdata,"",@progbits
; Kernel info:
; codeLenInByte = 440
; NumSgprs: 20
; NumVgprs: 6
; NumAgprs: 0
; TotalNumVgprs: 6
; ScratchSize: 0
; MemoryBound: 0
; FloatMode: 240
; IeeeMode: 1
; LDSByteSize: 0 bytes/workgroup (compile time only)
; SGPRBlocks: 2
; VGPRBlocks: 0
; NumSGPRsForWavesPerEU: 20
; NumVGPRsForWavesPerEU: 6
; AccumOffset: 8
; Occupancy: 8
; WaveLimiterHint : 0
; COMPUTE_PGM_RSRC2:SCRATCH_EN: 0
; COMPUTE_PGM_RSRC2:USER_SGPR: 6
; COMPUTE_PGM_RSRC2:TRAP_HANDLER: 0
; COMPUTE_PGM_RSRC2:TGID_X_EN: 1
; COMPUTE_PGM_RSRC2:TGID_Y_EN: 0
; COMPUTE_PGM_RSRC2:TGID_Z_EN: 0
; COMPUTE_PGM_RSRC2:TIDIG_COMP_CNT: 0
; COMPUTE_PGM_RSRC3_GFX90A:ACCUM_OFFSET: 1
; COMPUTE_PGM_RSRC3_GFX90A:TG_SPLIT: 0
	.section	.text._ZN2at6native29vectorized_elementwise_kernelILi2ENS0_11FillFunctorImEESt5arrayIPcLm1EEEEviT0_T1_,"axG",@progbits,_ZN2at6native29vectorized_elementwise_kernelILi2ENS0_11FillFunctorImEESt5arrayIPcLm1EEEEviT0_T1_,comdat
	.protected	_ZN2at6native29vectorized_elementwise_kernelILi2ENS0_11FillFunctorImEESt5arrayIPcLm1EEEEviT0_T1_ ; -- Begin function _ZN2at6native29vectorized_elementwise_kernelILi2ENS0_11FillFunctorImEESt5arrayIPcLm1EEEEviT0_T1_
	.globl	_ZN2at6native29vectorized_elementwise_kernelILi2ENS0_11FillFunctorImEESt5arrayIPcLm1EEEEviT0_T1_
	.p2align	8
	.type	_ZN2at6native29vectorized_elementwise_kernelILi2ENS0_11FillFunctorImEESt5arrayIPcLm1EEEEviT0_T1_,@function
_ZN2at6native29vectorized_elementwise_kernelILi2ENS0_11FillFunctorImEESt5arrayIPcLm1EEEEviT0_T1_: ; @_ZN2at6native29vectorized_elementwise_kernelILi2ENS0_11FillFunctorImEESt5arrayIPcLm1EEEEviT0_T1_
; %bb.0:
	s_load_dword s7, s[4:5], 0x0
	s_load_dwordx4 s[0:3], s[4:5], 0x8
	s_lshl_b32 s4, s6, 10
	s_waitcnt lgkmcnt(0)
	s_sub_i32 s8, s7, s4
	s_cmpk_gt_i32 s8, 0x3ff
	s_mov_b64 s[6:7], -1
	s_cbranch_scc0 .LBB171_2
; %bb.1:
	s_ashr_i32 s5, s4, 31
	s_lshl_b64 s[6:7], s[4:5], 3
	s_add_u32 s6, s2, s6
	s_addc_u32 s7, s3, s7
	v_lshlrev_b32_e32 v1, 4, v0
	v_mov_b32_e32 v2, s7
	v_add_co_u32_e32 v6, vcc, s6, v1
	v_addc_co_u32_e32 v7, vcc, 0, v2, vcc
	s_mov_b32 s12, s0
	s_mov_b32 s13, s1
	;; [unrolled: 1-line block ×4, first 2 shown]
	v_pk_mov_b32 v[2:3], s[12:13], s[12:13] op_sel:[0,1]
	v_add_co_u32_e32 v6, vcc, 0x1000, v6
	v_pk_mov_b32 v[4:5], s[14:15], s[14:15] op_sel:[0,1]
	v_addc_co_u32_e32 v7, vcc, 0, v7, vcc
	global_store_dwordx4 v1, v[2:5], s[6:7]
	global_store_dwordx4 v[6:7], v[2:5], off
	s_mov_b64 s[6:7], 0
.LBB171_2:
	s_andn2_b64 vcc, exec, s[6:7]
	s_cbranch_vccnz .LBB171_8
; %bb.3:
	v_cmp_gt_i32_e32 vcc, s8, v0
	s_and_saveexec_b64 s[6:7], vcc
	s_cbranch_execnz .LBB171_9
; %bb.4:
	s_or_b64 exec, exec, s[6:7]
	v_cmp_gt_i32_e32 vcc, s8, v0
	s_and_saveexec_b64 s[6:7], vcc
	s_cbranch_execnz .LBB171_10
.LBB171_5:
	s_or_b64 exec, exec, s[6:7]
	v_cmp_gt_i32_e32 vcc, s8, v0
	s_and_saveexec_b64 s[6:7], vcc
	s_cbranch_execnz .LBB171_11
.LBB171_6:
	s_or_b64 exec, exec, s[6:7]
	v_cmp_gt_i32_e32 vcc, s8, v0
	s_and_saveexec_b64 s[6:7], vcc
	s_cbranch_execz .LBB171_8
.LBB171_7:
	v_add_u32_e32 v0, s4, v0
	v_mov_b32_e32 v1, 0
	v_lshlrev_b64 v[0:1], 3, v[0:1]
	v_mov_b32_e32 v4, s3
	v_add_co_u32_e32 v0, vcc, s2, v0
	v_mov_b32_e32 v3, s1
	v_mov_b32_e32 v2, s0
	v_addc_co_u32_e32 v1, vcc, v4, v1, vcc
	global_store_dwordx2 v[0:1], v[2:3], off
.LBB171_8:
	s_endpgm
.LBB171_9:
	v_or_b32_e32 v4, 0x100, v0
	v_or_b32_e32 v0, s4, v0
	v_mov_b32_e32 v1, 0
	v_lshlrev_b64 v[0:1], 3, v[0:1]
	v_mov_b32_e32 v5, s3
	v_add_co_u32_e32 v0, vcc, s2, v0
	v_mov_b32_e32 v3, s1
	v_mov_b32_e32 v2, s0
	v_addc_co_u32_e32 v1, vcc, v5, v1, vcc
	global_store_dwordx2 v[0:1], v[2:3], off
	v_mov_b32_e32 v0, v4
	s_or_b64 exec, exec, s[6:7]
	v_cmp_gt_i32_e32 vcc, s8, v0
	s_and_saveexec_b64 s[6:7], vcc
	s_cbranch_execz .LBB171_5
.LBB171_10:
	v_add_u32_e32 v4, s4, v0
	v_mov_b32_e32 v5, 0
	v_lshlrev_b64 v[4:5], 3, v[4:5]
	v_mov_b32_e32 v1, s3
	v_add_co_u32_e32 v4, vcc, s2, v4
	v_mov_b32_e32 v3, s1
	v_mov_b32_e32 v2, s0
	v_addc_co_u32_e32 v5, vcc, v1, v5, vcc
	v_add_u32_e32 v0, 0x100, v0
	global_store_dwordx2 v[4:5], v[2:3], off
	s_or_b64 exec, exec, s[6:7]
	v_cmp_gt_i32_e32 vcc, s8, v0
	s_and_saveexec_b64 s[6:7], vcc
	s_cbranch_execz .LBB171_6
.LBB171_11:
	v_add_u32_e32 v4, s4, v0
	v_mov_b32_e32 v5, 0
	v_lshlrev_b64 v[4:5], 3, v[4:5]
	v_mov_b32_e32 v1, s3
	v_add_co_u32_e32 v4, vcc, s2, v4
	v_mov_b32_e32 v3, s1
	v_mov_b32_e32 v2, s0
	v_addc_co_u32_e32 v5, vcc, v1, v5, vcc
	v_add_u32_e32 v0, 0x100, v0
	global_store_dwordx2 v[4:5], v[2:3], off
	s_or_b64 exec, exec, s[6:7]
	v_cmp_gt_i32_e32 vcc, s8, v0
	s_and_saveexec_b64 s[6:7], vcc
	s_cbranch_execnz .LBB171_7
	s_branch .LBB171_8
	.section	.rodata,"a",@progbits
	.p2align	6, 0x0
	.amdhsa_kernel _ZN2at6native29vectorized_elementwise_kernelILi2ENS0_11FillFunctorImEESt5arrayIPcLm1EEEEviT0_T1_
		.amdhsa_group_segment_fixed_size 0
		.amdhsa_private_segment_fixed_size 0
		.amdhsa_kernarg_size 24
		.amdhsa_user_sgpr_count 6
		.amdhsa_user_sgpr_private_segment_buffer 1
		.amdhsa_user_sgpr_dispatch_ptr 0
		.amdhsa_user_sgpr_queue_ptr 0
		.amdhsa_user_sgpr_kernarg_segment_ptr 1
		.amdhsa_user_sgpr_dispatch_id 0
		.amdhsa_user_sgpr_flat_scratch_init 0
		.amdhsa_user_sgpr_kernarg_preload_length 0
		.amdhsa_user_sgpr_kernarg_preload_offset 0
		.amdhsa_user_sgpr_private_segment_size 0
		.amdhsa_uses_dynamic_stack 0
		.amdhsa_system_sgpr_private_segment_wavefront_offset 0
		.amdhsa_system_sgpr_workgroup_id_x 1
		.amdhsa_system_sgpr_workgroup_id_y 0
		.amdhsa_system_sgpr_workgroup_id_z 0
		.amdhsa_system_sgpr_workgroup_info 0
		.amdhsa_system_vgpr_workitem_id 0
		.amdhsa_next_free_vgpr 8
		.amdhsa_next_free_sgpr 16
		.amdhsa_accum_offset 8
		.amdhsa_reserve_vcc 1
		.amdhsa_reserve_flat_scratch 0
		.amdhsa_float_round_mode_32 0
		.amdhsa_float_round_mode_16_64 0
		.amdhsa_float_denorm_mode_32 3
		.amdhsa_float_denorm_mode_16_64 3
		.amdhsa_dx10_clamp 1
		.amdhsa_ieee_mode 1
		.amdhsa_fp16_overflow 0
		.amdhsa_tg_split 0
		.amdhsa_exception_fp_ieee_invalid_op 0
		.amdhsa_exception_fp_denorm_src 0
		.amdhsa_exception_fp_ieee_div_zero 0
		.amdhsa_exception_fp_ieee_overflow 0
		.amdhsa_exception_fp_ieee_underflow 0
		.amdhsa_exception_fp_ieee_inexact 0
		.amdhsa_exception_int_div_zero 0
	.end_amdhsa_kernel
	.section	.text._ZN2at6native29vectorized_elementwise_kernelILi2ENS0_11FillFunctorImEESt5arrayIPcLm1EEEEviT0_T1_,"axG",@progbits,_ZN2at6native29vectorized_elementwise_kernelILi2ENS0_11FillFunctorImEESt5arrayIPcLm1EEEEviT0_T1_,comdat
.Lfunc_end171:
	.size	_ZN2at6native29vectorized_elementwise_kernelILi2ENS0_11FillFunctorImEESt5arrayIPcLm1EEEEviT0_T1_, .Lfunc_end171-_ZN2at6native29vectorized_elementwise_kernelILi2ENS0_11FillFunctorImEESt5arrayIPcLm1EEEEviT0_T1_
                                        ; -- End function
	.section	.AMDGPU.csdata,"",@progbits
; Kernel info:
; codeLenInByte = 464
; NumSgprs: 20
; NumVgprs: 8
; NumAgprs: 0
; TotalNumVgprs: 8
; ScratchSize: 0
; MemoryBound: 0
; FloatMode: 240
; IeeeMode: 1
; LDSByteSize: 0 bytes/workgroup (compile time only)
; SGPRBlocks: 2
; VGPRBlocks: 0
; NumSGPRsForWavesPerEU: 20
; NumVGPRsForWavesPerEU: 8
; AccumOffset: 8
; Occupancy: 8
; WaveLimiterHint : 1
; COMPUTE_PGM_RSRC2:SCRATCH_EN: 0
; COMPUTE_PGM_RSRC2:USER_SGPR: 6
; COMPUTE_PGM_RSRC2:TRAP_HANDLER: 0
; COMPUTE_PGM_RSRC2:TGID_X_EN: 1
; COMPUTE_PGM_RSRC2:TGID_Y_EN: 0
; COMPUTE_PGM_RSRC2:TGID_Z_EN: 0
; COMPUTE_PGM_RSRC2:TIDIG_COMP_CNT: 0
; COMPUTE_PGM_RSRC3_GFX90A:ACCUM_OFFSET: 1
; COMPUTE_PGM_RSRC3_GFX90A:TG_SPLIT: 0
	.section	.text._ZN2at6native27unrolled_elementwise_kernelINS0_11FillFunctorImEESt5arrayIPcLm1EELi4E23TrivialOffsetCalculatorILi0EjES7_ILi1EjENS0_6memory15LoadWithoutCastENSA_16StoreWithoutCastEEEviT_T0_T2_T3_T4_T5_,"axG",@progbits,_ZN2at6native27unrolled_elementwise_kernelINS0_11FillFunctorImEESt5arrayIPcLm1EELi4E23TrivialOffsetCalculatorILi0EjES7_ILi1EjENS0_6memory15LoadWithoutCastENSA_16StoreWithoutCastEEEviT_T0_T2_T3_T4_T5_,comdat
	.protected	_ZN2at6native27unrolled_elementwise_kernelINS0_11FillFunctorImEESt5arrayIPcLm1EELi4E23TrivialOffsetCalculatorILi0EjES7_ILi1EjENS0_6memory15LoadWithoutCastENSA_16StoreWithoutCastEEEviT_T0_T2_T3_T4_T5_ ; -- Begin function _ZN2at6native27unrolled_elementwise_kernelINS0_11FillFunctorImEESt5arrayIPcLm1EELi4E23TrivialOffsetCalculatorILi0EjES7_ILi1EjENS0_6memory15LoadWithoutCastENSA_16StoreWithoutCastEEEviT_T0_T2_T3_T4_T5_
	.globl	_ZN2at6native27unrolled_elementwise_kernelINS0_11FillFunctorImEESt5arrayIPcLm1EELi4E23TrivialOffsetCalculatorILi0EjES7_ILi1EjENS0_6memory15LoadWithoutCastENSA_16StoreWithoutCastEEEviT_T0_T2_T3_T4_T5_
	.p2align	8
	.type	_ZN2at6native27unrolled_elementwise_kernelINS0_11FillFunctorImEESt5arrayIPcLm1EELi4E23TrivialOffsetCalculatorILi0EjES7_ILi1EjENS0_6memory15LoadWithoutCastENSA_16StoreWithoutCastEEEviT_T0_T2_T3_T4_T5_,@function
_ZN2at6native27unrolled_elementwise_kernelINS0_11FillFunctorImEESt5arrayIPcLm1EELi4E23TrivialOffsetCalculatorILi0EjES7_ILi1EjENS0_6memory15LoadWithoutCastENSA_16StoreWithoutCastEEEviT_T0_T2_T3_T4_T5_: ; @_ZN2at6native27unrolled_elementwise_kernelINS0_11FillFunctorImEESt5arrayIPcLm1EELi4E23TrivialOffsetCalculatorILi0EjES7_ILi1EjENS0_6memory15LoadWithoutCastENSA_16StoreWithoutCastEEEviT_T0_T2_T3_T4_T5_
; %bb.0:
	s_load_dword s0, s[4:5], 0x0
	s_load_dwordx4 s[8:11], s[4:5], 0x8
	s_lshl_b32 s2, s6, 10
	v_or_b32_e32 v1, 0x100, v0
	s_waitcnt lgkmcnt(0)
	s_sub_i32 s3, s0, s2
	v_mov_b32_e32 v2, s11
	v_mov_b32_e32 v3, s9
	v_cmp_gt_i32_e64 s[0:1], s3, v1
	v_cndmask_b32_e64 v3, v2, v3, s[0:1]
	v_mov_b32_e32 v2, s10
	v_mov_b32_e32 v4, s8
	v_cmp_gt_i32_e32 vcc, s3, v0
	v_cndmask_b32_e64 v2, v2, v4, s[0:1]
	s_and_saveexec_b64 s[0:1], vcc
	s_cbranch_execnz .LBB172_5
; %bb.1:
	s_or_b64 exec, exec, s[0:1]
	v_cmp_gt_i32_e32 vcc, s3, v0
	s_and_saveexec_b64 s[0:1], vcc
	s_cbranch_execnz .LBB172_6
.LBB172_2:
	s_or_b64 exec, exec, s[0:1]
	v_cmp_gt_i32_e32 vcc, s3, v0
	s_and_saveexec_b64 s[0:1], vcc
	s_cbranch_execnz .LBB172_7
.LBB172_3:
	s_or_b64 exec, exec, s[0:1]
	v_cmp_gt_i32_e32 vcc, s3, v0
	s_and_saveexec_b64 s[0:1], vcc
	s_cbranch_execnz .LBB172_8
.LBB172_4:
	s_endpgm
.LBB172_5:
	v_or_b32_e32 v4, s2, v0
	v_mov_b32_e32 v5, 0
	v_lshlrev_b64 v[4:5], 3, v[4:5]
	v_mov_b32_e32 v0, s11
	v_add_co_u32_e32 v4, vcc, s10, v4
	v_addc_co_u32_e32 v5, vcc, v0, v5, vcc
	v_mov_b32_e32 v7, s9
	v_mov_b32_e32 v6, s8
	v_mov_b32_e32 v0, v1
	global_store_dwordx2 v[4:5], v[6:7], off
	s_or_b64 exec, exec, s[0:1]
	v_cmp_gt_i32_e32 vcc, s3, v0
	s_and_saveexec_b64 s[0:1], vcc
	s_cbranch_execz .LBB172_2
.LBB172_6:
	v_add_u32_e32 v4, 0x100, v0
	v_add_u32_e32 v0, s2, v0
	v_mov_b32_e32 v1, 0
	v_lshlrev_b64 v[0:1], 3, v[0:1]
	v_mov_b32_e32 v5, s11
	v_add_co_u32_e32 v0, vcc, s10, v0
	v_addc_co_u32_e32 v1, vcc, v5, v1, vcc
	global_store_dwordx2 v[0:1], v[2:3], off
	v_mov_b32_e32 v0, v4
	s_or_b64 exec, exec, s[0:1]
	v_cmp_gt_i32_e32 vcc, s3, v0
	s_and_saveexec_b64 s[0:1], vcc
	s_cbranch_execz .LBB172_3
.LBB172_7:
	v_add_u32_e32 v4, 0x100, v0
	v_add_u32_e32 v0, s2, v0
	v_mov_b32_e32 v1, 0
	v_lshlrev_b64 v[0:1], 3, v[0:1]
	v_mov_b32_e32 v2, s11
	v_add_co_u32_e32 v0, vcc, s10, v0
	v_addc_co_u32_e32 v1, vcc, v2, v1, vcc
	v_mov_b32_e32 v3, s9
	v_mov_b32_e32 v2, s8
	global_store_dwordx2 v[0:1], v[2:3], off
	v_mov_b32_e32 v0, v4
	s_or_b64 exec, exec, s[0:1]
	v_cmp_gt_i32_e32 vcc, s3, v0
	s_and_saveexec_b64 s[0:1], vcc
	s_cbranch_execz .LBB172_4
.LBB172_8:
	v_add_u32_e32 v0, s2, v0
	v_mov_b32_e32 v1, 0
	v_lshlrev_b64 v[0:1], 3, v[0:1]
	v_mov_b32_e32 v2, s11
	v_add_co_u32_e32 v0, vcc, s10, v0
	v_addc_co_u32_e32 v1, vcc, v2, v1, vcc
	v_mov_b32_e32 v3, s9
	v_mov_b32_e32 v2, s8
	global_store_dwordx2 v[0:1], v[2:3], off
	s_endpgm
	.section	.rodata,"a",@progbits
	.p2align	6, 0x0
	.amdhsa_kernel _ZN2at6native27unrolled_elementwise_kernelINS0_11FillFunctorImEESt5arrayIPcLm1EELi4E23TrivialOffsetCalculatorILi0EjES7_ILi1EjENS0_6memory15LoadWithoutCastENSA_16StoreWithoutCastEEEviT_T0_T2_T3_T4_T5_
		.amdhsa_group_segment_fixed_size 0
		.amdhsa_private_segment_fixed_size 0
		.amdhsa_kernarg_size 28
		.amdhsa_user_sgpr_count 6
		.amdhsa_user_sgpr_private_segment_buffer 1
		.amdhsa_user_sgpr_dispatch_ptr 0
		.amdhsa_user_sgpr_queue_ptr 0
		.amdhsa_user_sgpr_kernarg_segment_ptr 1
		.amdhsa_user_sgpr_dispatch_id 0
		.amdhsa_user_sgpr_flat_scratch_init 0
		.amdhsa_user_sgpr_kernarg_preload_length 0
		.amdhsa_user_sgpr_kernarg_preload_offset 0
		.amdhsa_user_sgpr_private_segment_size 0
		.amdhsa_uses_dynamic_stack 0
		.amdhsa_system_sgpr_private_segment_wavefront_offset 0
		.amdhsa_system_sgpr_workgroup_id_x 1
		.amdhsa_system_sgpr_workgroup_id_y 0
		.amdhsa_system_sgpr_workgroup_id_z 0
		.amdhsa_system_sgpr_workgroup_info 0
		.amdhsa_system_vgpr_workitem_id 0
		.amdhsa_next_free_vgpr 8
		.amdhsa_next_free_sgpr 12
		.amdhsa_accum_offset 8
		.amdhsa_reserve_vcc 1
		.amdhsa_reserve_flat_scratch 0
		.amdhsa_float_round_mode_32 0
		.amdhsa_float_round_mode_16_64 0
		.amdhsa_float_denorm_mode_32 3
		.amdhsa_float_denorm_mode_16_64 3
		.amdhsa_dx10_clamp 1
		.amdhsa_ieee_mode 1
		.amdhsa_fp16_overflow 0
		.amdhsa_tg_split 0
		.amdhsa_exception_fp_ieee_invalid_op 0
		.amdhsa_exception_fp_denorm_src 0
		.amdhsa_exception_fp_ieee_div_zero 0
		.amdhsa_exception_fp_ieee_overflow 0
		.amdhsa_exception_fp_ieee_underflow 0
		.amdhsa_exception_fp_ieee_inexact 0
		.amdhsa_exception_int_div_zero 0
	.end_amdhsa_kernel
	.section	.text._ZN2at6native27unrolled_elementwise_kernelINS0_11FillFunctorImEESt5arrayIPcLm1EELi4E23TrivialOffsetCalculatorILi0EjES7_ILi1EjENS0_6memory15LoadWithoutCastENSA_16StoreWithoutCastEEEviT_T0_T2_T3_T4_T5_,"axG",@progbits,_ZN2at6native27unrolled_elementwise_kernelINS0_11FillFunctorImEESt5arrayIPcLm1EELi4E23TrivialOffsetCalculatorILi0EjES7_ILi1EjENS0_6memory15LoadWithoutCastENSA_16StoreWithoutCastEEEviT_T0_T2_T3_T4_T5_,comdat
.Lfunc_end172:
	.size	_ZN2at6native27unrolled_elementwise_kernelINS0_11FillFunctorImEESt5arrayIPcLm1EELi4E23TrivialOffsetCalculatorILi0EjES7_ILi1EjENS0_6memory15LoadWithoutCastENSA_16StoreWithoutCastEEEviT_T0_T2_T3_T4_T5_, .Lfunc_end172-_ZN2at6native27unrolled_elementwise_kernelINS0_11FillFunctorImEESt5arrayIPcLm1EELi4E23TrivialOffsetCalculatorILi0EjES7_ILi1EjENS0_6memory15LoadWithoutCastENSA_16StoreWithoutCastEEEviT_T0_T2_T3_T4_T5_
                                        ; -- End function
	.section	.AMDGPU.csdata,"",@progbits
; Kernel info:
; codeLenInByte = 388
; NumSgprs: 16
; NumVgprs: 8
; NumAgprs: 0
; TotalNumVgprs: 8
; ScratchSize: 0
; MemoryBound: 0
; FloatMode: 240
; IeeeMode: 1
; LDSByteSize: 0 bytes/workgroup (compile time only)
; SGPRBlocks: 1
; VGPRBlocks: 0
; NumSGPRsForWavesPerEU: 16
; NumVGPRsForWavesPerEU: 8
; AccumOffset: 8
; Occupancy: 8
; WaveLimiterHint : 0
; COMPUTE_PGM_RSRC2:SCRATCH_EN: 0
; COMPUTE_PGM_RSRC2:USER_SGPR: 6
; COMPUTE_PGM_RSRC2:TRAP_HANDLER: 0
; COMPUTE_PGM_RSRC2:TGID_X_EN: 1
; COMPUTE_PGM_RSRC2:TGID_Y_EN: 0
; COMPUTE_PGM_RSRC2:TGID_Z_EN: 0
; COMPUTE_PGM_RSRC2:TIDIG_COMP_CNT: 0
; COMPUTE_PGM_RSRC3_GFX90A:ACCUM_OFFSET: 1
; COMPUTE_PGM_RSRC3_GFX90A:TG_SPLIT: 0
	.section	.text._ZN2at6native32elementwise_kernel_manual_unrollILi128ELi4EZNS0_22gpu_kernel_impl_nocastINS0_11FillFunctorImEEEEvRNS_18TensorIteratorBaseERKT_EUlibE_EEviT1_,"axG",@progbits,_ZN2at6native32elementwise_kernel_manual_unrollILi128ELi4EZNS0_22gpu_kernel_impl_nocastINS0_11FillFunctorImEEEEvRNS_18TensorIteratorBaseERKT_EUlibE_EEviT1_,comdat
	.protected	_ZN2at6native32elementwise_kernel_manual_unrollILi128ELi4EZNS0_22gpu_kernel_impl_nocastINS0_11FillFunctorImEEEEvRNS_18TensorIteratorBaseERKT_EUlibE_EEviT1_ ; -- Begin function _ZN2at6native32elementwise_kernel_manual_unrollILi128ELi4EZNS0_22gpu_kernel_impl_nocastINS0_11FillFunctorImEEEEvRNS_18TensorIteratorBaseERKT_EUlibE_EEviT1_
	.globl	_ZN2at6native32elementwise_kernel_manual_unrollILi128ELi4EZNS0_22gpu_kernel_impl_nocastINS0_11FillFunctorImEEEEvRNS_18TensorIteratorBaseERKT_EUlibE_EEviT1_
	.p2align	8
	.type	_ZN2at6native32elementwise_kernel_manual_unrollILi128ELi4EZNS0_22gpu_kernel_impl_nocastINS0_11FillFunctorImEEEEvRNS_18TensorIteratorBaseERKT_EUlibE_EEviT1_,@function
_ZN2at6native32elementwise_kernel_manual_unrollILi128ELi4EZNS0_22gpu_kernel_impl_nocastINS0_11FillFunctorImEEEEvRNS_18TensorIteratorBaseERKT_EUlibE_EEviT1_: ; @_ZN2at6native32elementwise_kernel_manual_unrollILi128ELi4EZNS0_22gpu_kernel_impl_nocastINS0_11FillFunctorImEEEEvRNS_18TensorIteratorBaseERKT_EUlibE_EEviT1_
; %bb.0:
	s_load_dword s49, s[4:5], 0x0
	s_load_dword s33, s[4:5], 0x8
	s_or_b32 s4, s4, 8
	v_lshl_or_b32 v4, s6, 9, v0
	v_or_b32_e32 v8, 0x180, v4
	s_waitcnt lgkmcnt(0)
	v_cmp_le_i32_e32 vcc, s49, v8
	s_add_i32 s48, s33, -1
	s_cmp_gt_u32 s48, 1
	s_cselect_b64 s[6:7], -1, 0
	s_and_saveexec_b64 s[0:1], vcc
	s_xor_b64 s[28:29], exec, s[0:1]
	s_cbranch_execz .LBB173_7
; %bb.1:
	s_load_dwordx4 s[16:19], s[4:5], 0x4
	s_load_dwordx2 s[34:35], s[4:5], 0x14
	s_load_dwordx2 s[30:31], s[4:5], 0xc4
	s_load_dwordx4 s[0:3], s[4:5], 0x108
	s_cmp_lg_u32 s33, 0
	s_cselect_b64 s[40:41], -1, 0
	s_add_u32 s38, s4, 0xc4
	s_addc_u32 s39, s5, 0
	s_min_u32 s50, s48, 15
	s_cmp_gt_u32 s33, 1
	s_cselect_b64 s[36:37], -1, 0
	v_cmp_gt_i32_e32 vcc, s49, v4
	s_and_saveexec_b64 s[42:43], vcc
	s_cbranch_execz .LBB173_14
; %bb.2:
	s_andn2_b64 vcc, exec, s[6:7]
	s_cbranch_vccnz .LBB173_21
; %bb.3:
	s_andn2_b64 vcc, exec, s[40:41]
	s_cbranch_vccnz .LBB173_69
; %bb.4:
	s_add_i32 s52, s50, 1
	s_mov_b32 s51, 0
	s_cmp_eq_u32 s48, 2
	v_mov_b32_e32 v0, 0
	s_cbranch_scc1 .LBB173_71
; %bb.5:
	s_and_b32 s51, s52, 28
	s_mov_b32 s53, 0
	v_mov_b32_e32 v0, 0
	s_mov_b64 s[44:45], s[4:5]
	s_mov_b64 s[46:47], s[38:39]
	v_mov_b32_e32 v2, v4
.LBB173_6:                              ; =>This Inner Loop Header: Depth=1
	s_load_dwordx8 s[8:15], s[44:45], 0x4
	s_load_dwordx4 s[20:23], s[44:45], 0x24
	s_load_dwordx4 s[24:27], s[46:47], 0x0
	s_add_u32 s44, s44, 48
	s_addc_u32 s45, s45, 0
	s_waitcnt lgkmcnt(0)
	v_mul_hi_u32 v1, s9, v2
	v_add_u32_e32 v1, v2, v1
	v_lshrrev_b32_e32 v1, s10, v1
	v_mul_lo_u32 v3, v1, s8
	v_mul_hi_u32 v5, s12, v1
	v_sub_u32_e32 v2, v2, v3
	v_add_u32_e32 v3, v1, v5
	v_lshrrev_b32_e32 v3, s13, v3
	v_mul_lo_u32 v5, v3, s11
	v_mul_hi_u32 v6, s15, v3
	v_sub_u32_e32 v1, v1, v5
	v_add_u32_e32 v5, v3, v6
	v_mul_lo_u32 v2, v2, s24
	v_mul_lo_u32 v1, v1, s25
	v_lshrrev_b32_e32 v5, s20, v5
	v_add3_u32 v0, v2, v0, v1
	v_mul_hi_u32 v2, s22, v5
	v_add_u32_e32 v2, v5, v2
	v_mul_lo_u32 v1, v5, s14
	v_lshrrev_b32_e32 v2, s23, v2
	s_add_i32 s53, s53, 4
	v_sub_u32_e32 v1, v3, v1
	v_mul_lo_u32 v3, v2, s21
	s_add_u32 s46, s46, 16
	v_sub_u32_e32 v3, v5, v3
	s_addc_u32 s47, s47, 0
	v_mul_lo_u32 v1, v1, s26
	v_mul_lo_u32 v3, v3, s27
	s_cmp_lg_u32 s51, s53
	v_add3_u32 v0, v1, v0, v3
	s_cbranch_scc1 .LBB173_6
	s_branch .LBB173_72
.LBB173_7:
	s_andn2_saveexec_b64 s[0:1], s[28:29]
	s_cbranch_execz .LBB173_97
.LBB173_8:
	v_cndmask_b32_e64 v0, 0, 1, s[6:7]
	v_cmp_ne_u32_e64 s[0:1], 1, v0
	s_andn2_b64 vcc, exec, s[6:7]
	s_cbranch_vccnz .LBB173_20
; %bb.9:
	s_mov_b32 s24, 0
	s_cmp_eq_u32 s33, 0
	v_mov_b32_e32 v0, 0
	s_cbranch_scc1 .LBB173_26
; %bb.10:
	s_min_u32 s25, s48, 15
	s_add_i32 s25, s25, 1
	s_cmp_eq_u32 s48, 2
	v_mov_b32_e32 v0, 0
	s_cbranch_scc1 .LBB173_23
; %bb.11:
	s_add_u32 s2, s4, 0xc4
	s_addc_u32 s3, s5, 0
	s_and_b32 s24, s25, 28
	s_mov_b32 s26, 0
	v_mov_b32_e32 v0, 0
	s_mov_b64 s[6:7], s[4:5]
	v_mov_b32_e32 v2, v4
.LBB173_12:                             ; =>This Inner Loop Header: Depth=1
	s_load_dwordx8 s[8:15], s[6:7], 0x4
	s_load_dwordx4 s[16:19], s[6:7], 0x24
	s_load_dwordx4 s[20:23], s[2:3], 0x0
	s_add_u32 s6, s6, 48
	s_addc_u32 s7, s7, 0
	s_waitcnt lgkmcnt(0)
	v_mul_hi_u32 v1, s9, v2
	v_add_u32_e32 v1, v2, v1
	v_lshrrev_b32_e32 v1, s10, v1
	v_mul_lo_u32 v3, v1, s8
	v_mul_hi_u32 v5, s12, v1
	v_sub_u32_e32 v2, v2, v3
	v_add_u32_e32 v3, v1, v5
	v_lshrrev_b32_e32 v3, s13, v3
	v_mul_lo_u32 v5, v3, s11
	v_mul_hi_u32 v6, s15, v3
	v_sub_u32_e32 v1, v1, v5
	v_add_u32_e32 v5, v3, v6
	v_mul_lo_u32 v2, v2, s20
	v_mul_lo_u32 v1, v1, s21
	v_lshrrev_b32_e32 v5, s16, v5
	v_add3_u32 v0, v2, v0, v1
	v_mul_hi_u32 v2, s18, v5
	v_add_u32_e32 v2, v5, v2
	v_mul_lo_u32 v1, v5, s14
	v_lshrrev_b32_e32 v2, s19, v2
	s_add_i32 s26, s26, 4
	v_sub_u32_e32 v1, v3, v1
	v_mul_lo_u32 v3, v2, s17
	s_add_u32 s2, s2, 16
	v_sub_u32_e32 v3, v5, v3
	s_addc_u32 s3, s3, 0
	v_mul_lo_u32 v1, v1, s22
	v_mul_lo_u32 v3, v3, s23
	s_cmp_lg_u32 s24, s26
	v_add3_u32 v0, v1, v0, v3
	s_cbranch_scc1 .LBB173_12
; %bb.13:
	s_and_b32 s8, s25, 3
	s_cmp_eq_u32 s8, 0
	s_cbranch_scc0 .LBB173_24
	s_branch .LBB173_26
.LBB173_14:
	s_or_b64 exec, exec, s[42:43]
	v_cmp_gt_i32_e32 vcc, s49, v4
	s_and_saveexec_b64 s[42:43], vcc
	s_cbranch_execz .LBB173_79
.LBB173_15:
	s_andn2_b64 vcc, exec, s[6:7]
	s_cbranch_vccnz .LBB173_22
; %bb.16:
	s_andn2_b64 vcc, exec, s[40:41]
	s_cbranch_vccnz .LBB173_70
; %bb.17:
	s_add_i32 s52, s50, 1
	s_mov_b32 s51, 0
	s_cmp_eq_u32 s48, 2
	v_mov_b32_e32 v0, 0
	s_cbranch_scc1 .LBB173_87
; %bb.18:
	s_and_b32 s51, s52, 28
	s_mov_b32 s53, 0
	v_mov_b32_e32 v0, 0
	s_mov_b64 s[44:45], s[4:5]
	s_mov_b64 s[46:47], s[38:39]
	v_mov_b32_e32 v2, v4
.LBB173_19:                             ; =>This Inner Loop Header: Depth=1
	s_load_dwordx8 s[8:15], s[44:45], 0x4
	s_load_dwordx4 s[20:23], s[44:45], 0x24
	s_load_dwordx4 s[24:27], s[46:47], 0x0
	s_add_u32 s44, s44, 48
	s_addc_u32 s45, s45, 0
	s_waitcnt lgkmcnt(0)
	v_mul_hi_u32 v1, s9, v2
	v_add_u32_e32 v1, v2, v1
	v_lshrrev_b32_e32 v1, s10, v1
	v_mul_lo_u32 v3, v1, s8
	v_mul_hi_u32 v5, s12, v1
	v_sub_u32_e32 v2, v2, v3
	v_add_u32_e32 v3, v1, v5
	v_lshrrev_b32_e32 v3, s13, v3
	v_mul_lo_u32 v5, v3, s11
	v_mul_hi_u32 v6, s15, v3
	v_sub_u32_e32 v1, v1, v5
	v_add_u32_e32 v5, v3, v6
	v_mul_lo_u32 v2, v2, s24
	v_mul_lo_u32 v1, v1, s25
	v_lshrrev_b32_e32 v5, s20, v5
	v_add3_u32 v0, v2, v0, v1
	v_mul_hi_u32 v2, s22, v5
	v_add_u32_e32 v2, v5, v2
	v_mul_lo_u32 v1, v5, s14
	v_lshrrev_b32_e32 v2, s23, v2
	s_add_i32 s53, s53, 4
	v_sub_u32_e32 v1, v3, v1
	v_mul_lo_u32 v3, v2, s21
	s_add_u32 s46, s46, 16
	v_sub_u32_e32 v3, v5, v3
	s_addc_u32 s47, s47, 0
	v_mul_lo_u32 v1, v1, s26
	v_mul_lo_u32 v3, v3, s27
	s_cmp_eq_u32 s51, s53
	v_add3_u32 v0, v1, v0, v3
	s_cbranch_scc0 .LBB173_19
	s_branch .LBB173_88
.LBB173_20:
                                        ; implicit-def: $vgpr0
	s_branch .LBB173_27
.LBB173_21:
                                        ; implicit-def: $vgpr0
	s_branch .LBB173_76
.LBB173_22:
                                        ; implicit-def: $vgpr0
	s_branch .LBB173_92
.LBB173_23:
	v_mov_b32_e32 v2, v4
	s_and_b32 s8, s25, 3
	s_cmp_eq_u32 s8, 0
	s_cbranch_scc1 .LBB173_26
.LBB173_24:
	s_lshl_b32 s2, s24, 2
	s_add_u32 s2, s2, s4
	s_addc_u32 s3, 0, s5
	s_add_u32 s2, s2, 0xc4
	s_addc_u32 s3, s3, 0
	s_mul_i32 s6, s24, 12
	s_add_u32 s6, s4, s6
	s_addc_u32 s7, 0, s5
.LBB173_25:                             ; =>This Inner Loop Header: Depth=1
	s_load_dwordx2 s[10:11], s[6:7], 0x4
	s_load_dword s9, s[6:7], 0xc
	s_load_dword s12, s[2:3], 0x0
	s_add_u32 s6, s6, 12
	s_addc_u32 s7, s7, 0
	s_waitcnt lgkmcnt(0)
	v_mul_hi_u32 v1, s11, v2
	v_add_u32_e32 v1, v2, v1
	v_lshrrev_b32_e32 v1, s9, v1
	s_add_u32 s2, s2, 4
	v_mul_lo_u32 v3, v1, s10
	s_addc_u32 s3, s3, 0
	s_add_i32 s8, s8, -1
	v_sub_u32_e32 v3, v2, v3
	s_cmp_lg_u32 s8, 0
	v_mov_b32_e32 v2, v1
	v_mad_u64_u32 v[0:1], s[10:11], v3, s12, v[0:1]
	s_cbranch_scc1 .LBB173_25
.LBB173_26:
	s_cbranch_execnz .LBB173_29
.LBB173_27:
	s_load_dwordx4 s[8:11], s[4:5], 0x4
	s_load_dword s2, s[4:5], 0xc4
	s_cmp_lt_u32 s33, 2
	s_waitcnt lgkmcnt(0)
	v_mul_hi_u32 v0, s9, v4
	v_add_u32_e32 v0, v4, v0
	v_lshrrev_b32_e32 v1, s10, v0
	v_mul_lo_u32 v0, v1, s8
	v_sub_u32_e32 v0, v4, v0
	v_mul_lo_u32 v0, v0, s2
	s_cbranch_scc1 .LBB173_29
; %bb.28:
	s_load_dwordx4 s[8:11], s[4:5], 0x10
	s_load_dword s2, s[4:5], 0xc8
	s_waitcnt lgkmcnt(0)
	v_mul_hi_u32 v2, s9, v1
	v_add_u32_e32 v2, v1, v2
	v_lshrrev_b32_e32 v2, s10, v2
	v_mul_lo_u32 v2, v2, s8
	v_sub_u32_e32 v1, v1, v2
	v_mad_u64_u32 v[0:1], s[2:3], v1, s2, v[0:1]
.LBB173_29:
	s_and_b64 vcc, exec, s[0:1]
	v_add_u32_e32 v1, 0x80, v4
	s_cbranch_vccnz .LBB173_35
; %bb.30:
	s_mov_b32 s24, 0
	s_cmp_eq_u32 s33, 0
	v_mov_b32_e32 v2, 0
	s_cbranch_scc1 .LBB173_39
; %bb.31:
	s_min_u32 s25, s48, 15
	s_add_i32 s25, s25, 1
	s_cmp_eq_u32 s48, 2
	v_mov_b32_e32 v2, 0
	s_cbranch_scc1 .LBB173_36
; %bb.32:
	s_add_u32 s2, s4, 0xc4
	s_addc_u32 s3, s5, 0
	s_and_b32 s24, s25, 28
	s_mov_b32 s26, 0
	v_mov_b32_e32 v2, 0
	s_mov_b64 s[6:7], s[4:5]
	v_mov_b32_e32 v5, v1
.LBB173_33:                             ; =>This Inner Loop Header: Depth=1
	s_load_dwordx8 s[8:15], s[6:7], 0x4
	s_load_dwordx4 s[16:19], s[6:7], 0x24
	s_load_dwordx4 s[20:23], s[2:3], 0x0
	s_add_u32 s6, s6, 48
	s_addc_u32 s7, s7, 0
	s_waitcnt lgkmcnt(0)
	v_mul_hi_u32 v3, s9, v5
	v_add_u32_e32 v3, v5, v3
	v_lshrrev_b32_e32 v3, s10, v3
	v_mul_lo_u32 v6, v3, s8
	v_mul_hi_u32 v7, s12, v3
	v_sub_u32_e32 v5, v5, v6
	v_add_u32_e32 v6, v3, v7
	v_lshrrev_b32_e32 v6, s13, v6
	v_mul_lo_u32 v7, v6, s11
	v_mul_hi_u32 v9, s15, v6
	v_sub_u32_e32 v3, v3, v7
	v_add_u32_e32 v7, v6, v9
	v_mul_lo_u32 v5, v5, s20
	v_mul_lo_u32 v3, v3, s21
	v_lshrrev_b32_e32 v7, s16, v7
	v_add3_u32 v2, v5, v2, v3
	v_mul_hi_u32 v5, s18, v7
	v_add_u32_e32 v5, v7, v5
	v_mul_lo_u32 v3, v7, s14
	v_lshrrev_b32_e32 v5, s19, v5
	s_add_i32 s26, s26, 4
	v_sub_u32_e32 v3, v6, v3
	v_mul_lo_u32 v6, v5, s17
	s_add_u32 s2, s2, 16
	v_sub_u32_e32 v6, v7, v6
	s_addc_u32 s3, s3, 0
	v_mul_lo_u32 v3, v3, s22
	v_mul_lo_u32 v6, v6, s23
	s_cmp_lg_u32 s24, s26
	v_add3_u32 v2, v3, v2, v6
	s_cbranch_scc1 .LBB173_33
; %bb.34:
	s_and_b32 s8, s25, 3
	s_cmp_eq_u32 s8, 0
	s_cbranch_scc0 .LBB173_37
	s_branch .LBB173_39
.LBB173_35:
                                        ; implicit-def: $vgpr2
	s_branch .LBB173_40
.LBB173_36:
	v_mov_b32_e32 v5, v1
	s_and_b32 s8, s25, 3
	s_cmp_eq_u32 s8, 0
	s_cbranch_scc1 .LBB173_39
.LBB173_37:
	s_lshl_b32 s2, s24, 2
	s_add_u32 s2, s2, s4
	s_addc_u32 s3, 0, s5
	s_add_u32 s2, s2, 0xc4
	s_addc_u32 s3, s3, 0
	s_mul_i32 s6, s24, 12
	s_add_u32 s6, s4, s6
	s_addc_u32 s7, 0, s5
.LBB173_38:                             ; =>This Inner Loop Header: Depth=1
	s_load_dwordx2 s[10:11], s[6:7], 0x4
	s_load_dword s9, s[6:7], 0xc
	s_load_dword s12, s[2:3], 0x0
	s_add_u32 s6, s6, 12
	s_addc_u32 s7, s7, 0
	s_waitcnt lgkmcnt(0)
	v_mul_hi_u32 v3, s11, v5
	v_add_u32_e32 v3, v5, v3
	v_lshrrev_b32_e32 v3, s9, v3
	s_add_u32 s2, s2, 4
	v_mul_lo_u32 v6, v3, s10
	s_addc_u32 s3, s3, 0
	s_add_i32 s8, s8, -1
	v_sub_u32_e32 v6, v5, v6
	s_cmp_lg_u32 s8, 0
	v_mov_b32_e32 v5, v3
	v_mad_u64_u32 v[2:3], s[10:11], v6, s12, v[2:3]
	s_cbranch_scc1 .LBB173_38
.LBB173_39:
	s_cbranch_execnz .LBB173_42
.LBB173_40:
	s_load_dwordx4 s[8:11], s[4:5], 0x4
	s_load_dword s2, s[4:5], 0xc4
	s_cmp_lt_u32 s33, 2
	s_waitcnt lgkmcnt(0)
	v_mul_hi_u32 v2, s9, v1
	v_add_u32_e32 v2, v1, v2
	v_lshrrev_b32_e32 v3, s10, v2
	v_mul_lo_u32 v2, v3, s8
	v_sub_u32_e32 v1, v1, v2
	v_mul_lo_u32 v2, v1, s2
	s_cbranch_scc1 .LBB173_42
; %bb.41:
	s_load_dwordx4 s[8:11], s[4:5], 0x10
	s_load_dword s2, s[4:5], 0xc8
	s_waitcnt lgkmcnt(0)
	v_mul_hi_u32 v1, s9, v3
	v_add_u32_e32 v1, v3, v1
	v_lshrrev_b32_e32 v1, s10, v1
	v_mul_lo_u32 v1, v1, s8
	v_sub_u32_e32 v1, v3, v1
	v_mad_u64_u32 v[2:3], s[2:3], v1, s2, v[2:3]
.LBB173_42:
	s_and_b64 vcc, exec, s[0:1]
	v_add_u32_e32 v1, 0x100, v4
	s_cbranch_vccnz .LBB173_48
; %bb.43:
	s_mov_b32 s24, 0
	s_cmp_eq_u32 s33, 0
	v_mov_b32_e32 v4, 0
	s_cbranch_scc1 .LBB173_52
; %bb.44:
	s_min_u32 s25, s48, 15
	s_add_i32 s25, s25, 1
	s_cmp_eq_u32 s48, 2
	v_mov_b32_e32 v4, 0
	s_cbranch_scc1 .LBB173_49
; %bb.45:
	s_add_u32 s2, s4, 0xc4
	s_addc_u32 s3, s5, 0
	s_and_b32 s24, s25, 28
	s_mov_b32 s26, 0
	v_mov_b32_e32 v4, 0
	s_mov_b64 s[6:7], s[4:5]
	v_mov_b32_e32 v3, v1
.LBB173_46:                             ; =>This Inner Loop Header: Depth=1
	s_load_dwordx8 s[8:15], s[6:7], 0x4
	s_load_dwordx4 s[16:19], s[6:7], 0x24
	s_load_dwordx4 s[20:23], s[2:3], 0x0
	s_add_u32 s6, s6, 48
	s_addc_u32 s7, s7, 0
	s_waitcnt lgkmcnt(0)
	v_mul_hi_u32 v5, s9, v3
	v_add_u32_e32 v5, v3, v5
	v_lshrrev_b32_e32 v5, s10, v5
	v_mul_lo_u32 v6, v5, s8
	v_mul_hi_u32 v7, s12, v5
	v_sub_u32_e32 v3, v3, v6
	v_add_u32_e32 v6, v5, v7
	v_lshrrev_b32_e32 v6, s13, v6
	v_mul_lo_u32 v7, v6, s11
	v_mul_hi_u32 v9, s15, v6
	v_sub_u32_e32 v5, v5, v7
	v_add_u32_e32 v7, v6, v9
	v_mul_lo_u32 v3, v3, s20
	v_mul_lo_u32 v5, v5, s21
	v_lshrrev_b32_e32 v7, s16, v7
	v_add3_u32 v4, v3, v4, v5
	v_mul_lo_u32 v3, v7, s14
	v_mul_hi_u32 v5, s18, v7
	v_sub_u32_e32 v3, v6, v3
	v_add_u32_e32 v5, v7, v5
	v_mul_lo_u32 v6, v3, s22
	v_lshrrev_b32_e32 v3, s19, v5
	s_add_i32 s26, s26, 4
	v_mul_lo_u32 v5, v3, s17
	s_add_u32 s2, s2, 16
	v_sub_u32_e32 v5, v7, v5
	s_addc_u32 s3, s3, 0
	v_mul_lo_u32 v5, v5, s23
	s_cmp_lg_u32 s24, s26
	v_add3_u32 v4, v6, v4, v5
	s_cbranch_scc1 .LBB173_46
; %bb.47:
	s_and_b32 s8, s25, 3
	s_cmp_eq_u32 s8, 0
	s_cbranch_scc0 .LBB173_50
	s_branch .LBB173_52
.LBB173_48:
                                        ; implicit-def: $vgpr4
	s_branch .LBB173_53
.LBB173_49:
	v_mov_b32_e32 v3, v1
	s_and_b32 s8, s25, 3
	s_cmp_eq_u32 s8, 0
	s_cbranch_scc1 .LBB173_52
.LBB173_50:
	s_lshl_b32 s2, s24, 2
	s_add_u32 s2, s2, s4
	s_addc_u32 s3, 0, s5
	s_add_u32 s2, s2, 0xc4
	s_addc_u32 s3, s3, 0
	s_mul_i32 s6, s24, 12
	s_add_u32 s6, s4, s6
	s_addc_u32 s7, 0, s5
.LBB173_51:                             ; =>This Inner Loop Header: Depth=1
	s_load_dwordx2 s[10:11], s[6:7], 0x4
	s_load_dword s9, s[6:7], 0xc
	s_load_dword s12, s[2:3], 0x0
	s_add_u32 s6, s6, 12
	s_addc_u32 s7, s7, 0
	s_waitcnt lgkmcnt(0)
	v_mul_hi_u32 v5, s11, v3
	v_add_u32_e32 v5, v3, v5
	v_lshrrev_b32_e32 v5, s9, v5
	s_add_u32 s2, s2, 4
	v_mul_lo_u32 v6, v5, s10
	s_addc_u32 s3, s3, 0
	s_add_i32 s8, s8, -1
	v_sub_u32_e32 v6, v3, v6
	s_cmp_lg_u32 s8, 0
	v_mov_b32_e32 v3, v5
	v_mad_u64_u32 v[4:5], s[10:11], v6, s12, v[4:5]
	s_cbranch_scc1 .LBB173_51
.LBB173_52:
	s_cbranch_execnz .LBB173_55
.LBB173_53:
	s_load_dwordx4 s[8:11], s[4:5], 0x4
	s_load_dword s2, s[4:5], 0xc4
	s_cmp_lt_u32 s33, 2
	s_waitcnt lgkmcnt(0)
	v_mul_hi_u32 v3, s9, v1
	v_add_u32_e32 v3, v1, v3
	v_lshrrev_b32_e32 v3, s10, v3
	v_mul_lo_u32 v4, v3, s8
	v_sub_u32_e32 v1, v1, v4
	v_mul_lo_u32 v4, v1, s2
	s_cbranch_scc1 .LBB173_55
; %bb.54:
	s_load_dwordx4 s[8:11], s[4:5], 0x10
	s_load_dword s2, s[4:5], 0xc8
	s_waitcnt lgkmcnt(0)
	v_mul_hi_u32 v1, s9, v3
	v_add_u32_e32 v1, v3, v1
	v_lshrrev_b32_e32 v1, s10, v1
	v_mul_lo_u32 v1, v1, s8
	v_sub_u32_e32 v1, v3, v1
	v_mad_u64_u32 v[4:5], s[2:3], v1, s2, v[4:5]
.LBB173_55:
	s_and_b64 vcc, exec, s[0:1]
	s_cbranch_vccnz .LBB173_61
; %bb.56:
	s_mov_b32 s22, 0
	s_cmp_eq_u32 s33, 0
	v_mov_b32_e32 v6, 0
	s_cbranch_scc1 .LBB173_65
; %bb.57:
	s_min_u32 s23, s48, 15
	s_add_i32 s23, s23, 1
	s_cmp_eq_u32 s48, 2
	v_mov_b32_e32 v6, 0
	s_cbranch_scc1 .LBB173_62
; %bb.58:
	s_add_u32 s6, s4, 0xc4
	s_addc_u32 s7, s5, 0
	s_and_b32 s22, s23, 28
	s_mov_b32 s24, 0
	v_mov_b32_e32 v6, 0
	s_mov_b64 s[20:21], s[4:5]
	v_mov_b32_e32 v1, v8
.LBB173_59:                             ; =>This Inner Loop Header: Depth=1
	s_load_dwordx8 s[8:15], s[20:21], 0x4
	s_load_dwordx4 s[0:3], s[20:21], 0x24
	s_load_dwordx4 s[16:19], s[6:7], 0x0
	s_add_u32 s20, s20, 48
	s_addc_u32 s21, s21, 0
	s_waitcnt lgkmcnt(0)
	v_mul_hi_u32 v3, s9, v1
	v_add_u32_e32 v3, v1, v3
	v_lshrrev_b32_e32 v3, s10, v3
	v_mul_lo_u32 v5, v3, s8
	v_mul_hi_u32 v7, s12, v3
	v_sub_u32_e32 v1, v1, v5
	v_add_u32_e32 v5, v3, v7
	v_lshrrev_b32_e32 v5, s13, v5
	v_mul_lo_u32 v7, v5, s11
	v_mul_hi_u32 v9, s15, v5
	v_sub_u32_e32 v3, v3, v7
	v_add_u32_e32 v7, v5, v9
	v_mul_lo_u32 v1, v1, s16
	v_mul_lo_u32 v3, v3, s17
	v_lshrrev_b32_e32 v7, s0, v7
	v_add3_u32 v3, v1, v6, v3
	v_mul_lo_u32 v1, v7, s14
	v_mul_hi_u32 v6, s2, v7
	v_sub_u32_e32 v1, v5, v1
	v_add_u32_e32 v5, v7, v6
	v_mul_lo_u32 v6, v1, s18
	v_lshrrev_b32_e32 v1, s3, v5
	s_add_i32 s24, s24, 4
	v_mul_lo_u32 v5, v1, s1
	s_add_u32 s6, s6, 16
	v_sub_u32_e32 v5, v7, v5
	s_addc_u32 s7, s7, 0
	v_mul_lo_u32 v5, v5, s19
	s_cmp_lg_u32 s22, s24
	v_add3_u32 v6, v6, v3, v5
	s_cbranch_scc1 .LBB173_59
; %bb.60:
	s_and_b32 s6, s23, 3
	s_cmp_eq_u32 s6, 0
	s_cbranch_scc0 .LBB173_63
	s_branch .LBB173_65
.LBB173_61:
                                        ; implicit-def: $vgpr6
	s_branch .LBB173_66
.LBB173_62:
	v_mov_b32_e32 v1, v8
	s_and_b32 s6, s23, 3
	s_cmp_eq_u32 s6, 0
	s_cbranch_scc1 .LBB173_65
.LBB173_63:
	s_lshl_b32 s0, s22, 2
	s_add_u32 s0, s0, s4
	s_addc_u32 s1, 0, s5
	s_add_u32 s0, s0, 0xc4
	s_addc_u32 s1, s1, 0
	s_mul_i32 s2, s22, 12
	s_add_u32 s2, s4, s2
	s_addc_u32 s3, 0, s5
.LBB173_64:                             ; =>This Inner Loop Header: Depth=1
	s_load_dwordx2 s[8:9], s[2:3], 0x4
	s_load_dword s7, s[2:3], 0xc
	s_load_dword s10, s[0:1], 0x0
	s_add_u32 s2, s2, 12
	s_addc_u32 s3, s3, 0
	s_waitcnt lgkmcnt(0)
	v_mul_hi_u32 v3, s9, v1
	v_add_u32_e32 v3, v1, v3
	v_lshrrev_b32_e32 v3, s7, v3
	s_add_u32 s0, s0, 4
	v_mul_lo_u32 v5, v3, s8
	s_addc_u32 s1, s1, 0
	s_add_i32 s6, s6, -1
	v_sub_u32_e32 v5, v1, v5
	s_cmp_lg_u32 s6, 0
	v_mov_b32_e32 v1, v3
	v_mad_u64_u32 v[6:7], s[8:9], v5, s10, v[6:7]
	s_cbranch_scc1 .LBB173_64
.LBB173_65:
	s_cbranch_execnz .LBB173_68
.LBB173_66:
	s_load_dwordx4 s[0:3], s[4:5], 0x4
	s_waitcnt lgkmcnt(0)
	s_load_dword s3, s[4:5], 0xc4
	s_cmp_lt_u32 s33, 2
	v_mul_hi_u32 v1, s1, v8
	v_add_u32_e32 v1, v8, v1
	v_lshrrev_b32_e32 v1, s2, v1
	v_mul_lo_u32 v3, v1, s0
	v_sub_u32_e32 v3, v8, v3
	s_waitcnt lgkmcnt(0)
	v_mul_lo_u32 v6, v3, s3
	s_cbranch_scc1 .LBB173_68
; %bb.67:
	s_load_dwordx4 s[0:3], s[4:5], 0x10
	s_waitcnt lgkmcnt(0)
	s_load_dword s3, s[4:5], 0xc8
	v_mul_hi_u32 v3, s1, v1
	v_add_u32_e32 v3, v1, v3
	v_lshrrev_b32_e32 v3, s2, v3
	v_mul_lo_u32 v3, v3, s0
	v_sub_u32_e32 v1, v1, v3
	s_waitcnt lgkmcnt(0)
	v_mad_u64_u32 v[6:7], s[0:1], v1, s3, v[6:7]
.LBB173_68:
	s_load_dwordx4 s[0:3], s[4:5], 0x108
	s_waitcnt lgkmcnt(0)
	v_pk_mov_b32 v[8:9], s[2:3], s[2:3] op_sel:[0,1]
	s_nop 1
	global_store_dwordx2 v0, v[8:9], s[0:1]
	global_store_dwordx2 v2, v[8:9], s[0:1]
	global_store_dwordx2 v4, v[8:9], s[0:1]
	global_store_dwordx2 v6, v[8:9], s[0:1]
	s_endpgm
.LBB173_69:
	v_mov_b32_e32 v0, 0
	s_branch .LBB173_75
.LBB173_70:
	v_mov_b32_e32 v0, 0
	s_branch .LBB173_91
.LBB173_71:
	v_mov_b32_e32 v2, v4
.LBB173_72:
	s_and_b32 s12, s52, 3
	s_cmp_eq_u32 s12, 0
	s_cbranch_scc1 .LBB173_75
; %bb.73:
	s_lshl_b32 s8, s51, 2
	s_add_u32 s8, s8, s4
	s_addc_u32 s9, s5, 0
	s_add_u32 s8, s8, 0xc4
	s_addc_u32 s9, s9, 0
	s_mul_i32 s10, s51, 12
	s_add_u32 s10, s4, s10
	s_addc_u32 s11, s5, 0
.LBB173_74:                             ; =>This Inner Loop Header: Depth=1
	s_load_dwordx2 s[14:15], s[10:11], 0x4
	s_load_dword s13, s[10:11], 0xc
	s_load_dword s20, s[8:9], 0x0
	s_add_u32 s10, s10, 12
	s_addc_u32 s11, s11, 0
	s_waitcnt lgkmcnt(0)
	v_mul_hi_u32 v1, s15, v2
	v_add_u32_e32 v1, v2, v1
	v_lshrrev_b32_e32 v1, s13, v1
	s_add_u32 s8, s8, 4
	v_mul_lo_u32 v3, v1, s14
	s_addc_u32 s9, s9, 0
	s_add_i32 s12, s12, -1
	v_sub_u32_e32 v3, v2, v3
	s_cmp_lg_u32 s12, 0
	v_mov_b32_e32 v2, v1
	v_mad_u64_u32 v[0:1], s[14:15], v3, s20, v[0:1]
	s_cbranch_scc1 .LBB173_74
.LBB173_75:
	s_cbranch_execnz .LBB173_78
.LBB173_76:
	s_waitcnt lgkmcnt(0)
	v_mul_hi_u32 v0, s17, v4
	v_add_u32_e32 v0, v4, v0
	v_lshrrev_b32_e32 v1, s18, v0
	v_mul_lo_u32 v0, v1, s16
	v_sub_u32_e32 v0, v4, v0
	s_andn2_b64 vcc, exec, s[36:37]
	v_mul_lo_u32 v0, v0, s30
	s_cbranch_vccnz .LBB173_78
; %bb.77:
	v_mul_hi_u32 v2, s34, v1
	v_add_u32_e32 v2, v1, v2
	v_lshrrev_b32_e32 v2, s35, v2
	v_mul_lo_u32 v2, v2, s19
	v_sub_u32_e32 v1, v1, v2
	v_mad_u64_u32 v[0:1], s[8:9], v1, s31, v[0:1]
.LBB173_78:
	s_waitcnt lgkmcnt(0)
	v_pk_mov_b32 v[2:3], s[2:3], s[2:3] op_sel:[0,1]
	v_add_u32_e32 v4, 0x80, v4
	global_store_dwordx2 v0, v[2:3], s[0:1]
	s_or_b64 exec, exec, s[42:43]
	v_cmp_gt_i32_e32 vcc, s49, v4
	s_and_saveexec_b64 s[42:43], vcc
	s_cbranch_execnz .LBB173_15
.LBB173_79:
	s_or_b64 exec, exec, s[42:43]
	v_cmp_gt_i32_e32 vcc, s49, v4
	s_and_saveexec_b64 s[42:43], vcc
	s_cbranch_execz .LBB173_95
.LBB173_80:
	s_andn2_b64 vcc, exec, s[6:7]
	s_cbranch_vccnz .LBB173_85
; %bb.81:
	s_andn2_b64 vcc, exec, s[40:41]
	s_cbranch_vccnz .LBB173_86
; %bb.82:
	s_add_i32 s52, s50, 1
	s_mov_b32 s51, 0
	s_cmp_eq_u32 s48, 2
	v_mov_b32_e32 v0, 0
	s_cbranch_scc1 .LBB173_98
; %bb.83:
	s_and_b32 s51, s52, 28
	s_mov_b32 s53, 0
	v_mov_b32_e32 v0, 0
	s_mov_b64 s[44:45], s[4:5]
	s_mov_b64 s[46:47], s[38:39]
	v_mov_b32_e32 v2, v4
.LBB173_84:                             ; =>This Inner Loop Header: Depth=1
	s_load_dwordx8 s[8:15], s[44:45], 0x4
	s_load_dwordx4 s[20:23], s[44:45], 0x24
	s_load_dwordx4 s[24:27], s[46:47], 0x0
	s_add_u32 s44, s44, 48
	s_addc_u32 s45, s45, 0
	s_waitcnt lgkmcnt(0)
	v_mul_hi_u32 v1, s9, v2
	v_add_u32_e32 v1, v2, v1
	v_lshrrev_b32_e32 v1, s10, v1
	v_mul_lo_u32 v3, v1, s8
	v_mul_hi_u32 v5, s12, v1
	v_sub_u32_e32 v2, v2, v3
	v_add_u32_e32 v3, v1, v5
	v_lshrrev_b32_e32 v3, s13, v3
	v_mul_lo_u32 v5, v3, s11
	v_mul_hi_u32 v6, s15, v3
	v_sub_u32_e32 v1, v1, v5
	v_add_u32_e32 v5, v3, v6
	v_mul_lo_u32 v2, v2, s24
	v_mul_lo_u32 v1, v1, s25
	v_lshrrev_b32_e32 v5, s20, v5
	v_add3_u32 v0, v2, v0, v1
	v_mul_hi_u32 v2, s22, v5
	v_add_u32_e32 v2, v5, v2
	v_mul_lo_u32 v1, v5, s14
	v_lshrrev_b32_e32 v2, s23, v2
	s_add_i32 s53, s53, 4
	v_sub_u32_e32 v1, v3, v1
	v_mul_lo_u32 v3, v2, s21
	s_add_u32 s46, s46, 16
	v_sub_u32_e32 v3, v5, v3
	s_addc_u32 s47, s47, 0
	v_mul_lo_u32 v1, v1, s26
	v_mul_lo_u32 v3, v3, s27
	s_cmp_eq_u32 s51, s53
	v_add3_u32 v0, v1, v0, v3
	s_cbranch_scc0 .LBB173_84
	s_branch .LBB173_99
.LBB173_85:
                                        ; implicit-def: $vgpr0
	s_branch .LBB173_103
.LBB173_86:
	v_mov_b32_e32 v0, 0
	s_branch .LBB173_102
.LBB173_87:
	v_mov_b32_e32 v2, v4
.LBB173_88:
	s_and_b32 s12, s52, 3
	s_cmp_eq_u32 s12, 0
	s_cbranch_scc1 .LBB173_91
; %bb.89:
	s_lshl_b32 s8, s51, 2
	s_add_u32 s8, s8, s4
	s_addc_u32 s9, s5, 0
	s_add_u32 s8, s8, 0xc4
	s_addc_u32 s9, s9, 0
	s_mul_i32 s10, s51, 12
	s_add_u32 s10, s4, s10
	s_addc_u32 s11, s5, 0
.LBB173_90:                             ; =>This Inner Loop Header: Depth=1
	s_load_dwordx2 s[14:15], s[10:11], 0x4
	s_load_dword s13, s[10:11], 0xc
	s_load_dword s20, s[8:9], 0x0
	s_add_u32 s10, s10, 12
	s_addc_u32 s11, s11, 0
	s_waitcnt lgkmcnt(0)
	v_mul_hi_u32 v1, s15, v2
	v_add_u32_e32 v1, v2, v1
	v_lshrrev_b32_e32 v1, s13, v1
	s_add_u32 s8, s8, 4
	v_mul_lo_u32 v3, v1, s14
	s_addc_u32 s9, s9, 0
	s_add_i32 s12, s12, -1
	v_sub_u32_e32 v3, v2, v3
	s_cmp_lg_u32 s12, 0
	v_mov_b32_e32 v2, v1
	v_mad_u64_u32 v[0:1], s[14:15], v3, s20, v[0:1]
	s_cbranch_scc1 .LBB173_90
.LBB173_91:
	s_cbranch_execnz .LBB173_94
.LBB173_92:
	s_waitcnt lgkmcnt(0)
	v_mul_hi_u32 v0, s17, v4
	v_add_u32_e32 v0, v4, v0
	v_lshrrev_b32_e32 v1, s18, v0
	v_mul_lo_u32 v0, v1, s16
	v_sub_u32_e32 v0, v4, v0
	s_andn2_b64 vcc, exec, s[36:37]
	v_mul_lo_u32 v0, v0, s30
	s_cbranch_vccnz .LBB173_94
; %bb.93:
	v_mul_hi_u32 v2, s34, v1
	v_add_u32_e32 v2, v1, v2
	v_lshrrev_b32_e32 v2, s35, v2
	v_mul_lo_u32 v2, v2, s19
	v_sub_u32_e32 v1, v1, v2
	v_mad_u64_u32 v[0:1], s[8:9], v1, s31, v[0:1]
.LBB173_94:
	s_waitcnt lgkmcnt(0)
	v_pk_mov_b32 v[2:3], s[2:3], s[2:3] op_sel:[0,1]
	v_add_u32_e32 v4, 0x80, v4
	global_store_dwordx2 v0, v[2:3], s[0:1]
	s_or_b64 exec, exec, s[42:43]
	v_cmp_gt_i32_e32 vcc, s49, v4
	s_and_saveexec_b64 s[42:43], vcc
	s_cbranch_execnz .LBB173_80
.LBB173_95:
	s_or_b64 exec, exec, s[42:43]
	v_cmp_gt_i32_e32 vcc, s49, v4
	s_and_saveexec_b64 s[42:43], vcc
	s_cbranch_execnz .LBB173_106
.LBB173_96:
	s_or_b64 exec, exec, s[42:43]
                                        ; implicit-def: $vgpr8
                                        ; implicit-def: $vgpr4
	s_waitcnt lgkmcnt(0)
	s_andn2_saveexec_b64 s[0:1], s[28:29]
	s_cbranch_execnz .LBB173_8
.LBB173_97:
	s_endpgm
.LBB173_98:
	v_mov_b32_e32 v2, v4
.LBB173_99:
	s_and_b32 s12, s52, 3
	s_cmp_eq_u32 s12, 0
	s_cbranch_scc1 .LBB173_102
; %bb.100:
	s_lshl_b32 s8, s51, 2
	s_add_u32 s8, s8, s4
	s_addc_u32 s9, s5, 0
	s_add_u32 s8, s8, 0xc4
	s_addc_u32 s9, s9, 0
	s_mul_i32 s10, s51, 12
	s_add_u32 s10, s4, s10
	s_addc_u32 s11, s5, 0
.LBB173_101:                            ; =>This Inner Loop Header: Depth=1
	s_load_dwordx2 s[14:15], s[10:11], 0x4
	s_load_dword s13, s[10:11], 0xc
	s_load_dword s20, s[8:9], 0x0
	s_add_u32 s10, s10, 12
	s_addc_u32 s11, s11, 0
	s_waitcnt lgkmcnt(0)
	v_mul_hi_u32 v1, s15, v2
	v_add_u32_e32 v1, v2, v1
	v_lshrrev_b32_e32 v1, s13, v1
	s_add_u32 s8, s8, 4
	v_mul_lo_u32 v3, v1, s14
	s_addc_u32 s9, s9, 0
	s_add_i32 s12, s12, -1
	v_sub_u32_e32 v3, v2, v3
	s_cmp_lg_u32 s12, 0
	v_mov_b32_e32 v2, v1
	v_mad_u64_u32 v[0:1], s[14:15], v3, s20, v[0:1]
	s_cbranch_scc1 .LBB173_101
.LBB173_102:
	s_cbranch_execnz .LBB173_105
.LBB173_103:
	s_waitcnt lgkmcnt(0)
	v_mul_hi_u32 v0, s17, v4
	v_add_u32_e32 v0, v4, v0
	v_lshrrev_b32_e32 v1, s18, v0
	v_mul_lo_u32 v0, v1, s16
	v_sub_u32_e32 v0, v4, v0
	s_andn2_b64 vcc, exec, s[36:37]
	v_mul_lo_u32 v0, v0, s30
	s_cbranch_vccnz .LBB173_105
; %bb.104:
	v_mul_hi_u32 v2, s34, v1
	v_add_u32_e32 v2, v1, v2
	v_lshrrev_b32_e32 v2, s35, v2
	v_mul_lo_u32 v2, v2, s19
	v_sub_u32_e32 v1, v1, v2
	v_mad_u64_u32 v[0:1], s[8:9], v1, s31, v[0:1]
.LBB173_105:
	s_waitcnt lgkmcnt(0)
	v_pk_mov_b32 v[2:3], s[2:3], s[2:3] op_sel:[0,1]
	v_add_u32_e32 v4, 0x80, v4
	global_store_dwordx2 v0, v[2:3], s[0:1]
	s_or_b64 exec, exec, s[42:43]
	v_cmp_gt_i32_e32 vcc, s49, v4
	s_and_saveexec_b64 s[42:43], vcc
	s_cbranch_execz .LBB173_96
.LBB173_106:
	s_andn2_b64 vcc, exec, s[6:7]
	s_cbranch_vccnz .LBB173_111
; %bb.107:
	s_andn2_b64 vcc, exec, s[40:41]
	s_cbranch_vccnz .LBB173_112
; %bb.108:
	s_add_i32 s50, s50, 1
	s_mov_b32 s44, 0
	s_cmp_eq_u32 s48, 2
	v_mov_b32_e32 v0, 0
	s_cbranch_scc1 .LBB173_113
; %bb.109:
	s_and_b32 s44, s50, 28
	s_mov_b32 s45, 0
	v_mov_b32_e32 v0, 0
	s_mov_b64 s[40:41], s[4:5]
	v_mov_b32_e32 v2, v4
.LBB173_110:                            ; =>This Inner Loop Header: Depth=1
	s_load_dwordx8 s[8:15], s[40:41], 0x4
	s_load_dwordx4 s[20:23], s[40:41], 0x24
	s_load_dwordx4 s[24:27], s[38:39], 0x0
	s_add_u32 s40, s40, 48
	s_addc_u32 s41, s41, 0
	s_waitcnt lgkmcnt(0)
	v_mul_hi_u32 v1, s9, v2
	v_add_u32_e32 v1, v2, v1
	v_lshrrev_b32_e32 v1, s10, v1
	v_mul_lo_u32 v3, v1, s8
	v_mul_hi_u32 v5, s12, v1
	v_sub_u32_e32 v2, v2, v3
	v_add_u32_e32 v3, v1, v5
	v_lshrrev_b32_e32 v3, s13, v3
	v_mul_lo_u32 v5, v3, s11
	v_mul_hi_u32 v6, s15, v3
	v_sub_u32_e32 v1, v1, v5
	v_add_u32_e32 v5, v3, v6
	v_mul_lo_u32 v2, v2, s24
	v_mul_lo_u32 v1, v1, s25
	v_lshrrev_b32_e32 v5, s20, v5
	v_add3_u32 v0, v2, v0, v1
	v_mul_hi_u32 v2, s22, v5
	v_add_u32_e32 v2, v5, v2
	v_mul_lo_u32 v1, v5, s14
	v_lshrrev_b32_e32 v2, s23, v2
	s_add_i32 s45, s45, 4
	v_sub_u32_e32 v1, v3, v1
	v_mul_lo_u32 v3, v2, s21
	s_add_u32 s38, s38, 16
	v_sub_u32_e32 v3, v5, v3
	s_addc_u32 s39, s39, 0
	v_mul_lo_u32 v1, v1, s26
	v_mul_lo_u32 v3, v3, s27
	s_cmp_eq_u32 s44, s45
	v_add3_u32 v0, v1, v0, v3
	s_cbranch_scc0 .LBB173_110
	s_branch .LBB173_114
.LBB173_111:
                                        ; implicit-def: $vgpr0
	s_branch .LBB173_118
.LBB173_112:
	v_mov_b32_e32 v0, 0
	s_branch .LBB173_117
.LBB173_113:
	v_mov_b32_e32 v2, v4
.LBB173_114:
	s_and_b32 s12, s50, 3
	s_cmp_eq_u32 s12, 0
	s_cbranch_scc1 .LBB173_117
; %bb.115:
	s_lshl_b32 s8, s44, 2
	s_add_u32 s8, s8, s4
	s_addc_u32 s9, s5, 0
	s_add_u32 s8, s8, 0xc4
	s_addc_u32 s9, s9, 0
	s_mul_i32 s10, s44, 12
	s_add_u32 s10, s4, s10
	s_addc_u32 s11, s5, 0
.LBB173_116:                            ; =>This Inner Loop Header: Depth=1
	s_load_dwordx2 s[14:15], s[10:11], 0x4
	s_load_dword s13, s[10:11], 0xc
	s_load_dword s20, s[8:9], 0x0
	s_add_u32 s10, s10, 12
	s_addc_u32 s11, s11, 0
	s_waitcnt lgkmcnt(0)
	v_mul_hi_u32 v1, s15, v2
	v_add_u32_e32 v1, v2, v1
	v_lshrrev_b32_e32 v1, s13, v1
	s_add_u32 s8, s8, 4
	v_mul_lo_u32 v3, v1, s14
	s_addc_u32 s9, s9, 0
	s_add_i32 s12, s12, -1
	v_sub_u32_e32 v3, v2, v3
	s_cmp_lg_u32 s12, 0
	v_mov_b32_e32 v2, v1
	v_mad_u64_u32 v[0:1], s[14:15], v3, s20, v[0:1]
	s_cbranch_scc1 .LBB173_116
.LBB173_117:
	s_cbranch_execnz .LBB173_120
.LBB173_118:
	s_waitcnt lgkmcnt(0)
	v_mul_hi_u32 v0, s17, v4
	v_add_u32_e32 v0, v4, v0
	v_lshrrev_b32_e32 v1, s18, v0
	v_mul_lo_u32 v0, v1, s16
	v_sub_u32_e32 v0, v4, v0
	s_andn2_b64 vcc, exec, s[36:37]
	v_mul_lo_u32 v0, v0, s30
	s_cbranch_vccnz .LBB173_120
; %bb.119:
	v_mul_hi_u32 v2, s34, v1
	v_add_u32_e32 v2, v1, v2
	v_lshrrev_b32_e32 v2, s35, v2
	v_mul_lo_u32 v2, v2, s19
	v_sub_u32_e32 v1, v1, v2
	v_mad_u64_u32 v[0:1], s[8:9], v1, s31, v[0:1]
.LBB173_120:
	s_waitcnt lgkmcnt(0)
	v_pk_mov_b32 v[2:3], s[2:3], s[2:3] op_sel:[0,1]
	global_store_dwordx2 v0, v[2:3], s[0:1]
	s_or_b64 exec, exec, s[42:43]
                                        ; implicit-def: $vgpr8
                                        ; implicit-def: $vgpr4
	s_andn2_saveexec_b64 s[0:1], s[28:29]
	s_cbranch_execz .LBB173_97
	s_branch .LBB173_8
	.section	.rodata,"a",@progbits
	.p2align	6, 0x0
	.amdhsa_kernel _ZN2at6native32elementwise_kernel_manual_unrollILi128ELi4EZNS0_22gpu_kernel_impl_nocastINS0_11FillFunctorImEEEEvRNS_18TensorIteratorBaseERKT_EUlibE_EEviT1_
		.amdhsa_group_segment_fixed_size 0
		.amdhsa_private_segment_fixed_size 0
		.amdhsa_kernarg_size 288
		.amdhsa_user_sgpr_count 6
		.amdhsa_user_sgpr_private_segment_buffer 1
		.amdhsa_user_sgpr_dispatch_ptr 0
		.amdhsa_user_sgpr_queue_ptr 0
		.amdhsa_user_sgpr_kernarg_segment_ptr 1
		.amdhsa_user_sgpr_dispatch_id 0
		.amdhsa_user_sgpr_flat_scratch_init 0
		.amdhsa_user_sgpr_kernarg_preload_length 0
		.amdhsa_user_sgpr_kernarg_preload_offset 0
		.amdhsa_user_sgpr_private_segment_size 0
		.amdhsa_uses_dynamic_stack 0
		.amdhsa_system_sgpr_private_segment_wavefront_offset 0
		.amdhsa_system_sgpr_workgroup_id_x 1
		.amdhsa_system_sgpr_workgroup_id_y 0
		.amdhsa_system_sgpr_workgroup_id_z 0
		.amdhsa_system_sgpr_workgroup_info 0
		.amdhsa_system_vgpr_workitem_id 0
		.amdhsa_next_free_vgpr 10
		.amdhsa_next_free_sgpr 54
		.amdhsa_accum_offset 12
		.amdhsa_reserve_vcc 1
		.amdhsa_reserve_flat_scratch 0
		.amdhsa_float_round_mode_32 0
		.amdhsa_float_round_mode_16_64 0
		.amdhsa_float_denorm_mode_32 3
		.amdhsa_float_denorm_mode_16_64 3
		.amdhsa_dx10_clamp 1
		.amdhsa_ieee_mode 1
		.amdhsa_fp16_overflow 0
		.amdhsa_tg_split 0
		.amdhsa_exception_fp_ieee_invalid_op 0
		.amdhsa_exception_fp_denorm_src 0
		.amdhsa_exception_fp_ieee_div_zero 0
		.amdhsa_exception_fp_ieee_overflow 0
		.amdhsa_exception_fp_ieee_underflow 0
		.amdhsa_exception_fp_ieee_inexact 0
		.amdhsa_exception_int_div_zero 0
	.end_amdhsa_kernel
	.section	.text._ZN2at6native32elementwise_kernel_manual_unrollILi128ELi4EZNS0_22gpu_kernel_impl_nocastINS0_11FillFunctorImEEEEvRNS_18TensorIteratorBaseERKT_EUlibE_EEviT1_,"axG",@progbits,_ZN2at6native32elementwise_kernel_manual_unrollILi128ELi4EZNS0_22gpu_kernel_impl_nocastINS0_11FillFunctorImEEEEvRNS_18TensorIteratorBaseERKT_EUlibE_EEviT1_,comdat
.Lfunc_end173:
	.size	_ZN2at6native32elementwise_kernel_manual_unrollILi128ELi4EZNS0_22gpu_kernel_impl_nocastINS0_11FillFunctorImEEEEvRNS_18TensorIteratorBaseERKT_EUlibE_EEviT1_, .Lfunc_end173-_ZN2at6native32elementwise_kernel_manual_unrollILi128ELi4EZNS0_22gpu_kernel_impl_nocastINS0_11FillFunctorImEEEEvRNS_18TensorIteratorBaseERKT_EUlibE_EEviT1_
                                        ; -- End function
	.section	.AMDGPU.csdata,"",@progbits
; Kernel info:
; codeLenInByte = 4932
; NumSgprs: 58
; NumVgprs: 10
; NumAgprs: 0
; TotalNumVgprs: 10
; ScratchSize: 0
; MemoryBound: 0
; FloatMode: 240
; IeeeMode: 1
; LDSByteSize: 0 bytes/workgroup (compile time only)
; SGPRBlocks: 7
; VGPRBlocks: 1
; NumSGPRsForWavesPerEU: 58
; NumVGPRsForWavesPerEU: 10
; AccumOffset: 12
; Occupancy: 8
; WaveLimiterHint : 1
; COMPUTE_PGM_RSRC2:SCRATCH_EN: 0
; COMPUTE_PGM_RSRC2:USER_SGPR: 6
; COMPUTE_PGM_RSRC2:TRAP_HANDLER: 0
; COMPUTE_PGM_RSRC2:TGID_X_EN: 1
; COMPUTE_PGM_RSRC2:TGID_Y_EN: 0
; COMPUTE_PGM_RSRC2:TGID_Z_EN: 0
; COMPUTE_PGM_RSRC2:TIDIG_COMP_CNT: 0
; COMPUTE_PGM_RSRC3_GFX90A:ACCUM_OFFSET: 2
; COMPUTE_PGM_RSRC3_GFX90A:TG_SPLIT: 0
	.section	.text._ZN2at6native32elementwise_kernel_manual_unrollILi128ELi4EZNS0_15gpu_kernel_implINS0_11FillFunctorImEEEEvRNS_18TensorIteratorBaseERKT_EUlibE_EEviT1_,"axG",@progbits,_ZN2at6native32elementwise_kernel_manual_unrollILi128ELi4EZNS0_15gpu_kernel_implINS0_11FillFunctorImEEEEvRNS_18TensorIteratorBaseERKT_EUlibE_EEviT1_,comdat
	.protected	_ZN2at6native32elementwise_kernel_manual_unrollILi128ELi4EZNS0_15gpu_kernel_implINS0_11FillFunctorImEEEEvRNS_18TensorIteratorBaseERKT_EUlibE_EEviT1_ ; -- Begin function _ZN2at6native32elementwise_kernel_manual_unrollILi128ELi4EZNS0_15gpu_kernel_implINS0_11FillFunctorImEEEEvRNS_18TensorIteratorBaseERKT_EUlibE_EEviT1_
	.globl	_ZN2at6native32elementwise_kernel_manual_unrollILi128ELi4EZNS0_15gpu_kernel_implINS0_11FillFunctorImEEEEvRNS_18TensorIteratorBaseERKT_EUlibE_EEviT1_
	.p2align	8
	.type	_ZN2at6native32elementwise_kernel_manual_unrollILi128ELi4EZNS0_15gpu_kernel_implINS0_11FillFunctorImEEEEvRNS_18TensorIteratorBaseERKT_EUlibE_EEviT1_,@function
_ZN2at6native32elementwise_kernel_manual_unrollILi128ELi4EZNS0_15gpu_kernel_implINS0_11FillFunctorImEEEEvRNS_18TensorIteratorBaseERKT_EUlibE_EEviT1_: ; @_ZN2at6native32elementwise_kernel_manual_unrollILi128ELi4EZNS0_15gpu_kernel_implINS0_11FillFunctorImEEEEvRNS_18TensorIteratorBaseERKT_EUlibE_EEviT1_
; %bb.0:
	v_lshl_or_b32 v22, s6, 9, v0
	s_load_dword s48, s[4:5], 0x0
	s_load_dwordx2 s[20:21], s[4:5], 0x8
	s_load_dword s52, s[4:5], 0x10
	s_load_dwordx2 s[18:19], s[4:5], 0x18
	s_load_dword s33, s[4:5], 0x20
	v_or_b32_e32 v0, 0x180, v22
	s_waitcnt lgkmcnt(0)
	v_cmp_le_i32_e32 vcc, s48, v0
	s_mov_b64 s[22:23], 0
	s_mov_b64 s[0:1], 0
	s_and_saveexec_b64 s[2:3], vcc
	s_xor_b64 s[24:25], exec, s[2:3]
	s_cbranch_execz .LBB174_404
; %bb.1:
	s_flbit_i32_b32 s0, s19
	s_min_u32 s2, s0, 32
	s_lshl_b64 s[0:1], s[18:19], s2
	s_min_u32 s0, s0, 1
	s_or_b32 s0, s1, s0
	v_cvt_f32_u32_e32 v0, s0
	s_sub_i32 s1, 32, s2
	s_movk_i32 s0, 0xff
	s_mov_b32 s2, 0x47800000
	v_ldexp_f32 v4, v0, s1
	v_and_b32_e32 v1, 0x400000, v4
	v_lshrrev_b32_e32 v0, 23, v4
	v_cmp_ne_u32_e32 vcc, 0, v1
	v_and_b32_e32 v1, 0x3fffff, v4
	v_or_b32_e32 v1, v0, v1
	v_cmp_eq_u32_e64 s[16:17], s0, v0
	v_cmp_ne_u32_e64 s[0:1], 0, v1
	s_and_b64 s[0:1], vcc, s[0:1]
	v_cndmask_b32_e64 v1, 0, 1, s[0:1]
	s_mov_b32 s0, 0x43800000
	v_cmp_gt_u32_e64 s[14:15], s0, v4
	s_mov_b32 s0, 0x3bffffff
	v_add_f32_e32 v20, 0x46000000, v4
	v_add_u32_e32 v21, v0, v1
	v_cmp_lt_u32_e64 s[12:13], s0, v4
	v_bfe_u32 v0, v4, 20, 1
	v_readfirstlane_b32 s0, v20
	v_add_u32_e32 v0, v4, v0
	s_and_b32 s0, s0, 0xff
	v_cmp_gt_u32_e64 s[10:11], s2, v4
	s_mov_b32 s2, 0x37ffffff
	v_add_f32_e32 v17, 0x42800000, v4
	v_add_u32_e32 v1, 0x487ffff, v0
	s_cmp_lg_u32 s0, 0
	v_cmp_lt_u32_e64 s[8:9], s2, v4
	v_readfirstlane_b32 s2, v17
	v_lshrrev_b32_e32 v19, 20, v1
	s_cselect_b64 s[28:29], -1, 0
	v_bfe_u32 v1, v4, 21, 1
	s_and_b32 s2, s2, 0xff
	v_add_u32_e32 v1, v4, v1
	s_cmp_lg_u32 s2, 0
	s_mov_b32 s2, 0x43efffff
	v_add_u32_e32 v2, 0x88fffff, v1
	v_cmp_lt_u32_e64 s[4:5], s2, v4
	s_mov_b32 s2, 0x3c800000
	v_add_u32_e32 v0, 0x407ffff, v0
	v_lshrrev_b32_e32 v16, 21, v2
	v_cmp_gt_u32_e64 s[6:7], s2, v4
	v_lshrrev_b32_e32 v2, 20, v0
	v_and_b32_e32 v0, 0xff00000, v0
	s_mov_b32 s2, 0x7f00000
	v_mov_b32_e32 v3, 0x7e
	v_cmp_ne_u32_e32 vcc, s2, v0
	v_add_u32_e32 v0, 0x80fffff, v1
	s_mov_b32 s30, 0x7f800000
	v_cndmask_b32_e32 v14, v3, v2, vcc
	v_lshrrev_b32_e32 v11, 21, v0
	v_mov_b32_e32 v0, 0x7f
	v_cmp_lt_u32_e32 vcc, s30, v4
	v_mov_b32_e32 v1, 0x7c
	v_cndmask_b32_e32 v18, v3, v0, vcc
	v_cndmask_b32_e32 v13, v1, v0, vcc
	v_bfe_u32 v0, v4, 16, 1
	v_add_u32_e32 v0, v4, v0
	v_add_u32_e32 v0, 0x7fff, v0
	v_cvt_f16_f32_e32 v8, v4
	s_cselect_b64 s[26:27], -1, 0
	v_lshrrev_b32_e32 v10, 16, v0
	s_cmp_lg_u64 s[18:19], 0
	v_cvt_f64_u32_e32 v[0:1], s19
	s_mov_b32 s0, 0x477fffff
	s_mov_b32 s2, 0x38800000
	s_cselect_b64 s[30:31], -1, 0
	v_ldexp_f64 v[0:1], v[0:1], 32
	v_cvt_f64_u32_e32 v[2:3], s18
	v_cmp_lt_u32_e64 s[0:1], s0, v4
	v_add_f32_e32 v15, 0x46800000, v4
	v_cmp_gt_u32_e64 s[2:3], s2, v4
	v_add_f32_e32 v12, 0x43000000, v4
	s_mov_b64 s[38:39], 0
	v_cndmask_b32_e64 v9, 0, 1, s[30:31]
	v_add_f64 v[0:1], v[0:1], v[2:3]
	v_cmp_gt_i32_e32 vcc, s48, v22
	s_mov_b64 s[36:37], -1
	s_mov_b64 s[30:31], 0
	s_and_saveexec_b64 s[34:35], vcc
	s_cbranch_execz .LBB174_100
; %bb.2:
	v_mul_lo_u32 v2, v22, s52
	v_ashrrev_i32_e32 v3, 31, v2
	v_mov_b32_e32 v5, s21
	v_add_co_u32_e32 v6, vcc, s20, v2
	v_mov_b32_e32 v2, 11
	v_addc_co_u32_e32 v7, vcc, v5, v3, vcc
	v_cmp_lt_i16_sdwa s[30:31], s33, v2 src0_sel:BYTE_0 src1_sel:DWORD
	s_and_b64 vcc, exec, s[30:31]
	s_cbranch_vccnz .LBB174_9
; %bb.3:
	v_mov_b32_e32 v2, 25
	v_cmp_gt_i16_sdwa s[30:31], s33, v2 src0_sel:BYTE_0 src1_sel:DWORD
	s_and_b64 vcc, exec, s[30:31]
	s_cbranch_vccz .LBB174_12
; %bb.4:
	v_mov_b32_e32 v2, 28
	v_cmp_gt_i16_sdwa s[30:31], s33, v2 src0_sel:BYTE_0 src1_sel:DWORD
	s_and_b64 vcc, exec, s[30:31]
	s_cbranch_vccz .LBB174_13
	;; [unrolled: 5-line block ×4, first 2 shown]
; %bb.7:
	v_mov_b32_e32 v2, 46
	v_cmp_eq_u16_sdwa s[36:37], s33, v2 src0_sel:BYTE_0 src1_sel:DWORD
	s_mov_b64 s[40:41], 0
	s_mov_b64 s[30:31], -1
	s_and_b64 vcc, exec, s[36:37]
	s_mov_b64 s[36:37], 0
	s_cbranch_vccz .LBB174_16
; %bb.8:
	global_store_dword v[6:7], v10, off
	s_mov_b64 s[36:37], -1
	s_mov_b64 s[30:31], 0
	s_branch .LBB174_16
.LBB174_9:
	s_mov_b64 s[30:31], 0
	s_mov_b64 s[36:37], 0
	s_cbranch_execnz .LBB174_60
.LBB174_10:
	s_andn2_b64 vcc, exec, s[36:37]
	s_cbranch_vccnz .LBB174_98
.LBB174_11:
	v_add_u32_e32 v22, 0x80, v22
	s_mov_b64 s[36:37], -1
	s_branch .LBB174_99
.LBB174_12:
	s_mov_b64 s[30:31], 0
	s_mov_b64 s[36:37], 0
	s_cbranch_execnz .LBB174_38
	s_branch .LBB174_59
.LBB174_13:
	s_mov_b64 s[40:41], -1
	s_mov_b64 s[30:31], 0
	s_mov_b64 s[36:37], 0
	s_branch .LBB174_24
.LBB174_14:
	s_mov_b64 s[40:41], -1
	s_mov_b64 s[30:31], 0
	s_mov_b64 s[36:37], 0
	s_branch .LBB174_20
.LBB174_15:
	s_mov_b64 s[40:41], -1
	s_mov_b64 s[30:31], 0
	s_mov_b64 s[36:37], 0
.LBB174_16:
	s_and_b64 vcc, exec, s[40:41]
	s_cbranch_vccz .LBB174_19
; %bb.17:
	v_mov_b32_e32 v2, 44
	v_cmp_eq_u16_sdwa s[40:41], s33, v2 src0_sel:BYTE_0 src1_sel:DWORD
	s_mov_b64 s[30:31], -1
	s_and_b64 vcc, exec, s[40:41]
	s_cbranch_vccz .LBB174_19
; %bb.18:
	v_mov_b32_e32 v2, 0xff
	v_cndmask_b32_e64 v2, v21, v2, s[16:17]
	global_store_byte v[6:7], v2, off
	s_mov_b64 s[36:37], -1
	s_mov_b64 s[30:31], 0
.LBB174_19:
	s_mov_b64 s[40:41], 0
.LBB174_20:
	s_and_b64 vcc, exec, s[40:41]
	s_cbranch_vccz .LBB174_23
; %bb.21:
	v_mov_b32_e32 v2, 29
	v_cmp_eq_u16_sdwa s[40:41], s33, v2 src0_sel:BYTE_0 src1_sel:DWORD
	s_mov_b64 s[30:31], -1
	s_and_b64 vcc, exec, s[40:41]
	s_cbranch_vccz .LBB174_23
; %bb.22:
	v_pk_mov_b32 v[2:3], s[18:19], s[18:19] op_sel:[0,1]
	global_store_dwordx2 v[6:7], v[2:3], off
	s_mov_b64 s[36:37], -1
	s_mov_b64 s[30:31], 0
.LBB174_23:
	s_mov_b64 s[40:41], 0
.LBB174_24:
	s_and_b64 vcc, exec, s[40:41]
	s_cbranch_vccz .LBB174_37
; %bb.25:
	v_mov_b32_e32 v2, 27
	v_cmp_lt_i16_sdwa s[40:41], s33, v2 src0_sel:BYTE_0 src1_sel:DWORD
	s_mov_b64 s[36:37], -1
	s_and_b64 vcc, exec, s[40:41]
	s_cbranch_vccnz .LBB174_31
; %bb.26:
	v_cmp_gt_i16_sdwa s[40:41], s33, v2 src0_sel:BYTE_0 src1_sel:DWORD
	s_and_b64 vcc, exec, s[40:41]
	s_cbranch_vccz .LBB174_28
; %bb.27:
	v_mov_b32_e32 v2, s18
	s_mov_b64 s[36:37], 0
	global_store_dword v[6:7], v2, off
.LBB174_28:
	s_andn2_b64 vcc, exec, s[36:37]
	s_cbranch_vccnz .LBB174_30
; %bb.29:
	v_mov_b32_e32 v2, s18
	global_store_short v[6:7], v2, off
.LBB174_30:
	s_mov_b64 s[36:37], 0
.LBB174_31:
	s_andn2_b64 vcc, exec, s[36:37]
	s_cbranch_vccnz .LBB174_36
; %bb.32:
	s_andn2_b64 vcc, exec, s[14:15]
	v_mov_b32_e32 v2, 0x80
	s_cbranch_vccnz .LBB174_35
; %bb.33:
	s_or_b64 s[36:37], s[12:13], s[28:29]
	s_andn2_b64 vcc, exec, s[36:37]
	v_mov_b32_e32 v2, 0
	s_cbranch_vccnz .LBB174_35
; %bb.34:
	v_cndmask_b32_e64 v2, v20, v19, s[12:13]
.LBB174_35:
	global_store_byte v[6:7], v2, off
.LBB174_36:
	s_mov_b64 s[36:37], -1
.LBB174_37:
	s_branch .LBB174_59
.LBB174_38:
	v_mov_b32_e32 v2, 22
	v_cmp_gt_i16_sdwa s[42:43], s33, v2 src0_sel:BYTE_0 src1_sel:DWORD
	s_mov_b64 s[40:41], -1
	s_and_b64 vcc, exec, s[42:43]
	s_cbranch_vccz .LBB174_51
; %bb.39:
	v_mov_b32_e32 v2, 24
	v_cmp_lt_i16_sdwa s[40:41], s33, v2 src0_sel:BYTE_0 src1_sel:DWORD
	s_mov_b64 s[36:37], -1
	s_and_b64 vcc, exec, s[40:41]
	s_cbranch_vccnz .LBB174_48
; %bb.40:
	v_cmp_gt_i16_sdwa s[40:41], s33, v2 src0_sel:BYTE_0 src1_sel:DWORD
	s_and_b64 vcc, exec, s[40:41]
	s_cbranch_vccz .LBB174_45
; %bb.41:
	s_andn2_b64 vcc, exec, s[10:11]
	v_mov_b32_e32 v2, 0x80
	s_cbranch_vccnz .LBB174_44
; %bb.42:
	s_or_b64 s[36:37], s[8:9], s[26:27]
	s_andn2_b64 vcc, exec, s[36:37]
	v_mov_b32_e32 v2, 0
	s_cbranch_vccnz .LBB174_44
; %bb.43:
	v_cndmask_b32_e64 v2, v17, v16, s[8:9]
.LBB174_44:
	s_mov_b64 s[36:37], 0
	global_store_byte v[6:7], v2, off
.LBB174_45:
	s_and_b64 vcc, exec, s[36:37]
	s_cbranch_vccz .LBB174_47
; %bb.46:
	v_cndmask_b32_e64 v2, v14, v15, s[6:7]
	v_cndmask_b32_e64 v2, v2, v18, s[4:5]
	global_store_byte v[6:7], v2, off
.LBB174_47:
	s_mov_b64 s[36:37], 0
.LBB174_48:
	s_andn2_b64 vcc, exec, s[36:37]
	s_cbranch_vccnz .LBB174_50
; %bb.49:
	v_cndmask_b32_e64 v2, v11, v12, s[2:3]
	v_cndmask_b32_e64 v2, v2, v13, s[0:1]
	global_store_byte v[6:7], v2, off
.LBB174_50:
	s_mov_b64 s[40:41], 0
	s_mov_b64 s[36:37], -1
.LBB174_51:
	s_andn2_b64 vcc, exec, s[40:41]
	s_cbranch_vccnz .LBB174_59
; %bb.52:
	v_mov_b32_e32 v2, 14
	v_cmp_gt_i16_sdwa s[42:43], s33, v2 src0_sel:BYTE_0 src1_sel:DWORD
	s_mov_b64 s[40:41], -1
	s_and_b64 vcc, exec, s[42:43]
	s_cbranch_vccz .LBB174_56
; %bb.53:
	v_mov_b32_e32 v2, 15
	v_cmp_eq_u16_sdwa s[40:41], s33, v2 src0_sel:BYTE_0 src1_sel:DWORD
	s_mov_b64 s[30:31], -1
	s_and_b64 vcc, exec, s[40:41]
	s_cbranch_vccz .LBB174_55
; %bb.54:
	global_store_short v[6:7], v10, off
	s_mov_b64 s[36:37], -1
	s_mov_b64 s[30:31], 0
.LBB174_55:
	s_mov_b64 s[40:41], 0
.LBB174_56:
	s_and_b64 vcc, exec, s[40:41]
	s_cbranch_vccz .LBB174_59
; %bb.57:
	v_mov_b32_e32 v2, 11
	v_cmp_eq_u16_sdwa s[40:41], s33, v2 src0_sel:BYTE_0 src1_sel:DWORD
	s_mov_b64 s[30:31], -1
	s_and_b64 vcc, exec, s[40:41]
	s_cbranch_vccz .LBB174_59
; %bb.58:
	s_mov_b64 s[36:37], -1
	s_mov_b64 s[30:31], 0
	global_store_byte v[6:7], v9, off
.LBB174_59:
	s_branch .LBB174_10
.LBB174_60:
	v_mov_b32_e32 v2, 5
	v_cmp_lt_i16_sdwa s[40:41], s33, v2 src0_sel:BYTE_0 src1_sel:DWORD
	s_mov_b64 s[36:37], -1
	s_and_b64 vcc, exec, s[40:41]
	s_cbranch_vccnz .LBB174_81
; %bb.61:
	v_mov_b32_e32 v2, 8
	v_cmp_lt_i16_sdwa s[40:41], s33, v2 src0_sel:BYTE_0 src1_sel:DWORD
	s_and_b64 vcc, exec, s[40:41]
	s_cbranch_vccnz .LBB174_71
; %bb.62:
	v_mov_b32_e32 v2, 9
	v_cmp_lt_i16_sdwa s[40:41], s33, v2 src0_sel:BYTE_0 src1_sel:DWORD
	s_and_b64 vcc, exec, s[40:41]
	s_cbranch_vccnz .LBB174_68
; %bb.63:
	v_cmp_gt_i16_sdwa s[40:41], s33, v2 src0_sel:BYTE_0 src1_sel:DWORD
	s_and_b64 vcc, exec, s[40:41]
	s_cbranch_vccz .LBB174_65
; %bb.64:
	v_mov_b32_e32 v2, 0
	v_mov_b32_e32 v3, v2
	global_store_dwordx4 v[6:7], v[0:3], off
	s_mov_b64 s[36:37], 0
.LBB174_65:
	s_andn2_b64 vcc, exec, s[36:37]
	s_cbranch_vccnz .LBB174_67
; %bb.66:
	v_mov_b32_e32 v5, 0
	global_store_dwordx2 v[6:7], v[4:5], off
.LBB174_67:
	s_mov_b64 s[36:37], 0
.LBB174_68:
	s_andn2_b64 vcc, exec, s[36:37]
	s_cbranch_vccnz .LBB174_70
; %bb.69:
	global_store_dword v[6:7], v8, off
.LBB174_70:
	s_mov_b64 s[36:37], 0
.LBB174_71:
	s_andn2_b64 vcc, exec, s[36:37]
	s_cbranch_vccnz .LBB174_80
; %bb.72:
	v_mov_b32_e32 v2, 6
	v_cmp_lt_i16_sdwa s[40:41], s33, v2 src0_sel:BYTE_0 src1_sel:DWORD
	s_mov_b64 s[36:37], -1
	s_and_b64 vcc, exec, s[40:41]
	s_cbranch_vccnz .LBB174_78
; %bb.73:
	v_cmp_gt_i16_sdwa s[40:41], s33, v2 src0_sel:BYTE_0 src1_sel:DWORD
	s_and_b64 vcc, exec, s[40:41]
	s_cbranch_vccz .LBB174_75
; %bb.74:
	global_store_dwordx2 v[6:7], v[0:1], off
	s_mov_b64 s[36:37], 0
.LBB174_75:
	s_andn2_b64 vcc, exec, s[36:37]
	s_cbranch_vccnz .LBB174_77
; %bb.76:
	global_store_dword v[6:7], v4, off
.LBB174_77:
	s_mov_b64 s[36:37], 0
.LBB174_78:
	s_andn2_b64 vcc, exec, s[36:37]
	s_cbranch_vccnz .LBB174_80
; %bb.79:
	global_store_short v[6:7], v8, off
.LBB174_80:
	s_mov_b64 s[36:37], 0
.LBB174_81:
	s_andn2_b64 vcc, exec, s[36:37]
	s_cbranch_vccnz .LBB174_97
; %bb.82:
	v_mov_b32_e32 v2, 2
	v_cmp_lt_i16_sdwa s[40:41], s33, v2 src0_sel:BYTE_0 src1_sel:DWORD
	s_mov_b64 s[36:37], -1
	s_and_b64 vcc, exec, s[40:41]
	s_cbranch_vccnz .LBB174_92
; %bb.83:
	v_mov_b32_e32 v2, 3
	v_cmp_lt_i16_sdwa s[40:41], s33, v2 src0_sel:BYTE_0 src1_sel:DWORD
	s_and_b64 vcc, exec, s[40:41]
	s_cbranch_vccnz .LBB174_89
; %bb.84:
	v_cmp_gt_i16_sdwa s[40:41], s33, v2 src0_sel:BYTE_0 src1_sel:DWORD
	s_and_b64 vcc, exec, s[40:41]
	s_cbranch_vccz .LBB174_86
; %bb.85:
	v_pk_mov_b32 v[2:3], s[18:19], s[18:19] op_sel:[0,1]
	global_store_dwordx2 v[6:7], v[2:3], off
	s_mov_b64 s[36:37], 0
.LBB174_86:
	s_andn2_b64 vcc, exec, s[36:37]
	s_cbranch_vccnz .LBB174_88
; %bb.87:
	v_mov_b32_e32 v2, s18
	global_store_dword v[6:7], v2, off
.LBB174_88:
	s_mov_b64 s[36:37], 0
.LBB174_89:
	s_andn2_b64 vcc, exec, s[36:37]
	s_cbranch_vccnz .LBB174_91
; %bb.90:
	v_mov_b32_e32 v2, s18
	global_store_short v[6:7], v2, off
.LBB174_91:
	s_mov_b64 s[36:37], 0
.LBB174_92:
	s_andn2_b64 vcc, exec, s[36:37]
	s_cbranch_vccnz .LBB174_97
; %bb.93:
	v_mov_b32_e32 v2, 0
	v_cmp_gt_i16_sdwa s[40:41], s33, v2 src0_sel:BYTE_0 src1_sel:DWORD
	s_mov_b64 s[36:37], -1
	s_and_b64 vcc, exec, s[40:41]
	s_cbranch_vccz .LBB174_95
; %bb.94:
	v_mov_b32_e32 v2, s18
	global_store_byte v[6:7], v2, off
	s_mov_b64 s[36:37], 0
.LBB174_95:
	s_andn2_b64 vcc, exec, s[36:37]
	s_cbranch_vccnz .LBB174_97
; %bb.96:
	v_mov_b32_e32 v2, s18
	global_store_byte v[6:7], v2, off
.LBB174_97:
	s_branch .LBB174_11
.LBB174_98:
	s_mov_b64 s[36:37], 0
                                        ; implicit-def: $vgpr22
.LBB174_99:
	s_and_b64 s[30:31], s[30:31], exec
	s_orn2_b64 s[36:37], s[36:37], exec
.LBB174_100:
	s_or_b64 exec, exec, s[34:35]
	s_mov_b64 s[40:41], 0
                                        ; implicit-def: $vgpr23
                                        ; implicit-def: $vgpr6_vgpr7
	s_and_saveexec_b64 s[34:35], s[36:37]
	s_cbranch_execz .LBB174_109
; %bb.101:
	v_cmp_gt_i32_e32 vcc, s48, v22
	s_mov_b64 s[42:43], -1
	s_mov_b64 s[36:37], s[30:31]
	s_and_saveexec_b64 s[38:39], vcc
	s_cbranch_execz .LBB174_204
; %bb.102:
	v_mul_lo_u32 v2, v22, s52
	v_ashrrev_i32_e32 v3, 31, v2
	v_mov_b32_e32 v5, s21
	v_add_co_u32_e32 v6, vcc, s20, v2
	v_mov_b32_e32 v2, 11
	v_addc_co_u32_e32 v7, vcc, v5, v3, vcc
	v_cmp_lt_i16_sdwa s[36:37], s33, v2 src0_sel:BYTE_0 src1_sel:DWORD
	s_and_b64 vcc, exec, s[36:37]
	s_cbranch_vccnz .LBB174_112
; %bb.103:
	v_mov_b32_e32 v2, 25
	v_cmp_gt_i16_sdwa s[36:37], s33, v2 src0_sel:BYTE_0 src1_sel:DWORD
	s_and_b64 vcc, exec, s[36:37]
	s_cbranch_vccz .LBB174_115
; %bb.104:
	v_mov_b32_e32 v2, 28
	v_cmp_gt_i16_sdwa s[36:37], s33, v2 src0_sel:BYTE_0 src1_sel:DWORD
	s_and_b64 vcc, exec, s[36:37]
	s_cbranch_vccz .LBB174_116
	;; [unrolled: 5-line block ×4, first 2 shown]
; %bb.107:
	v_mov_b32_e32 v2, 46
	v_cmp_eq_u16_sdwa s[40:41], s33, v2 src0_sel:BYTE_0 src1_sel:DWORD
	s_mov_b64 s[42:43], 0
	s_mov_b64 s[36:37], -1
	s_and_b64 vcc, exec, s[40:41]
	s_mov_b64 s[40:41], 0
	s_cbranch_vccz .LBB174_119
; %bb.108:
	global_store_dword v[6:7], v10, off
	s_mov_b64 s[40:41], -1
	s_mov_b64 s[36:37], 0
	s_branch .LBB174_119
.LBB174_109:
	s_or_b64 exec, exec, s[34:35]
	s_mov_b64 s[0:1], 0
	s_and_saveexec_b64 s[2:3], s[30:31]
	s_cbranch_execnz .LBB174_364
.LBB174_110:
	s_or_b64 exec, exec, s[2:3]
	s_and_saveexec_b64 s[2:3], s[38:39]
	s_xor_b64 s[2:3], exec, s[2:3]
	s_cbranch_execz .LBB174_365
.LBB174_111:
	global_store_byte v[6:7], v9, off
	s_or_b64 exec, exec, s[2:3]
	s_and_saveexec_b64 s[2:3], s[40:41]
	s_xor_b64 s[2:3], exec, s[2:3]
	s_cbranch_execz .LBB174_403
	s_branch .LBB174_366
.LBB174_112:
	s_mov_b64 s[36:37], s[30:31]
	s_and_b64 vcc, exec, s[42:43]
	s_cbranch_vccnz .LBB174_164
.LBB174_113:
	s_andn2_b64 vcc, exec, s[40:41]
	s_cbranch_vccnz .LBB174_202
.LBB174_114:
	v_add_u32_e32 v22, 0x80, v22
	s_mov_b64 s[40:41], -1
	s_branch .LBB174_203
.LBB174_115:
	s_mov_b64 s[36:37], s[30:31]
	s_branch .LBB174_141
.LBB174_116:
	s_mov_b64 s[36:37], s[30:31]
	s_branch .LBB174_127
.LBB174_117:
	s_mov_b64 s[36:37], s[30:31]
	s_branch .LBB174_123
.LBB174_118:
	s_mov_b64 s[36:37], s[30:31]
.LBB174_119:
	s_and_b64 vcc, exec, s[42:43]
	s_cbranch_vccz .LBB174_122
; %bb.120:
	v_mov_b32_e32 v2, 44
	v_cmp_eq_u16_sdwa s[42:43], s33, v2 src0_sel:BYTE_0 src1_sel:DWORD
	s_mov_b64 s[36:37], -1
	s_and_b64 vcc, exec, s[42:43]
	s_cbranch_vccz .LBB174_122
; %bb.121:
	v_mov_b32_e32 v2, 0xff
	v_cndmask_b32_e64 v2, v21, v2, s[16:17]
	s_mov_b64 s[40:41], -1
	s_mov_b64 s[36:37], 0
	global_store_byte v[6:7], v2, off
.LBB174_122:
	s_mov_b64 s[42:43], 0
.LBB174_123:
	s_and_b64 vcc, exec, s[42:43]
	s_cbranch_vccz .LBB174_126
; %bb.124:
	v_mov_b32_e32 v2, 29
	v_cmp_eq_u16_sdwa s[42:43], s33, v2 src0_sel:BYTE_0 src1_sel:DWORD
	s_mov_b64 s[36:37], -1
	s_and_b64 vcc, exec, s[42:43]
	s_cbranch_vccz .LBB174_126
; %bb.125:
	v_pk_mov_b32 v[2:3], s[18:19], s[18:19] op_sel:[0,1]
	global_store_dwordx2 v[6:7], v[2:3], off
	s_mov_b64 s[40:41], -1
	s_mov_b64 s[36:37], 0
.LBB174_126:
	s_mov_b64 s[42:43], 0
.LBB174_127:
	s_and_b64 vcc, exec, s[42:43]
	s_cbranch_vccz .LBB174_140
; %bb.128:
	v_mov_b32_e32 v2, 27
	v_cmp_lt_i16_sdwa s[42:43], s33, v2 src0_sel:BYTE_0 src1_sel:DWORD
	s_mov_b64 s[40:41], -1
	s_and_b64 vcc, exec, s[42:43]
	s_cbranch_vccnz .LBB174_134
; %bb.129:
	v_cmp_gt_i16_sdwa s[42:43], s33, v2 src0_sel:BYTE_0 src1_sel:DWORD
	s_and_b64 vcc, exec, s[42:43]
	s_cbranch_vccz .LBB174_131
; %bb.130:
	v_mov_b32_e32 v2, s18
	s_mov_b64 s[40:41], 0
	global_store_dword v[6:7], v2, off
.LBB174_131:
	s_andn2_b64 vcc, exec, s[40:41]
	s_cbranch_vccnz .LBB174_133
; %bb.132:
	v_mov_b32_e32 v2, s18
	global_store_short v[6:7], v2, off
.LBB174_133:
	s_mov_b64 s[40:41], 0
.LBB174_134:
	s_andn2_b64 vcc, exec, s[40:41]
	s_cbranch_vccnz .LBB174_139
; %bb.135:
	s_andn2_b64 vcc, exec, s[14:15]
	v_mov_b32_e32 v2, 0x80
	s_cbranch_vccnz .LBB174_138
; %bb.136:
	s_or_b64 s[40:41], s[12:13], s[28:29]
	s_andn2_b64 vcc, exec, s[40:41]
	v_mov_b32_e32 v2, 0
	s_cbranch_vccnz .LBB174_138
; %bb.137:
	v_cndmask_b32_e64 v2, v20, v19, s[12:13]
.LBB174_138:
	global_store_byte v[6:7], v2, off
.LBB174_139:
	s_mov_b64 s[40:41], -1
.LBB174_140:
	s_mov_b64 s[42:43], 0
.LBB174_141:
	s_and_b64 vcc, exec, s[42:43]
	s_cbranch_vccz .LBB174_163
; %bb.142:
	v_mov_b32_e32 v2, 22
	v_cmp_gt_i16_sdwa s[44:45], s33, v2 src0_sel:BYTE_0 src1_sel:DWORD
	s_mov_b64 s[42:43], -1
	s_and_b64 vcc, exec, s[44:45]
	s_cbranch_vccz .LBB174_155
; %bb.143:
	v_mov_b32_e32 v2, 24
	v_cmp_lt_i16_sdwa s[42:43], s33, v2 src0_sel:BYTE_0 src1_sel:DWORD
	s_mov_b64 s[40:41], -1
	s_and_b64 vcc, exec, s[42:43]
	s_cbranch_vccnz .LBB174_152
; %bb.144:
	v_cmp_gt_i16_sdwa s[42:43], s33, v2 src0_sel:BYTE_0 src1_sel:DWORD
	s_and_b64 vcc, exec, s[42:43]
	s_cbranch_vccz .LBB174_149
; %bb.145:
	s_andn2_b64 vcc, exec, s[10:11]
	v_mov_b32_e32 v2, 0x80
	s_cbranch_vccnz .LBB174_148
; %bb.146:
	s_or_b64 s[40:41], s[8:9], s[26:27]
	s_andn2_b64 vcc, exec, s[40:41]
	v_mov_b32_e32 v2, 0
	s_cbranch_vccnz .LBB174_148
; %bb.147:
	v_cndmask_b32_e64 v2, v17, v16, s[8:9]
.LBB174_148:
	s_mov_b64 s[40:41], 0
	global_store_byte v[6:7], v2, off
.LBB174_149:
	s_and_b64 vcc, exec, s[40:41]
	s_cbranch_vccz .LBB174_151
; %bb.150:
	v_cndmask_b32_e64 v2, v14, v15, s[6:7]
	v_cndmask_b32_e64 v2, v2, v18, s[4:5]
	global_store_byte v[6:7], v2, off
.LBB174_151:
	s_mov_b64 s[40:41], 0
.LBB174_152:
	s_andn2_b64 vcc, exec, s[40:41]
	s_cbranch_vccnz .LBB174_154
; %bb.153:
	v_cndmask_b32_e64 v2, v11, v12, s[2:3]
	v_cndmask_b32_e64 v2, v2, v13, s[0:1]
	global_store_byte v[6:7], v2, off
.LBB174_154:
	s_mov_b64 s[42:43], 0
	s_mov_b64 s[40:41], -1
.LBB174_155:
	s_andn2_b64 vcc, exec, s[42:43]
	s_cbranch_vccnz .LBB174_163
; %bb.156:
	v_mov_b32_e32 v2, 14
	v_cmp_gt_i16_sdwa s[44:45], s33, v2 src0_sel:BYTE_0 src1_sel:DWORD
	s_mov_b64 s[42:43], -1
	s_and_b64 vcc, exec, s[44:45]
	s_cbranch_vccz .LBB174_160
; %bb.157:
	v_mov_b32_e32 v2, 15
	v_cmp_eq_u16_sdwa s[42:43], s33, v2 src0_sel:BYTE_0 src1_sel:DWORD
	s_mov_b64 s[36:37], -1
	s_and_b64 vcc, exec, s[42:43]
	s_cbranch_vccz .LBB174_159
; %bb.158:
	global_store_short v[6:7], v10, off
	s_mov_b64 s[40:41], -1
	s_mov_b64 s[36:37], 0
.LBB174_159:
	s_mov_b64 s[42:43], 0
.LBB174_160:
	s_and_b64 vcc, exec, s[42:43]
	s_cbranch_vccz .LBB174_163
; %bb.161:
	v_mov_b32_e32 v2, 11
	v_cmp_eq_u16_sdwa s[42:43], s33, v2 src0_sel:BYTE_0 src1_sel:DWORD
	s_mov_b64 s[36:37], -1
	s_and_b64 vcc, exec, s[42:43]
	s_cbranch_vccz .LBB174_163
; %bb.162:
	s_mov_b64 s[40:41], -1
	s_mov_b64 s[36:37], 0
	global_store_byte v[6:7], v9, off
.LBB174_163:
	s_branch .LBB174_113
.LBB174_164:
	v_mov_b32_e32 v2, 5
	v_cmp_lt_i16_sdwa s[42:43], s33, v2 src0_sel:BYTE_0 src1_sel:DWORD
	s_mov_b64 s[40:41], -1
	s_and_b64 vcc, exec, s[42:43]
	s_cbranch_vccnz .LBB174_185
; %bb.165:
	v_mov_b32_e32 v2, 8
	v_cmp_lt_i16_sdwa s[42:43], s33, v2 src0_sel:BYTE_0 src1_sel:DWORD
	s_and_b64 vcc, exec, s[42:43]
	s_cbranch_vccnz .LBB174_175
; %bb.166:
	v_mov_b32_e32 v2, 9
	v_cmp_lt_i16_sdwa s[42:43], s33, v2 src0_sel:BYTE_0 src1_sel:DWORD
	s_and_b64 vcc, exec, s[42:43]
	s_cbranch_vccnz .LBB174_172
; %bb.167:
	v_cmp_gt_i16_sdwa s[42:43], s33, v2 src0_sel:BYTE_0 src1_sel:DWORD
	s_and_b64 vcc, exec, s[42:43]
	s_cbranch_vccz .LBB174_169
; %bb.168:
	v_mov_b32_e32 v2, 0
	v_mov_b32_e32 v3, v2
	s_mov_b64 s[40:41], 0
	global_store_dwordx4 v[6:7], v[0:3], off
.LBB174_169:
	s_andn2_b64 vcc, exec, s[40:41]
	s_cbranch_vccnz .LBB174_171
; %bb.170:
	v_mov_b32_e32 v5, 0
	global_store_dwordx2 v[6:7], v[4:5], off
.LBB174_171:
	s_mov_b64 s[40:41], 0
.LBB174_172:
	s_andn2_b64 vcc, exec, s[40:41]
	s_cbranch_vccnz .LBB174_174
; %bb.173:
	global_store_dword v[6:7], v8, off
.LBB174_174:
	s_mov_b64 s[40:41], 0
.LBB174_175:
	s_andn2_b64 vcc, exec, s[40:41]
	s_cbranch_vccnz .LBB174_184
; %bb.176:
	v_mov_b32_e32 v2, 6
	v_cmp_lt_i16_sdwa s[42:43], s33, v2 src0_sel:BYTE_0 src1_sel:DWORD
	s_mov_b64 s[40:41], -1
	s_and_b64 vcc, exec, s[42:43]
	s_cbranch_vccnz .LBB174_182
; %bb.177:
	v_cmp_gt_i16_sdwa s[42:43], s33, v2 src0_sel:BYTE_0 src1_sel:DWORD
	s_and_b64 vcc, exec, s[42:43]
	s_cbranch_vccz .LBB174_179
; %bb.178:
	s_mov_b64 s[40:41], 0
	global_store_dwordx2 v[6:7], v[0:1], off
.LBB174_179:
	s_andn2_b64 vcc, exec, s[40:41]
	s_cbranch_vccnz .LBB174_181
; %bb.180:
	global_store_dword v[6:7], v4, off
.LBB174_181:
	s_mov_b64 s[40:41], 0
.LBB174_182:
	s_andn2_b64 vcc, exec, s[40:41]
	s_cbranch_vccnz .LBB174_184
; %bb.183:
	global_store_short v[6:7], v8, off
.LBB174_184:
	s_mov_b64 s[40:41], 0
.LBB174_185:
	s_andn2_b64 vcc, exec, s[40:41]
	s_cbranch_vccnz .LBB174_201
; %bb.186:
	v_mov_b32_e32 v2, 2
	v_cmp_lt_i16_sdwa s[42:43], s33, v2 src0_sel:BYTE_0 src1_sel:DWORD
	s_mov_b64 s[40:41], -1
	s_and_b64 vcc, exec, s[42:43]
	s_cbranch_vccnz .LBB174_196
; %bb.187:
	v_mov_b32_e32 v2, 3
	v_cmp_lt_i16_sdwa s[42:43], s33, v2 src0_sel:BYTE_0 src1_sel:DWORD
	s_and_b64 vcc, exec, s[42:43]
	s_cbranch_vccnz .LBB174_193
; %bb.188:
	v_cmp_gt_i16_sdwa s[42:43], s33, v2 src0_sel:BYTE_0 src1_sel:DWORD
	s_and_b64 vcc, exec, s[42:43]
	s_cbranch_vccz .LBB174_190
; %bb.189:
	v_pk_mov_b32 v[2:3], s[18:19], s[18:19] op_sel:[0,1]
	s_mov_b64 s[40:41], 0
	global_store_dwordx2 v[6:7], v[2:3], off
.LBB174_190:
	s_andn2_b64 vcc, exec, s[40:41]
	s_cbranch_vccnz .LBB174_192
; %bb.191:
	v_mov_b32_e32 v2, s18
	global_store_dword v[6:7], v2, off
.LBB174_192:
	s_mov_b64 s[40:41], 0
.LBB174_193:
	s_andn2_b64 vcc, exec, s[40:41]
	s_cbranch_vccnz .LBB174_195
; %bb.194:
	v_mov_b32_e32 v2, s18
	global_store_short v[6:7], v2, off
.LBB174_195:
	s_mov_b64 s[40:41], 0
.LBB174_196:
	s_andn2_b64 vcc, exec, s[40:41]
	s_cbranch_vccnz .LBB174_201
; %bb.197:
	v_mov_b32_e32 v2, 0
	v_cmp_gt_i16_sdwa s[42:43], s33, v2 src0_sel:BYTE_0 src1_sel:DWORD
	s_mov_b64 s[40:41], -1
	s_and_b64 vcc, exec, s[42:43]
	s_cbranch_vccz .LBB174_199
; %bb.198:
	v_mov_b32_e32 v2, s18
	s_mov_b64 s[40:41], 0
	global_store_byte v[6:7], v2, off
.LBB174_199:
	s_andn2_b64 vcc, exec, s[40:41]
	s_cbranch_vccnz .LBB174_201
; %bb.200:
	v_mov_b32_e32 v2, s18
	global_store_byte v[6:7], v2, off
.LBB174_201:
	s_branch .LBB174_114
.LBB174_202:
	s_mov_b64 s[40:41], 0
                                        ; implicit-def: $vgpr22
.LBB174_203:
	s_andn2_b64 s[42:43], s[30:31], exec
	s_and_b64 s[36:37], s[36:37], exec
	s_or_b64 s[36:37], s[42:43], s[36:37]
	s_orn2_b64 s[42:43], s[40:41], exec
.LBB174_204:
	s_or_b64 exec, exec, s[38:39]
	s_mov_b64 s[44:45], 0
	s_mov_b64 s[40:41], 0
                                        ; implicit-def: $vgpr23
                                        ; implicit-def: $vgpr6_vgpr7
	s_and_saveexec_b64 s[38:39], s[42:43]
	s_cbranch_execz .LBB174_363
; %bb.205:
	v_cmp_gt_i32_e32 vcc, s48, v22
	s_mov_b64 s[46:47], -1
	s_mov_b64 s[42:43], s[36:37]
	s_and_saveexec_b64 s[40:41], vcc
	s_cbranch_execz .LBB174_306
; %bb.206:
	v_mul_lo_u32 v2, v22, s52
	v_ashrrev_i32_e32 v3, 31, v2
	v_mov_b32_e32 v5, s21
	v_add_co_u32_e32 v6, vcc, s20, v2
	v_mov_b32_e32 v2, 11
	v_addc_co_u32_e32 v7, vcc, v5, v3, vcc
	v_cmp_lt_i16_sdwa s[42:43], s33, v2 src0_sel:BYTE_0 src1_sel:DWORD
	s_and_b64 vcc, exec, s[42:43]
	s_cbranch_vccnz .LBB174_213
; %bb.207:
	v_mov_b32_e32 v2, 25
	v_cmp_gt_i16_sdwa s[42:43], s33, v2 src0_sel:BYTE_0 src1_sel:DWORD
	s_and_b64 vcc, exec, s[42:43]
	s_cbranch_vccz .LBB174_214
; %bb.208:
	v_mov_b32_e32 v2, 28
	v_cmp_gt_i16_sdwa s[42:43], s33, v2 src0_sel:BYTE_0 src1_sel:DWORD
	s_and_b64 vcc, exec, s[42:43]
	s_cbranch_vccz .LBB174_215
	;; [unrolled: 5-line block ×4, first 2 shown]
; %bb.211:
	v_mov_b32_e32 v2, 46
	v_cmp_eq_u16_sdwa s[44:45], s33, v2 src0_sel:BYTE_0 src1_sel:DWORD
	s_mov_b64 s[46:47], 0
	s_mov_b64 s[42:43], -1
	s_and_b64 vcc, exec, s[44:45]
	s_mov_b64 s[44:45], 0
	s_cbranch_vccz .LBB174_218
; %bb.212:
	global_store_dword v[6:7], v10, off
	s_mov_b64 s[44:45], -1
	s_mov_b64 s[42:43], 0
	s_branch .LBB174_218
.LBB174_213:
	s_mov_b64 s[42:43], s[36:37]
	s_branch .LBB174_263
.LBB174_214:
	s_mov_b64 s[42:43], s[36:37]
	s_branch .LBB174_240
.LBB174_215:
	s_mov_b64 s[42:43], s[36:37]
	s_branch .LBB174_226
.LBB174_216:
	s_mov_b64 s[42:43], s[36:37]
	s_branch .LBB174_222
.LBB174_217:
	s_mov_b64 s[42:43], s[36:37]
.LBB174_218:
	s_and_b64 vcc, exec, s[46:47]
	s_cbranch_vccz .LBB174_221
; %bb.219:
	v_mov_b32_e32 v2, 44
	v_cmp_eq_u16_sdwa s[46:47], s33, v2 src0_sel:BYTE_0 src1_sel:DWORD
	s_mov_b64 s[42:43], -1
	s_and_b64 vcc, exec, s[46:47]
	s_cbranch_vccz .LBB174_221
; %bb.220:
	v_mov_b32_e32 v2, 0xff
	v_cndmask_b32_e64 v2, v21, v2, s[16:17]
	s_mov_b64 s[44:45], -1
	s_mov_b64 s[42:43], 0
	global_store_byte v[6:7], v2, off
.LBB174_221:
	s_mov_b64 s[46:47], 0
.LBB174_222:
	s_and_b64 vcc, exec, s[46:47]
	s_cbranch_vccz .LBB174_225
; %bb.223:
	v_mov_b32_e32 v2, 29
	v_cmp_eq_u16_sdwa s[46:47], s33, v2 src0_sel:BYTE_0 src1_sel:DWORD
	s_mov_b64 s[42:43], -1
	s_and_b64 vcc, exec, s[46:47]
	s_cbranch_vccz .LBB174_225
; %bb.224:
	v_pk_mov_b32 v[2:3], s[18:19], s[18:19] op_sel:[0,1]
	global_store_dwordx2 v[6:7], v[2:3], off
	s_mov_b64 s[44:45], -1
	s_mov_b64 s[42:43], 0
.LBB174_225:
	s_mov_b64 s[46:47], 0
.LBB174_226:
	s_and_b64 vcc, exec, s[46:47]
	s_cbranch_vccz .LBB174_239
; %bb.227:
	v_mov_b32_e32 v2, 27
	v_cmp_lt_i16_sdwa s[46:47], s33, v2 src0_sel:BYTE_0 src1_sel:DWORD
	s_mov_b64 s[44:45], -1
	s_and_b64 vcc, exec, s[46:47]
	s_cbranch_vccnz .LBB174_233
; %bb.228:
	v_cmp_gt_i16_sdwa s[46:47], s33, v2 src0_sel:BYTE_0 src1_sel:DWORD
	s_and_b64 vcc, exec, s[46:47]
	s_cbranch_vccz .LBB174_230
; %bb.229:
	v_mov_b32_e32 v2, s18
	s_mov_b64 s[44:45], 0
	global_store_dword v[6:7], v2, off
.LBB174_230:
	s_andn2_b64 vcc, exec, s[44:45]
	s_cbranch_vccnz .LBB174_232
; %bb.231:
	v_mov_b32_e32 v2, s18
	global_store_short v[6:7], v2, off
.LBB174_232:
	s_mov_b64 s[44:45], 0
.LBB174_233:
	s_andn2_b64 vcc, exec, s[44:45]
	s_cbranch_vccnz .LBB174_238
; %bb.234:
	s_andn2_b64 vcc, exec, s[14:15]
	v_mov_b32_e32 v2, 0x80
	s_cbranch_vccnz .LBB174_237
; %bb.235:
	s_or_b64 s[44:45], s[12:13], s[28:29]
	s_andn2_b64 vcc, exec, s[44:45]
	v_mov_b32_e32 v2, 0
	s_cbranch_vccnz .LBB174_237
; %bb.236:
	v_cndmask_b32_e64 v2, v20, v19, s[12:13]
.LBB174_237:
	global_store_byte v[6:7], v2, off
.LBB174_238:
	s_mov_b64 s[44:45], -1
.LBB174_239:
	s_mov_b64 s[46:47], 0
.LBB174_240:
	s_and_b64 vcc, exec, s[46:47]
	s_cbranch_vccz .LBB174_262
; %bb.241:
	v_mov_b32_e32 v2, 22
	v_cmp_gt_i16_sdwa s[50:51], s33, v2 src0_sel:BYTE_0 src1_sel:DWORD
	s_mov_b64 s[46:47], -1
	s_and_b64 vcc, exec, s[50:51]
	s_cbranch_vccz .LBB174_254
; %bb.242:
	v_mov_b32_e32 v2, 24
	v_cmp_lt_i16_sdwa s[46:47], s33, v2 src0_sel:BYTE_0 src1_sel:DWORD
	s_mov_b64 s[44:45], -1
	s_and_b64 vcc, exec, s[46:47]
	s_cbranch_vccnz .LBB174_251
; %bb.243:
	v_cmp_gt_i16_sdwa s[46:47], s33, v2 src0_sel:BYTE_0 src1_sel:DWORD
	s_and_b64 vcc, exec, s[46:47]
	s_cbranch_vccz .LBB174_248
; %bb.244:
	s_andn2_b64 vcc, exec, s[10:11]
	v_mov_b32_e32 v2, 0x80
	s_cbranch_vccnz .LBB174_247
; %bb.245:
	s_or_b64 s[44:45], s[8:9], s[26:27]
	s_andn2_b64 vcc, exec, s[44:45]
	v_mov_b32_e32 v2, 0
	s_cbranch_vccnz .LBB174_247
; %bb.246:
	v_cndmask_b32_e64 v2, v17, v16, s[8:9]
.LBB174_247:
	s_mov_b64 s[44:45], 0
	global_store_byte v[6:7], v2, off
.LBB174_248:
	s_and_b64 vcc, exec, s[44:45]
	s_cbranch_vccz .LBB174_250
; %bb.249:
	v_cndmask_b32_e64 v2, v14, v15, s[6:7]
	v_cndmask_b32_e64 v2, v2, v18, s[4:5]
	global_store_byte v[6:7], v2, off
.LBB174_250:
	s_mov_b64 s[44:45], 0
.LBB174_251:
	s_andn2_b64 vcc, exec, s[44:45]
	s_cbranch_vccnz .LBB174_253
; %bb.252:
	v_cndmask_b32_e64 v2, v11, v12, s[2:3]
	v_cndmask_b32_e64 v2, v2, v13, s[0:1]
	global_store_byte v[6:7], v2, off
.LBB174_253:
	s_mov_b64 s[46:47], 0
	s_mov_b64 s[44:45], -1
.LBB174_254:
	s_andn2_b64 vcc, exec, s[46:47]
	s_cbranch_vccnz .LBB174_262
; %bb.255:
	v_mov_b32_e32 v2, 14
	v_cmp_gt_i16_sdwa s[50:51], s33, v2 src0_sel:BYTE_0 src1_sel:DWORD
	s_mov_b64 s[46:47], -1
	s_and_b64 vcc, exec, s[50:51]
	s_cbranch_vccz .LBB174_259
; %bb.256:
	v_mov_b32_e32 v2, 15
	v_cmp_eq_u16_sdwa s[46:47], s33, v2 src0_sel:BYTE_0 src1_sel:DWORD
	s_mov_b64 s[42:43], -1
	s_and_b64 vcc, exec, s[46:47]
	s_cbranch_vccz .LBB174_258
; %bb.257:
	global_store_short v[6:7], v10, off
	s_mov_b64 s[44:45], -1
	s_mov_b64 s[42:43], 0
.LBB174_258:
	s_mov_b64 s[46:47], 0
.LBB174_259:
	s_and_b64 vcc, exec, s[46:47]
	s_cbranch_vccz .LBB174_262
; %bb.260:
	v_mov_b32_e32 v2, 11
	v_cmp_eq_u16_sdwa s[46:47], s33, v2 src0_sel:BYTE_0 src1_sel:DWORD
	s_mov_b64 s[42:43], -1
	s_and_b64 vcc, exec, s[46:47]
	s_cbranch_vccz .LBB174_262
; %bb.261:
	s_mov_b64 s[44:45], -1
	s_mov_b64 s[42:43], 0
	global_store_byte v[6:7], v9, off
.LBB174_262:
	s_mov_b64 s[46:47], 0
.LBB174_263:
	s_and_b64 vcc, exec, s[46:47]
	s_cbranch_vccz .LBB174_302
; %bb.264:
	v_mov_b32_e32 v2, 5
	v_cmp_lt_i16_sdwa s[46:47], s33, v2 src0_sel:BYTE_0 src1_sel:DWORD
	s_mov_b64 s[44:45], -1
	s_and_b64 vcc, exec, s[46:47]
	s_cbranch_vccnz .LBB174_285
; %bb.265:
	v_mov_b32_e32 v2, 8
	v_cmp_lt_i16_sdwa s[46:47], s33, v2 src0_sel:BYTE_0 src1_sel:DWORD
	s_and_b64 vcc, exec, s[46:47]
	s_cbranch_vccnz .LBB174_275
; %bb.266:
	v_mov_b32_e32 v2, 9
	v_cmp_lt_i16_sdwa s[46:47], s33, v2 src0_sel:BYTE_0 src1_sel:DWORD
	s_and_b64 vcc, exec, s[46:47]
	s_cbranch_vccnz .LBB174_272
; %bb.267:
	v_cmp_gt_i16_sdwa s[46:47], s33, v2 src0_sel:BYTE_0 src1_sel:DWORD
	s_and_b64 vcc, exec, s[46:47]
	s_cbranch_vccz .LBB174_269
; %bb.268:
	v_mov_b32_e32 v2, 0
	v_mov_b32_e32 v3, v2
	s_mov_b64 s[44:45], 0
	global_store_dwordx4 v[6:7], v[0:3], off
.LBB174_269:
	s_andn2_b64 vcc, exec, s[44:45]
	s_cbranch_vccnz .LBB174_271
; %bb.270:
	v_mov_b32_e32 v5, 0
	global_store_dwordx2 v[6:7], v[4:5], off
.LBB174_271:
	s_mov_b64 s[44:45], 0
.LBB174_272:
	s_andn2_b64 vcc, exec, s[44:45]
	s_cbranch_vccnz .LBB174_274
; %bb.273:
	global_store_dword v[6:7], v8, off
.LBB174_274:
	s_mov_b64 s[44:45], 0
.LBB174_275:
	s_andn2_b64 vcc, exec, s[44:45]
	s_cbranch_vccnz .LBB174_284
; %bb.276:
	v_mov_b32_e32 v2, 6
	v_cmp_lt_i16_sdwa s[46:47], s33, v2 src0_sel:BYTE_0 src1_sel:DWORD
	s_mov_b64 s[44:45], -1
	s_and_b64 vcc, exec, s[46:47]
	s_cbranch_vccnz .LBB174_282
; %bb.277:
	v_cmp_gt_i16_sdwa s[46:47], s33, v2 src0_sel:BYTE_0 src1_sel:DWORD
	s_and_b64 vcc, exec, s[46:47]
	s_cbranch_vccz .LBB174_279
; %bb.278:
	s_mov_b64 s[44:45], 0
	global_store_dwordx2 v[6:7], v[0:1], off
.LBB174_279:
	s_andn2_b64 vcc, exec, s[44:45]
	s_cbranch_vccnz .LBB174_281
; %bb.280:
	global_store_dword v[6:7], v4, off
.LBB174_281:
	s_mov_b64 s[44:45], 0
.LBB174_282:
	s_andn2_b64 vcc, exec, s[44:45]
	s_cbranch_vccnz .LBB174_284
; %bb.283:
	global_store_short v[6:7], v8, off
.LBB174_284:
	s_mov_b64 s[44:45], 0
.LBB174_285:
	s_andn2_b64 vcc, exec, s[44:45]
	s_cbranch_vccnz .LBB174_301
; %bb.286:
	v_mov_b32_e32 v2, 2
	v_cmp_lt_i16_sdwa s[46:47], s33, v2 src0_sel:BYTE_0 src1_sel:DWORD
	s_mov_b64 s[44:45], -1
	s_and_b64 vcc, exec, s[46:47]
	s_cbranch_vccnz .LBB174_296
; %bb.287:
	v_mov_b32_e32 v2, 3
	v_cmp_lt_i16_sdwa s[46:47], s33, v2 src0_sel:BYTE_0 src1_sel:DWORD
	s_and_b64 vcc, exec, s[46:47]
	s_cbranch_vccnz .LBB174_293
; %bb.288:
	v_cmp_gt_i16_sdwa s[46:47], s33, v2 src0_sel:BYTE_0 src1_sel:DWORD
	s_and_b64 vcc, exec, s[46:47]
	s_cbranch_vccz .LBB174_290
; %bb.289:
	v_pk_mov_b32 v[2:3], s[18:19], s[18:19] op_sel:[0,1]
	s_mov_b64 s[44:45], 0
	global_store_dwordx2 v[6:7], v[2:3], off
.LBB174_290:
	s_andn2_b64 vcc, exec, s[44:45]
	s_cbranch_vccnz .LBB174_292
; %bb.291:
	v_mov_b32_e32 v2, s18
	global_store_dword v[6:7], v2, off
.LBB174_292:
	s_mov_b64 s[44:45], 0
.LBB174_293:
	s_andn2_b64 vcc, exec, s[44:45]
	s_cbranch_vccnz .LBB174_295
; %bb.294:
	v_mov_b32_e32 v2, s18
	global_store_short v[6:7], v2, off
.LBB174_295:
	s_mov_b64 s[44:45], 0
.LBB174_296:
	s_andn2_b64 vcc, exec, s[44:45]
	s_cbranch_vccnz .LBB174_301
; %bb.297:
	v_mov_b32_e32 v2, 0
	v_cmp_gt_i16_sdwa s[46:47], s33, v2 src0_sel:BYTE_0 src1_sel:DWORD
	s_mov_b64 s[44:45], -1
	s_and_b64 vcc, exec, s[46:47]
	s_cbranch_vccz .LBB174_299
; %bb.298:
	v_mov_b32_e32 v2, s18
	s_mov_b64 s[44:45], 0
	global_store_byte v[6:7], v2, off
.LBB174_299:
	s_andn2_b64 vcc, exec, s[44:45]
	s_cbranch_vccnz .LBB174_301
; %bb.300:
	v_mov_b32_e32 v2, s18
	global_store_byte v[6:7], v2, off
.LBB174_301:
	s_mov_b64 s[44:45], -1
.LBB174_302:
	s_andn2_b64 vcc, exec, s[44:45]
	s_cbranch_vccnz .LBB174_304
; %bb.303:
	v_add_u32_e32 v22, 0x80, v22
	s_mov_b64 s[44:45], -1
	s_branch .LBB174_305
.LBB174_304:
	s_mov_b64 s[44:45], 0
                                        ; implicit-def: $vgpr22
.LBB174_305:
	s_andn2_b64 s[46:47], s[36:37], exec
	s_and_b64 s[42:43], s[42:43], exec
	s_or_b64 s[42:43], s[46:47], s[42:43]
	s_orn2_b64 s[46:47], s[44:45], exec
.LBB174_306:
	s_or_b64 exec, exec, s[40:41]
	s_mov_b64 s[44:45], 0
	s_mov_b64 s[50:51], 0
                                        ; implicit-def: $vgpr23
                                        ; implicit-def: $vgpr6_vgpr7
	s_and_saveexec_b64 s[40:41], s[46:47]
	s_cbranch_execz .LBB174_362
; %bb.307:
	v_cmp_gt_i32_e32 vcc, s48, v22
	s_mov_b64 s[48:49], 0
	s_mov_b64 s[46:47], s[42:43]
                                        ; implicit-def: $vgpr23
                                        ; implicit-def: $vgpr6_vgpr7
	s_and_saveexec_b64 s[44:45], vcc
	s_cbranch_execz .LBB174_361
; %bb.308:
	v_mul_lo_u32 v2, v22, s52
	v_ashrrev_i32_e32 v3, 31, v2
	v_mov_b32_e32 v5, s21
	v_add_co_u32_e32 v6, vcc, s20, v2
	v_mov_b32_e32 v2, 0xff
	v_addc_co_u32_e32 v7, vcc, v5, v3, vcc
	v_and_b32_e32 v23, s33, v2
	v_cmp_gt_i16_e32 vcc, 11, v23
	s_cbranch_vccnz .LBB174_358
; %bb.309:
	v_cmp_lt_i16_e32 vcc, 25, v23
	s_mov_b64 s[48:49], -1
	s_mov_b64 s[46:47], s[42:43]
	s_cbranch_vccz .LBB174_337
; %bb.310:
	v_cmp_lt_i16_e32 vcc, 28, v23
	s_mov_b64 s[46:47], s[42:43]
	s_cbranch_vccz .LBB174_324
; %bb.311:
	v_cmp_lt_i16_e32 vcc, 43, v23
	;; [unrolled: 4-line block ×3, first 2 shown]
	s_mov_b64 s[46:47], s[42:43]
	s_cbranch_vccz .LBB174_316
; %bb.313:
	v_cmp_eq_u16_e32 vcc, 46, v23
	s_mov_b64 s[46:47], -1
	s_cbranch_vccz .LBB174_315
; %bb.314:
	global_store_dword v[6:7], v10, off
	s_mov_b64 s[46:47], 0
.LBB174_315:
	s_mov_b64 s[48:49], 0
.LBB174_316:
	s_and_b64 vcc, exec, s[48:49]
	s_cbranch_vccz .LBB174_319
; %bb.317:
	v_cmp_eq_u16_e32 vcc, 44, v23
	s_mov_b64 s[46:47], -1
	s_cbranch_vccz .LBB174_319
; %bb.318:
	v_mov_b32_e32 v2, 0xff
	v_cndmask_b32_e64 v2, v21, v2, s[16:17]
	global_store_byte v[6:7], v2, off
	s_mov_b64 s[46:47], 0
.LBB174_319:
	s_mov_b64 s[48:49], 0
.LBB174_320:
	s_and_b64 vcc, exec, s[48:49]
	s_cbranch_vccz .LBB174_323
; %bb.321:
	v_cmp_eq_u16_e32 vcc, 29, v23
	s_mov_b64 s[46:47], -1
	s_cbranch_vccz .LBB174_323
; %bb.322:
	v_pk_mov_b32 v[2:3], s[18:19], s[18:19] op_sel:[0,1]
	global_store_dwordx2 v[6:7], v[2:3], off
	s_mov_b64 s[46:47], 0
.LBB174_323:
	s_mov_b64 s[48:49], 0
.LBB174_324:
	s_and_b64 vcc, exec, s[48:49]
	s_cbranch_vccz .LBB174_336
; %bb.325:
	v_cmp_gt_i16_e32 vcc, 27, v23
	s_mov_b64 s[16:17], -1
	s_cbranch_vccnz .LBB174_331
; %bb.326:
	v_cmp_lt_i16_e32 vcc, 27, v23
	s_cbranch_vccz .LBB174_328
; %bb.327:
	v_mov_b32_e32 v2, s18
	s_mov_b64 s[16:17], 0
	global_store_dword v[6:7], v2, off
.LBB174_328:
	s_andn2_b64 vcc, exec, s[16:17]
	s_cbranch_vccnz .LBB174_330
; %bb.329:
	v_mov_b32_e32 v2, s18
	global_store_short v[6:7], v2, off
.LBB174_330:
	s_mov_b64 s[16:17], 0
.LBB174_331:
	s_andn2_b64 vcc, exec, s[16:17]
	s_cbranch_vccnz .LBB174_336
; %bb.332:
	s_andn2_b64 vcc, exec, s[14:15]
	v_mov_b32_e32 v2, 0x80
	s_cbranch_vccnz .LBB174_335
; %bb.333:
	s_or_b64 s[14:15], s[12:13], s[28:29]
	s_andn2_b64 vcc, exec, s[14:15]
	v_mov_b32_e32 v2, 0
	s_cbranch_vccnz .LBB174_335
; %bb.334:
	v_cndmask_b32_e64 v2, v20, v19, s[12:13]
.LBB174_335:
	global_store_byte v[6:7], v2, off
.LBB174_336:
	s_mov_b64 s[48:49], 0
.LBB174_337:
	s_mov_b64 s[12:13], 0
	s_and_b64 vcc, exec, s[48:49]
	s_cbranch_vccz .LBB174_359
; %bb.338:
	v_cmp_lt_i16_e32 vcc, 22, v23
	s_mov_b64 s[14:15], -1
	s_cbranch_vccz .LBB174_351
; %bb.339:
	v_cmp_gt_i16_e32 vcc, 24, v23
	s_cbranch_vccnz .LBB174_348
; %bb.340:
	v_cmp_lt_i16_e32 vcc, 24, v23
	s_cbranch_vccz .LBB174_345
; %bb.341:
	s_andn2_b64 vcc, exec, s[10:11]
	v_mov_b32_e32 v2, 0x80
	s_cbranch_vccnz .LBB174_344
; %bb.342:
	s_or_b64 s[10:11], s[8:9], s[26:27]
	s_andn2_b64 vcc, exec, s[10:11]
	v_mov_b32_e32 v2, 0
	s_cbranch_vccnz .LBB174_344
; %bb.343:
	v_cndmask_b32_e64 v2, v17, v16, s[8:9]
.LBB174_344:
	s_mov_b64 s[14:15], 0
	global_store_byte v[6:7], v2, off
.LBB174_345:
	s_and_b64 vcc, exec, s[14:15]
	s_cbranch_vccz .LBB174_347
; %bb.346:
	v_cndmask_b32_e64 v2, v14, v15, s[6:7]
	v_cndmask_b32_e64 v2, v2, v18, s[4:5]
	global_store_byte v[6:7], v2, off
.LBB174_347:
	s_mov_b64 s[14:15], 0
.LBB174_348:
	s_andn2_b64 vcc, exec, s[14:15]
	s_cbranch_vccnz .LBB174_350
; %bb.349:
	v_cndmask_b32_e64 v2, v11, v12, s[2:3]
	v_cndmask_b32_e64 v2, v2, v13, s[0:1]
	global_store_byte v[6:7], v2, off
.LBB174_350:
	s_mov_b64 s[14:15], 0
.LBB174_351:
	s_andn2_b64 vcc, exec, s[14:15]
	s_mov_b64 s[0:1], 0
	s_cbranch_vccnz .LBB174_360
; %bb.352:
	v_cmp_lt_i16_e32 vcc, 14, v23
	s_mov_b64 s[2:3], -1
	s_cbranch_vccz .LBB174_356
; %bb.353:
	v_cmp_eq_u16_e32 vcc, 15, v23
	s_mov_b64 s[46:47], -1
	s_cbranch_vccz .LBB174_355
; %bb.354:
	global_store_short v[6:7], v10, off
	s_mov_b64 s[46:47], 0
.LBB174_355:
	s_mov_b64 s[2:3], 0
.LBB174_356:
	s_and_b64 vcc, exec, s[2:3]
	s_cbranch_vccz .LBB174_360
; %bb.357:
	v_cmp_ne_u16_e32 vcc, 11, v23
	s_andn2_b64 s[2:3], s[46:47], exec
	s_and_b64 s[4:5], vcc, exec
	s_mov_b64 s[0:1], -1
	s_or_b64 s[46:47], s[2:3], s[4:5]
	s_branch .LBB174_360
.LBB174_358:
	s_mov_b64 s[0:1], 0
	s_mov_b64 s[12:13], -1
	s_mov_b64 s[46:47], s[42:43]
	s_branch .LBB174_360
.LBB174_359:
	s_mov_b64 s[0:1], 0
.LBB174_360:
	s_and_b64 s[48:49], s[0:1], exec
	s_andn2_b64 s[0:1], s[42:43], exec
	s_and_b64 s[2:3], s[46:47], exec
	s_and_b64 s[50:51], s[12:13], exec
	s_or_b64 s[46:47], s[0:1], s[2:3]
.LBB174_361:
	s_or_b64 exec, exec, s[44:45]
	s_andn2_b64 s[0:1], s[42:43], exec
	s_and_b64 s[2:3], s[46:47], exec
	s_and_b64 s[50:51], s[50:51], exec
	;; [unrolled: 1-line block ×3, first 2 shown]
	s_or_b64 s[42:43], s[0:1], s[2:3]
.LBB174_362:
	s_or_b64 exec, exec, s[40:41]
	s_andn2_b64 s[0:1], s[36:37], exec
	s_and_b64 s[2:3], s[42:43], exec
	s_and_b64 s[40:41], s[50:51], exec
	;; [unrolled: 1-line block ×3, first 2 shown]
	s_or_b64 s[36:37], s[0:1], s[2:3]
.LBB174_363:
	s_or_b64 exec, exec, s[38:39]
	s_andn2_b64 s[0:1], s[30:31], exec
	s_and_b64 s[2:3], s[36:37], exec
	s_and_b64 s[40:41], s[40:41], exec
	;; [unrolled: 1-line block ×3, first 2 shown]
	s_or_b64 s[30:31], s[0:1], s[2:3]
	s_or_b64 exec, exec, s[34:35]
	s_mov_b64 s[0:1], 0
	s_and_saveexec_b64 s[2:3], s[30:31]
	s_cbranch_execz .LBB174_110
.LBB174_364:
	s_mov_b64 s[0:1], exec
	s_andn2_b64 s[38:39], s[38:39], exec
	s_trap 2
	s_or_b64 exec, exec, s[2:3]
	s_and_saveexec_b64 s[2:3], s[38:39]
	s_xor_b64 s[2:3], exec, s[2:3]
	s_cbranch_execnz .LBB174_111
.LBB174_365:
	s_or_b64 exec, exec, s[2:3]
	s_and_saveexec_b64 s[2:3], s[40:41]
	s_xor_b64 s[2:3], exec, s[2:3]
	s_cbranch_execz .LBB174_403
.LBB174_366:
	v_cmp_gt_i16_e32 vcc, 5, v23
	s_mov_b64 s[4:5], -1
	s_cbranch_vccnz .LBB174_387
; %bb.367:
	v_cmp_gt_i16_e32 vcc, 8, v23
	s_cbranch_vccnz .LBB174_377
; %bb.368:
	v_cmp_gt_i16_e32 vcc, 9, v23
	s_cbranch_vccnz .LBB174_374
; %bb.369:
	v_cmp_lt_i16_e32 vcc, 9, v23
	s_cbranch_vccz .LBB174_371
; %bb.370:
	v_mov_b32_e32 v2, 0
	v_mov_b32_e32 v3, v2
	s_mov_b64 s[4:5], 0
	global_store_dwordx4 v[6:7], v[0:3], off
.LBB174_371:
	s_andn2_b64 vcc, exec, s[4:5]
	s_cbranch_vccnz .LBB174_373
; %bb.372:
	v_mov_b32_e32 v5, 0
	global_store_dwordx2 v[6:7], v[4:5], off
.LBB174_373:
	s_mov_b64 s[4:5], 0
.LBB174_374:
	s_andn2_b64 vcc, exec, s[4:5]
	s_cbranch_vccnz .LBB174_376
; %bb.375:
	global_store_dword v[6:7], v8, off
.LBB174_376:
	s_mov_b64 s[4:5], 0
.LBB174_377:
	s_andn2_b64 vcc, exec, s[4:5]
	s_cbranch_vccnz .LBB174_386
; %bb.378:
	v_cmp_gt_i16_e32 vcc, 6, v23
	s_mov_b64 s[4:5], -1
	s_cbranch_vccnz .LBB174_384
; %bb.379:
	v_cmp_lt_i16_e32 vcc, 6, v23
	s_cbranch_vccz .LBB174_381
; %bb.380:
	s_mov_b64 s[4:5], 0
	global_store_dwordx2 v[6:7], v[0:1], off
.LBB174_381:
	s_andn2_b64 vcc, exec, s[4:5]
	s_cbranch_vccnz .LBB174_383
; %bb.382:
	global_store_dword v[6:7], v4, off
.LBB174_383:
	s_mov_b64 s[4:5], 0
.LBB174_384:
	s_andn2_b64 vcc, exec, s[4:5]
	s_cbranch_vccnz .LBB174_386
; %bb.385:
	global_store_short v[6:7], v8, off
.LBB174_386:
	s_mov_b64 s[4:5], 0
.LBB174_387:
	s_andn2_b64 vcc, exec, s[4:5]
	s_cbranch_vccnz .LBB174_403
; %bb.388:
	v_cmp_gt_i16_e32 vcc, 2, v23
	s_mov_b64 s[4:5], -1
	s_cbranch_vccnz .LBB174_398
; %bb.389:
	v_cmp_gt_i16_e32 vcc, 3, v23
	s_cbranch_vccnz .LBB174_395
; %bb.390:
	v_cmp_lt_i16_e32 vcc, 3, v23
	s_cbranch_vccz .LBB174_392
; %bb.391:
	v_pk_mov_b32 v[0:1], s[18:19], s[18:19] op_sel:[0,1]
	s_mov_b64 s[4:5], 0
	global_store_dwordx2 v[6:7], v[0:1], off
.LBB174_392:
	s_andn2_b64 vcc, exec, s[4:5]
	s_cbranch_vccnz .LBB174_394
; %bb.393:
	v_mov_b32_e32 v0, s18
	global_store_dword v[6:7], v0, off
.LBB174_394:
	s_mov_b64 s[4:5], 0
.LBB174_395:
	s_andn2_b64 vcc, exec, s[4:5]
	s_cbranch_vccnz .LBB174_397
; %bb.396:
	v_mov_b32_e32 v0, s18
	global_store_short v[6:7], v0, off
.LBB174_397:
	s_mov_b64 s[4:5], 0
.LBB174_398:
	s_andn2_b64 vcc, exec, s[4:5]
	s_cbranch_vccnz .LBB174_403
; %bb.399:
	v_cmp_lt_i16_e32 vcc, 0, v23
	s_mov_b64 s[4:5], -1
	s_cbranch_vccz .LBB174_401
; %bb.400:
	v_mov_b32_e32 v0, s18
	s_mov_b64 s[4:5], 0
	global_store_byte v[6:7], v0, off
.LBB174_401:
	s_andn2_b64 vcc, exec, s[4:5]
	s_cbranch_vccnz .LBB174_403
; %bb.402:
	v_mov_b32_e32 v0, s18
	global_store_byte v[6:7], v0, off
.LBB174_403:
	s_or_b64 exec, exec, s[2:3]
	s_and_b64 s[0:1], s[0:1], exec
                                        ; implicit-def: $vgpr22
.LBB174_404:
	s_or_saveexec_b64 s[2:3], s[24:25]
	s_mov_b64 s[6:7], 0
                                        ; implicit-def: $vgpr2
                                        ; implicit-def: $vgpr0_vgpr1
	s_xor_b64 exec, exec, s[2:3]
	s_cbranch_execz .LBB174_412
; %bb.405:
	v_mul_lo_u32 v2, s52, v22
	v_ashrrev_i32_e32 v1, 31, v2
	v_mov_b32_e32 v3, s21
	v_add_co_u32_e32 v0, vcc, s20, v2
	v_addc_co_u32_e32 v1, vcc, v3, v1, vcc
	v_mov_b32_e32 v3, 11
	v_cmp_lt_i16_sdwa s[4:5], s33, v3 src0_sel:BYTE_0 src1_sel:DWORD
	s_and_b64 vcc, exec, s[4:5]
	s_cbranch_vccnz .LBB174_415
; %bb.406:
	v_mov_b32_e32 v3, 25
	v_cmp_gt_i16_sdwa s[4:5], s33, v3 src0_sel:BYTE_0 src1_sel:DWORD
	s_mov_b64 s[10:11], -1
	s_and_b64 vcc, exec, s[4:5]
	s_mov_b64 s[8:9], 0
	s_mov_b64 s[4:5], 0
	s_cbranch_vccz .LBB174_447
; %bb.407:
	v_mov_b32_e32 v3, 28
	v_cmp_gt_i16_sdwa s[4:5], s33, v3 src0_sel:BYTE_0 src1_sel:DWORD
	s_and_b64 vcc, exec, s[4:5]
	s_cbranch_vccz .LBB174_417
; %bb.408:
	v_mov_b32_e32 v3, 43
	v_cmp_gt_i16_sdwa s[4:5], s33, v3 src0_sel:BYTE_0 src1_sel:DWORD
	s_and_b64 vcc, exec, s[4:5]
	;; [unrolled: 5-line block ×3, first 2 shown]
	s_cbranch_vccz .LBB174_419
; %bb.410:
	v_mov_b32_e32 v3, 46
	v_cmp_eq_u16_sdwa s[8:9], s33, v3 src0_sel:BYTE_0 src1_sel:DWORD
	s_mov_b64 s[4:5], -1
	s_mov_b64 s[10:11], 0
	s_and_b64 vcc, exec, s[8:9]
	s_mov_b64 s[8:9], 0
	s_cbranch_vccz .LBB174_420
; %bb.411:
	s_flbit_i32_b32 s4, s19
	s_min_u32 s8, s4, 32
	s_lshl_b64 s[4:5], s[18:19], s8
	s_min_u32 s4, s4, 1
	s_or_b32 s4, s5, s4
	v_cvt_f32_u32_e32 v3, s4
	s_sub_i32 s8, 32, s8
	s_mov_b64 s[4:5], 0
	v_ldexp_f32 v3, v3, s8
	v_bfe_u32 v4, v3, 16, 1
	v_add_u32_e32 v3, v3, v4
	v_add_u32_e32 v3, 0x7fff, v3
	v_lshrrev_b32_e32 v3, 16, v3
	global_store_dword v[0:1], v3, off
	s_mov_b64 s[8:9], -1
	s_branch .LBB174_420
.LBB174_412:
	s_or_b64 exec, exec, s[2:3]
	s_and_saveexec_b64 s[2:3], s[0:1]
	s_cbranch_execz .LBB174_841
.LBB174_413:
	; divergent unreachable
	s_or_b64 exec, exec, s[2:3]
	s_and_saveexec_b64 s[0:1], s[22:23]
	s_xor_b64 s[0:1], exec, s[0:1]
	s_cbranch_execnz .LBB174_842
.LBB174_414:
	s_or_b64 exec, exec, s[0:1]
	s_and_saveexec_b64 s[0:1], s[6:7]
	s_cbranch_execnz .LBB174_843
	s_branch .LBB174_880
.LBB174_415:
	s_mov_b64 s[8:9], 0
	s_mov_b64 s[4:5], s[0:1]
	s_cbranch_execnz .LBB174_497
.LBB174_416:
	s_andn2_b64 vcc, exec, s[8:9]
	s_cbranch_vccz .LBB174_535
	s_branch .LBB174_839
.LBB174_417:
	s_mov_b64 s[4:5], 0
	s_and_b64 vcc, exec, s[10:11]
	s_cbranch_vccz .LBB174_446
	s_branch .LBB174_429
.LBB174_418:
	s_mov_b64 s[4:5], 0
	s_and_b64 vcc, exec, s[10:11]
	s_cbranch_vccnz .LBB174_426
	s_branch .LBB174_428
.LBB174_419:
	s_mov_b64 s[4:5], 0
.LBB174_420:
	s_and_b64 vcc, exec, s[10:11]
	s_cbranch_vccz .LBB174_425
; %bb.421:
	v_mov_b32_e32 v3, 44
	v_cmp_eq_u16_sdwa s[10:11], s33, v3 src0_sel:BYTE_0 src1_sel:DWORD
	s_mov_b64 s[4:5], -1
	s_and_b64 vcc, exec, s[10:11]
	s_cbranch_vccz .LBB174_425
; %bb.422:
	s_flbit_i32_b32 s4, s19
	s_min_u32 s8, s4, 32
	s_lshl_b64 s[4:5], s[18:19], s8
	s_min_u32 s4, s4, 1
	s_or_b32 s4, s5, s4
	v_cvt_f32_u32_e32 v3, s4
	s_sub_i32 s4, 32, s8
	v_ldexp_f32 v3, v3, s4
	v_readfirstlane_b32 s5, v3
	s_lshr_b32 s4, s5, 23
	s_cmpk_eq_i32 s4, 0xff
	v_mov_b32_e32 v3, 0xff
	s_cbranch_scc1 .LBB174_424
; %bb.423:
	s_bitcmp1_b32 s5, 22
	s_cselect_b64 s[8:9], -1, 0
	s_and_b32 s5, s5, 0x3fffff
	s_or_b32 s5, s4, s5
	s_cmp_lg_u32 s5, 0
	s_cselect_b64 s[10:11], -1, 0
	s_and_b64 s[8:9], s[8:9], s[10:11]
	v_cndmask_b32_e64 v3, 0, 1, s[8:9]
	v_add_u32_e32 v3, s4, v3
.LBB174_424:
	s_mov_b64 s[4:5], 0
	s_mov_b64 s[8:9], -1
	global_store_byte v[0:1], v3, off
.LBB174_425:
	s_branch .LBB174_428
.LBB174_426:
	v_mov_b32_e32 v3, 29
	v_cmp_eq_u16_sdwa s[10:11], s33, v3 src0_sel:BYTE_0 src1_sel:DWORD
	s_mov_b64 s[4:5], -1
	s_and_b64 vcc, exec, s[10:11]
	s_cbranch_vccz .LBB174_428
; %bb.427:
	v_pk_mov_b32 v[4:5], s[18:19], s[18:19] op_sel:[0,1]
	global_store_dwordx2 v[0:1], v[4:5], off
	s_mov_b64 s[4:5], 0
	s_mov_b64 s[8:9], -1
.LBB174_428:
	s_branch .LBB174_446
.LBB174_429:
	v_mov_b32_e32 v3, 27
	v_cmp_lt_i16_sdwa s[10:11], s33, v3 src0_sel:BYTE_0 src1_sel:DWORD
	s_mov_b64 s[8:9], -1
	s_and_b64 vcc, exec, s[10:11]
	s_cbranch_vccnz .LBB174_435
; %bb.430:
	v_cmp_gt_i16_sdwa s[10:11], s33, v3 src0_sel:BYTE_0 src1_sel:DWORD
	s_and_b64 vcc, exec, s[10:11]
	s_cbranch_vccz .LBB174_432
; %bb.431:
	v_mov_b32_e32 v3, s18
	s_mov_b64 s[8:9], 0
	global_store_dword v[0:1], v3, off
.LBB174_432:
	s_andn2_b64 vcc, exec, s[8:9]
	s_cbranch_vccnz .LBB174_434
; %bb.433:
	v_mov_b32_e32 v3, s18
	global_store_short v[0:1], v3, off
.LBB174_434:
	s_mov_b64 s[8:9], 0
.LBB174_435:
	s_andn2_b64 vcc, exec, s[8:9]
	s_cbranch_vccnz .LBB174_445
; %bb.436:
	s_flbit_i32_b32 s8, s19
	s_min_u32 s10, s8, 32
	s_lshl_b64 s[8:9], s[18:19], s10
	s_min_u32 s8, s8, 1
	s_or_b32 s8, s9, s8
	v_cvt_f32_u32_e32 v3, s8
	s_sub_i32 s8, 32, s10
	s_mov_b32 s9, 0x437fffff
	v_mov_b32_e32 v5, 0x80
	v_ldexp_f32 v3, v3, s8
	v_cmp_lt_u32_e32 vcc, s9, v3
	v_readfirstlane_b32 s8, v3
	s_cbranch_vccnz .LBB174_444
; %bb.437:
	s_cmp_gt_u32 s8, 0x3bffffff
	s_cbranch_scc0 .LBB174_439
; %bb.438:
	s_bfe_u32 s9, s8, 0x10014
	s_add_i32 s8, s8, s9
	s_add_i32 s8, s8, 0x487ffff
	s_lshr_b32 s12, s8, 20
	s_mov_b64 s[10:11], 0
	s_mov_b64 s[8:9], -1
	s_branch .LBB174_440
.LBB174_439:
	s_mov_b64 s[10:11], -1
	s_mov_b64 s[8:9], 0
                                        ; implicit-def: $sgpr12
.LBB174_440:
	s_andn2_b64 vcc, exec, s[10:11]
	v_mov_b32_e32 v4, s12
                                        ; implicit-def: $sgpr10
	s_cbranch_vccnz .LBB174_442
; %bb.441:
	v_add_f32_e32 v3, 0x46000000, v3
	v_and_b32_e32 v4, 0xff, v3
	s_mov_b32 s10, 0
	v_cmp_ne_u32_e64 s[8:9], 0, v4
.LBB174_442:
	s_andn2_b64 vcc, exec, s[8:9]
	v_mov_b32_e32 v5, s10
	s_cbranch_vccnz .LBB174_444
; %bb.443:
	v_mov_b32_e32 v5, v4
.LBB174_444:
	global_store_byte v[0:1], v5, off
.LBB174_445:
	s_mov_b64 s[8:9], -1
.LBB174_446:
	s_mov_b64 s[10:11], 0
.LBB174_447:
	s_and_b64 vcc, exec, s[10:11]
	s_cbranch_vccz .LBB174_493
; %bb.448:
	v_mov_b32_e32 v3, 22
	v_cmp_gt_i16_sdwa s[10:11], s33, v3 src0_sel:BYTE_0 src1_sel:DWORD
	s_mov_b64 s[6:7], -1
	s_and_b64 vcc, exec, s[10:11]
	s_cbranch_vccz .LBB174_486
; %bb.449:
	v_mov_b32_e32 v3, 24
	v_cmp_lt_i16_sdwa s[8:9], s33, v3 src0_sel:BYTE_0 src1_sel:DWORD
	s_and_b64 vcc, exec, s[8:9]
	s_cbranch_vccnz .LBB174_473
; %bb.450:
	v_cmp_gt_i16_sdwa s[8:9], s33, v3 src0_sel:BYTE_0 src1_sel:DWORD
	s_and_b64 vcc, exec, s[8:9]
	s_cbranch_vccz .LBB174_460
; %bb.451:
	s_flbit_i32_b32 s6, s19
	s_min_u32 s8, s6, 32
	s_lshl_b64 s[6:7], s[18:19], s8
	s_min_u32 s6, s6, 1
	s_or_b32 s6, s7, s6
	v_cvt_f32_u32_e32 v3, s6
	s_sub_i32 s6, 32, s8
	s_mov_b32 s7, 0x477fffff
	v_mov_b32_e32 v5, 0x80
	v_ldexp_f32 v3, v3, s6
	v_cmp_lt_u32_e32 vcc, s7, v3
	v_readfirstlane_b32 s6, v3
	s_cbranch_vccnz .LBB174_459
; %bb.452:
	s_cmp_gt_u32 s6, 0x37ffffff
	s_cbranch_scc0 .LBB174_454
; %bb.453:
	s_bfe_u32 s7, s6, 0x10015
	s_add_i32 s6, s6, s7
	s_add_i32 s6, s6, 0x88fffff
	s_lshr_b32 s10, s6, 21
	s_mov_b64 s[8:9], 0
	s_mov_b64 s[6:7], -1
	s_branch .LBB174_455
.LBB174_454:
	s_mov_b64 s[8:9], -1
	s_mov_b64 s[6:7], 0
                                        ; implicit-def: $sgpr10
.LBB174_455:
	s_andn2_b64 vcc, exec, s[8:9]
	v_mov_b32_e32 v4, s10
                                        ; implicit-def: $sgpr8
	s_cbranch_vccnz .LBB174_457
; %bb.456:
	v_add_f32_e32 v3, 0x42800000, v3
	v_and_b32_e32 v4, 0xff, v3
	s_mov_b32 s8, 0
	v_cmp_ne_u32_e64 s[6:7], 0, v4
.LBB174_457:
	s_andn2_b64 vcc, exec, s[6:7]
	v_mov_b32_e32 v5, s8
	s_cbranch_vccnz .LBB174_459
; %bb.458:
	v_mov_b32_e32 v5, v4
.LBB174_459:
	s_mov_b64 s[6:7], 0
	global_store_byte v[0:1], v5, off
.LBB174_460:
	s_and_b64 vcc, exec, s[6:7]
	s_cbranch_vccz .LBB174_472
; %bb.461:
	s_flbit_i32_b32 s6, s19
	s_min_u32 s8, s6, 32
	s_lshl_b64 s[6:7], s[18:19], s8
	s_min_u32 s6, s6, 1
	s_or_b32 s6, s7, s6
	v_cvt_f32_u32_e32 v3, s6
	s_sub_i32 s6, 32, s8
	v_ldexp_f32 v3, v3, s6
	s_mov_b32 s6, 0x43f00000
	v_cmp_gt_u32_e32 vcc, s6, v3
	v_readfirstlane_b32 s8, v3
	s_cbranch_vccz .LBB174_464
; %bb.462:
	s_cmp_gt_u32 s8, 0x3c7fffff
	s_cbranch_scc0 .LBB174_465
; %bb.463:
	s_bfe_u32 s6, s8, 0x10014
	s_add_i32 s6, s8, s6
	s_add_i32 s6, s6, 0x407ffff
	s_lshr_b32 s7, s6, 20
	s_and_b32 s6, s6, 0xff00000
	s_cmp_lg_u32 s6, 0x7f00000
	s_cselect_b32 s9, s7, 0x7e
	s_mov_b64 s[6:7], 0
	s_branch .LBB174_466
.LBB174_464:
	s_mov_b64 s[6:7], -1
                                        ; implicit-def: $vgpr4
	s_branch .LBB174_469
.LBB174_465:
	s_mov_b64 s[6:7], -1
                                        ; implicit-def: $sgpr9
.LBB174_466:
	s_andn2_b64 vcc, exec, s[6:7]
	v_mov_b32_e32 v4, s9
	s_cbranch_vccnz .LBB174_468
; %bb.467:
	v_add_f32_e32 v4, 0x46800000, v3
.LBB174_468:
	s_mov_b64 s[6:7], 0
.LBB174_469:
	s_andn2_b64 vcc, exec, s[6:7]
	s_cbranch_vccnz .LBB174_471
; %bb.470:
	s_cmp_gt_u32 s8, 0x7f800000
	s_movk_i32 s6, 0x7f
	s_cselect_b32 s6, s6, 0x7e
	v_mov_b32_e32 v4, s6
.LBB174_471:
	global_store_byte v[0:1], v4, off
.LBB174_472:
	s_mov_b64 s[6:7], 0
.LBB174_473:
	s_andn2_b64 vcc, exec, s[6:7]
	s_cbranch_vccnz .LBB174_485
; %bb.474:
	s_flbit_i32_b32 s6, s19
	s_min_u32 s8, s6, 32
	s_lshl_b64 s[6:7], s[18:19], s8
	s_min_u32 s6, s6, 1
	s_or_b32 s6, s7, s6
	v_cvt_f32_u32_e32 v3, s6
	s_sub_i32 s6, 32, s8
	v_ldexp_f32 v3, v3, s6
	s_mov_b32 s6, 0x47800000
	v_cmp_gt_u32_e32 vcc, s6, v3
	v_readfirstlane_b32 s8, v3
	s_cbranch_vccz .LBB174_477
; %bb.475:
	s_cmp_gt_u32 s8, 0x387fffff
	s_cbranch_scc0 .LBB174_478
; %bb.476:
	s_bfe_u32 s6, s8, 0x10015
	s_add_i32 s6, s8, s6
	s_add_i32 s6, s6, 0x80fffff
	s_lshr_b32 s9, s6, 21
	s_mov_b64 s[6:7], 0
	s_branch .LBB174_479
.LBB174_477:
	s_mov_b64 s[6:7], -1
                                        ; implicit-def: $vgpr4
	s_branch .LBB174_482
.LBB174_478:
	s_mov_b64 s[6:7], -1
                                        ; implicit-def: $sgpr9
.LBB174_479:
	s_andn2_b64 vcc, exec, s[6:7]
	v_mov_b32_e32 v4, s9
	s_cbranch_vccnz .LBB174_481
; %bb.480:
	v_add_f32_e32 v4, 0x43000000, v3
.LBB174_481:
	s_mov_b64 s[6:7], 0
.LBB174_482:
	s_andn2_b64 vcc, exec, s[6:7]
	s_cbranch_vccnz .LBB174_484
; %bb.483:
	s_cmp_gt_u32 s8, 0x7f800000
	s_movk_i32 s6, 0x7f
	s_cselect_b32 s6, s6, 0x7c
	v_mov_b32_e32 v4, s6
.LBB174_484:
	global_store_byte v[0:1], v4, off
.LBB174_485:
	s_mov_b64 s[6:7], 0
	s_mov_b64 s[8:9], -1
.LBB174_486:
	s_andn2_b64 vcc, exec, s[6:7]
	s_mov_b64 s[6:7], 0
	s_cbranch_vccnz .LBB174_493
; %bb.487:
	v_mov_b32_e32 v3, 14
	v_cmp_gt_i16_sdwa s[6:7], s33, v3 src0_sel:BYTE_0 src1_sel:DWORD
	s_mov_b64 s[10:11], -1
	s_and_b64 vcc, exec, s[6:7]
	s_cbranch_vccz .LBB174_491
; %bb.488:
	v_mov_b32_e32 v3, 15
	v_cmp_eq_u16_sdwa s[6:7], s33, v3 src0_sel:BYTE_0 src1_sel:DWORD
	s_mov_b64 s[4:5], -1
	s_and_b64 vcc, exec, s[6:7]
	s_cbranch_vccz .LBB174_490
; %bb.489:
	s_flbit_i32_b32 s4, s19
	s_min_u32 s6, s4, 32
	s_lshl_b64 s[4:5], s[18:19], s6
	s_min_u32 s4, s4, 1
	s_or_b32 s4, s5, s4
	v_cvt_f32_u32_e32 v3, s4
	s_sub_i32 s6, 32, s6
	s_mov_b64 s[4:5], 0
	s_mov_b64 s[8:9], -1
	v_ldexp_f32 v3, v3, s6
	v_bfe_u32 v4, v3, 16, 1
	v_add_u32_e32 v3, v3, v4
	v_add_u32_e32 v3, 0x7fff, v3
	global_store_short_d16_hi v[0:1], v3, off
.LBB174_490:
	s_mov_b64 s[10:11], 0
.LBB174_491:
	s_mov_b64 s[6:7], 0
	s_and_b64 vcc, exec, s[10:11]
	s_cbranch_vccz .LBB174_493
; %bb.492:
	v_mov_b32_e32 v3, 11
	v_cmp_ne_u16_sdwa s[4:5], s33, v3 src0_sel:BYTE_0 src1_sel:DWORD
	s_mov_b64 s[6:7], -1
.LBB174_493:
	s_and_b64 vcc, exec, s[4:5]
	s_mov_b64 s[4:5], s[0:1]
	s_cbranch_vccnz .LBB174_546
; %bb.494:
	s_andn2_b64 vcc, exec, s[6:7]
	s_cbranch_vccnz .LBB174_496
.LBB174_495:
	s_cmp_lg_u64 s[18:19], 0
	s_cselect_b64 s[6:7], -1, 0
	v_cndmask_b32_e64 v3, 0, 1, s[6:7]
	s_mov_b64 s[8:9], -1
	global_store_byte v[0:1], v3, off
.LBB174_496:
	s_branch .LBB174_416
.LBB174_497:
	v_mov_b32_e32 v3, 5
	v_cmp_lt_i16_sdwa s[8:9], s33, v3 src0_sel:BYTE_0 src1_sel:DWORD
	s_mov_b64 s[6:7], -1
	s_and_b64 vcc, exec, s[8:9]
	s_cbranch_vccnz .LBB174_518
; %bb.498:
	v_mov_b32_e32 v3, 8
	v_cmp_lt_i16_sdwa s[8:9], s33, v3 src0_sel:BYTE_0 src1_sel:DWORD
	s_and_b64 vcc, exec, s[8:9]
	s_cbranch_vccnz .LBB174_508
; %bb.499:
	v_mov_b32_e32 v3, 9
	v_cmp_lt_i16_sdwa s[8:9], s33, v3 src0_sel:BYTE_0 src1_sel:DWORD
	s_and_b64 vcc, exec, s[8:9]
	s_cbranch_vccnz .LBB174_505
; %bb.500:
	v_cmp_gt_i16_sdwa s[8:9], s33, v3 src0_sel:BYTE_0 src1_sel:DWORD
	s_and_b64 vcc, exec, s[8:9]
	s_cbranch_vccz .LBB174_502
; %bb.501:
	v_cvt_f64_u32_e32 v[4:5], s19
	v_ldexp_f64 v[4:5], v[4:5], 32
	v_cvt_f64_u32_e32 v[6:7], s18
	v_add_f64 v[4:5], v[4:5], v[6:7]
	v_mov_b32_e32 v6, 0
	v_mov_b32_e32 v7, v6
	global_store_dwordx4 v[0:1], v[4:7], off
	s_mov_b64 s[6:7], 0
.LBB174_502:
	s_andn2_b64 vcc, exec, s[6:7]
	s_cbranch_vccnz .LBB174_504
; %bb.503:
	s_flbit_i32_b32 s6, s19
	s_min_u32 s8, s6, 32
	s_lshl_b64 s[6:7], s[18:19], s8
	s_min_u32 s6, s6, 1
	s_or_b32 s6, s7, s6
	v_cvt_f32_u32_e32 v3, s6
	s_sub_i32 s6, 32, s8
	v_mov_b32_e32 v5, 0
	v_ldexp_f32 v4, v3, s6
	global_store_dwordx2 v[0:1], v[4:5], off
.LBB174_504:
	s_mov_b64 s[6:7], 0
.LBB174_505:
	s_andn2_b64 vcc, exec, s[6:7]
	s_cbranch_vccnz .LBB174_507
; %bb.506:
	s_flbit_i32_b32 s6, s19
	s_min_u32 s8, s6, 32
	s_lshl_b64 s[6:7], s[18:19], s8
	s_min_u32 s6, s6, 1
	s_or_b32 s6, s7, s6
	v_cvt_f32_u32_e32 v3, s6
	s_sub_i32 s6, 32, s8
	v_ldexp_f32 v3, v3, s6
	v_cvt_f16_f32_e32 v3, v3
	global_store_dword v[0:1], v3, off
.LBB174_507:
	s_mov_b64 s[6:7], 0
.LBB174_508:
	s_andn2_b64 vcc, exec, s[6:7]
	s_cbranch_vccnz .LBB174_517
; %bb.509:
	v_mov_b32_e32 v3, 6
	v_cmp_lt_i16_sdwa s[8:9], s33, v3 src0_sel:BYTE_0 src1_sel:DWORD
	s_mov_b64 s[6:7], -1
	s_and_b64 vcc, exec, s[8:9]
	s_cbranch_vccnz .LBB174_515
; %bb.510:
	v_cmp_gt_i16_sdwa s[8:9], s33, v3 src0_sel:BYTE_0 src1_sel:DWORD
	s_and_b64 vcc, exec, s[8:9]
	s_cbranch_vccz .LBB174_512
; %bb.511:
	v_cvt_f64_u32_e32 v[4:5], s19
	v_ldexp_f64 v[4:5], v[4:5], 32
	v_cvt_f64_u32_e32 v[6:7], s18
	v_add_f64 v[4:5], v[4:5], v[6:7]
	global_store_dwordx2 v[0:1], v[4:5], off
	s_mov_b64 s[6:7], 0
.LBB174_512:
	s_andn2_b64 vcc, exec, s[6:7]
	s_cbranch_vccnz .LBB174_514
; %bb.513:
	s_flbit_i32_b32 s6, s19
	s_min_u32 s8, s6, 32
	s_lshl_b64 s[6:7], s[18:19], s8
	s_min_u32 s6, s6, 1
	s_or_b32 s6, s7, s6
	v_cvt_f32_u32_e32 v3, s6
	s_sub_i32 s6, 32, s8
	v_ldexp_f32 v3, v3, s6
	global_store_dword v[0:1], v3, off
.LBB174_514:
	s_mov_b64 s[6:7], 0
.LBB174_515:
	s_andn2_b64 vcc, exec, s[6:7]
	s_cbranch_vccnz .LBB174_517
; %bb.516:
	s_flbit_i32_b32 s6, s19
	s_min_u32 s8, s6, 32
	s_lshl_b64 s[6:7], s[18:19], s8
	s_min_u32 s6, s6, 1
	s_or_b32 s6, s7, s6
	v_cvt_f32_u32_e32 v3, s6
	s_sub_i32 s6, 32, s8
	v_ldexp_f32 v3, v3, s6
	v_cvt_f16_f32_e32 v3, v3
	global_store_short v[0:1], v3, off
.LBB174_517:
	s_mov_b64 s[6:7], 0
.LBB174_518:
	s_andn2_b64 vcc, exec, s[6:7]
	s_cbranch_vccnz .LBB174_534
; %bb.519:
	v_mov_b32_e32 v3, 2
	v_cmp_lt_i16_sdwa s[8:9], s33, v3 src0_sel:BYTE_0 src1_sel:DWORD
	s_mov_b64 s[6:7], -1
	s_and_b64 vcc, exec, s[8:9]
	s_cbranch_vccnz .LBB174_529
; %bb.520:
	v_mov_b32_e32 v3, 3
	v_cmp_lt_i16_sdwa s[8:9], s33, v3 src0_sel:BYTE_0 src1_sel:DWORD
	s_and_b64 vcc, exec, s[8:9]
	s_cbranch_vccnz .LBB174_526
; %bb.521:
	v_cmp_gt_i16_sdwa s[8:9], s33, v3 src0_sel:BYTE_0 src1_sel:DWORD
	s_and_b64 vcc, exec, s[8:9]
	s_cbranch_vccz .LBB174_523
; %bb.522:
	v_pk_mov_b32 v[4:5], s[18:19], s[18:19] op_sel:[0,1]
	global_store_dwordx2 v[0:1], v[4:5], off
	s_mov_b64 s[6:7], 0
.LBB174_523:
	s_andn2_b64 vcc, exec, s[6:7]
	s_cbranch_vccnz .LBB174_525
; %bb.524:
	v_mov_b32_e32 v3, s18
	global_store_dword v[0:1], v3, off
.LBB174_525:
	s_mov_b64 s[6:7], 0
.LBB174_526:
	s_andn2_b64 vcc, exec, s[6:7]
	s_cbranch_vccnz .LBB174_528
; %bb.527:
	v_mov_b32_e32 v3, s18
	global_store_short v[0:1], v3, off
.LBB174_528:
	s_mov_b64 s[6:7], 0
.LBB174_529:
	s_andn2_b64 vcc, exec, s[6:7]
	s_cbranch_vccnz .LBB174_534
; %bb.530:
	v_mov_b32_e32 v3, 0
	v_cmp_gt_i16_sdwa s[8:9], s33, v3 src0_sel:BYTE_0 src1_sel:DWORD
	s_mov_b64 s[6:7], -1
	s_and_b64 vcc, exec, s[8:9]
	s_cbranch_vccz .LBB174_532
; %bb.531:
	v_mov_b32_e32 v3, s18
	global_store_byte v[0:1], v3, off
	s_mov_b64 s[6:7], 0
.LBB174_532:
	s_andn2_b64 vcc, exec, s[6:7]
	s_cbranch_vccnz .LBB174_534
; %bb.533:
	v_mov_b32_e32 v3, s18
	global_store_byte v[0:1], v3, off
.LBB174_534:
.LBB174_535:
	s_lshl_b32 s14, s52, 7
	v_add_u32_e32 v2, s14, v2
	v_ashrrev_i32_e32 v1, 31, v2
	v_mov_b32_e32 v3, s21
	v_add_co_u32_e32 v0, vcc, s20, v2
	v_addc_co_u32_e32 v1, vcc, v3, v1, vcc
	v_mov_b32_e32 v3, 11
	v_cmp_lt_i16_sdwa s[6:7], s33, v3 src0_sel:BYTE_0 src1_sel:DWORD
	s_and_b64 vcc, exec, s[6:7]
	s_cbranch_vccnz .LBB174_542
; %bb.536:
	v_mov_b32_e32 v3, 25
	v_cmp_gt_i16_sdwa s[6:7], s33, v3 src0_sel:BYTE_0 src1_sel:DWORD
	s_mov_b64 s[12:13], -1
	s_mov_b64 s[8:9], 0
	s_and_b64 vcc, exec, s[6:7]
	s_mov_b64 s[10:11], 0
	s_mov_b64 s[6:7], 0
	s_cbranch_vccz .LBB174_577
; %bb.537:
	v_mov_b32_e32 v3, 28
	v_cmp_gt_i16_sdwa s[6:7], s33, v3 src0_sel:BYTE_0 src1_sel:DWORD
	s_and_b64 vcc, exec, s[6:7]
	s_cbranch_vccz .LBB174_544
; %bb.538:
	v_mov_b32_e32 v3, 43
	v_cmp_gt_i16_sdwa s[6:7], s33, v3 src0_sel:BYTE_0 src1_sel:DWORD
	s_and_b64 vcc, exec, s[6:7]
	;; [unrolled: 5-line block ×3, first 2 shown]
	s_cbranch_vccz .LBB174_547
; %bb.540:
	v_mov_b32_e32 v3, 46
	v_cmp_eq_u16_sdwa s[10:11], s33, v3 src0_sel:BYTE_0 src1_sel:DWORD
	s_mov_b64 s[6:7], -1
	s_mov_b64 s[12:13], 0
	s_and_b64 vcc, exec, s[10:11]
	s_mov_b64 s[10:11], 0
	s_cbranch_vccz .LBB174_548
; %bb.541:
	s_flbit_i32_b32 s6, s19
	s_min_u32 s10, s6, 32
	s_lshl_b64 s[6:7], s[18:19], s10
	s_min_u32 s6, s6, 1
	s_or_b32 s6, s7, s6
	v_cvt_f32_u32_e32 v3, s6
	s_sub_i32 s10, 32, s10
	s_mov_b64 s[6:7], 0
	v_ldexp_f32 v3, v3, s10
	v_bfe_u32 v4, v3, 16, 1
	v_add_u32_e32 v3, v3, v4
	v_add_u32_e32 v3, 0x7fff, v3
	v_lshrrev_b32_e32 v3, 16, v3
	global_store_dword v[0:1], v3, off
	s_mov_b64 s[10:11], -1
	s_branch .LBB174_548
.LBB174_542:
	s_mov_b64 s[10:11], 0
	s_cbranch_execnz .LBB174_627
.LBB174_543:
	s_andn2_b64 vcc, exec, s[10:11]
	s_cbranch_vccz .LBB174_665
	s_branch .LBB174_839
.LBB174_544:
	s_mov_b64 s[6:7], 0
	s_branch .LBB174_558
.LBB174_545:
	s_mov_b64 s[6:7], 0
	s_branch .LBB174_554
.LBB174_546:
	s_or_b64 s[4:5], s[0:1], exec
	s_trap 2
	s_cbranch_execz .LBB174_495
	s_branch .LBB174_496
.LBB174_547:
	s_mov_b64 s[6:7], 0
.LBB174_548:
	s_and_b64 vcc, exec, s[12:13]
	s_cbranch_vccz .LBB174_553
; %bb.549:
	v_mov_b32_e32 v3, 44
	v_cmp_eq_u16_sdwa s[12:13], s33, v3 src0_sel:BYTE_0 src1_sel:DWORD
	s_mov_b64 s[6:7], -1
	s_and_b64 vcc, exec, s[12:13]
	s_cbranch_vccz .LBB174_553
; %bb.550:
	s_flbit_i32_b32 s6, s19
	s_min_u32 s10, s6, 32
	s_lshl_b64 s[6:7], s[18:19], s10
	s_min_u32 s6, s6, 1
	s_or_b32 s6, s7, s6
	v_cvt_f32_u32_e32 v3, s6
	s_sub_i32 s6, 32, s10
	v_ldexp_f32 v3, v3, s6
	v_readfirstlane_b32 s7, v3
	s_lshr_b32 s6, s7, 23
	s_cmpk_eq_i32 s6, 0xff
	v_mov_b32_e32 v3, 0xff
	s_cbranch_scc1 .LBB174_552
; %bb.551:
	s_bitcmp1_b32 s7, 22
	s_cselect_b64 s[10:11], -1, 0
	s_and_b32 s7, s7, 0x3fffff
	s_or_b32 s7, s6, s7
	s_cmp_lg_u32 s7, 0
	s_cselect_b64 s[12:13], -1, 0
	s_and_b64 s[10:11], s[10:11], s[12:13]
	v_cndmask_b32_e64 v3, 0, 1, s[10:11]
	v_add_u32_e32 v3, s6, v3
.LBB174_552:
	s_mov_b64 s[6:7], 0
	s_mov_b64 s[10:11], -1
	global_store_byte v[0:1], v3, off
.LBB174_553:
	s_mov_b64 s[12:13], 0
.LBB174_554:
	s_and_b64 vcc, exec, s[12:13]
	s_cbranch_vccz .LBB174_557
; %bb.555:
	v_mov_b32_e32 v3, 29
	v_cmp_eq_u16_sdwa s[12:13], s33, v3 src0_sel:BYTE_0 src1_sel:DWORD
	s_mov_b64 s[6:7], -1
	s_and_b64 vcc, exec, s[12:13]
	s_cbranch_vccz .LBB174_557
; %bb.556:
	v_pk_mov_b32 v[4:5], s[18:19], s[18:19] op_sel:[0,1]
	global_store_dwordx2 v[0:1], v[4:5], off
	s_mov_b64 s[6:7], 0
	s_mov_b64 s[10:11], -1
.LBB174_557:
	s_mov_b64 s[12:13], 0
.LBB174_558:
	s_and_b64 vcc, exec, s[12:13]
	s_cbranch_vccz .LBB174_576
; %bb.559:
	v_mov_b32_e32 v3, 27
	v_cmp_lt_i16_sdwa s[12:13], s33, v3 src0_sel:BYTE_0 src1_sel:DWORD
	s_mov_b64 s[10:11], -1
	s_and_b64 vcc, exec, s[12:13]
	s_cbranch_vccnz .LBB174_565
; %bb.560:
	v_cmp_gt_i16_sdwa s[12:13], s33, v3 src0_sel:BYTE_0 src1_sel:DWORD
	s_and_b64 vcc, exec, s[12:13]
	s_cbranch_vccz .LBB174_562
; %bb.561:
	v_mov_b32_e32 v3, s18
	s_mov_b64 s[10:11], 0
	global_store_dword v[0:1], v3, off
.LBB174_562:
	s_andn2_b64 vcc, exec, s[10:11]
	s_cbranch_vccnz .LBB174_564
; %bb.563:
	v_mov_b32_e32 v3, s18
	global_store_short v[0:1], v3, off
.LBB174_564:
	s_mov_b64 s[10:11], 0
.LBB174_565:
	s_andn2_b64 vcc, exec, s[10:11]
	s_cbranch_vccnz .LBB174_575
; %bb.566:
	s_flbit_i32_b32 s10, s19
	s_min_u32 s12, s10, 32
	s_lshl_b64 s[10:11], s[18:19], s12
	s_min_u32 s10, s10, 1
	s_or_b32 s10, s11, s10
	v_cvt_f32_u32_e32 v3, s10
	s_sub_i32 s10, 32, s12
	s_mov_b32 s11, 0x437fffff
	v_mov_b32_e32 v5, 0x80
	v_ldexp_f32 v3, v3, s10
	v_cmp_lt_u32_e32 vcc, s11, v3
	v_readfirstlane_b32 s10, v3
	s_cbranch_vccnz .LBB174_574
; %bb.567:
	s_cmp_gt_u32 s10, 0x3bffffff
	s_cbranch_scc0 .LBB174_569
; %bb.568:
	s_bfe_u32 s11, s10, 0x10014
	s_add_i32 s10, s10, s11
	s_add_i32 s10, s10, 0x487ffff
	s_lshr_b32 s15, s10, 20
	s_mov_b64 s[12:13], 0
	s_mov_b64 s[10:11], -1
	s_branch .LBB174_570
.LBB174_569:
	s_mov_b64 s[12:13], -1
	s_mov_b64 s[10:11], 0
                                        ; implicit-def: $sgpr15
.LBB174_570:
	s_andn2_b64 vcc, exec, s[12:13]
	v_mov_b32_e32 v4, s15
                                        ; implicit-def: $sgpr12
	s_cbranch_vccnz .LBB174_572
; %bb.571:
	v_add_f32_e32 v3, 0x46000000, v3
	v_and_b32_e32 v4, 0xff, v3
	s_mov_b32 s12, 0
	v_cmp_ne_u32_e64 s[10:11], 0, v4
.LBB174_572:
	s_andn2_b64 vcc, exec, s[10:11]
	v_mov_b32_e32 v5, s12
	s_cbranch_vccnz .LBB174_574
; %bb.573:
	v_mov_b32_e32 v5, v4
.LBB174_574:
	global_store_byte v[0:1], v5, off
.LBB174_575:
	s_mov_b64 s[10:11], -1
.LBB174_576:
	s_mov_b64 s[12:13], 0
.LBB174_577:
	s_and_b64 vcc, exec, s[12:13]
	s_cbranch_vccz .LBB174_623
; %bb.578:
	v_mov_b32_e32 v3, 22
	v_cmp_gt_i16_sdwa s[12:13], s33, v3 src0_sel:BYTE_0 src1_sel:DWORD
	s_mov_b64 s[8:9], -1
	s_and_b64 vcc, exec, s[12:13]
	s_cbranch_vccz .LBB174_616
; %bb.579:
	v_mov_b32_e32 v3, 24
	v_cmp_lt_i16_sdwa s[10:11], s33, v3 src0_sel:BYTE_0 src1_sel:DWORD
	s_and_b64 vcc, exec, s[10:11]
	s_cbranch_vccnz .LBB174_603
; %bb.580:
	v_cmp_gt_i16_sdwa s[10:11], s33, v3 src0_sel:BYTE_0 src1_sel:DWORD
	s_and_b64 vcc, exec, s[10:11]
	s_cbranch_vccz .LBB174_590
; %bb.581:
	s_flbit_i32_b32 s8, s19
	s_min_u32 s10, s8, 32
	s_lshl_b64 s[8:9], s[18:19], s10
	s_min_u32 s8, s8, 1
	s_or_b32 s8, s9, s8
	v_cvt_f32_u32_e32 v3, s8
	s_sub_i32 s8, 32, s10
	s_mov_b32 s9, 0x477fffff
	v_mov_b32_e32 v5, 0x80
	v_ldexp_f32 v3, v3, s8
	v_cmp_lt_u32_e32 vcc, s9, v3
	v_readfirstlane_b32 s8, v3
	s_cbranch_vccnz .LBB174_589
; %bb.582:
	s_cmp_gt_u32 s8, 0x37ffffff
	s_cbranch_scc0 .LBB174_584
; %bb.583:
	s_bfe_u32 s9, s8, 0x10015
	s_add_i32 s8, s8, s9
	s_add_i32 s8, s8, 0x88fffff
	s_lshr_b32 s12, s8, 21
	s_mov_b64 s[10:11], 0
	s_mov_b64 s[8:9], -1
	s_branch .LBB174_585
.LBB174_584:
	s_mov_b64 s[10:11], -1
	s_mov_b64 s[8:9], 0
                                        ; implicit-def: $sgpr12
.LBB174_585:
	s_andn2_b64 vcc, exec, s[10:11]
	v_mov_b32_e32 v4, s12
                                        ; implicit-def: $sgpr10
	s_cbranch_vccnz .LBB174_587
; %bb.586:
	v_add_f32_e32 v3, 0x42800000, v3
	v_and_b32_e32 v4, 0xff, v3
	s_mov_b32 s10, 0
	v_cmp_ne_u32_e64 s[8:9], 0, v4
.LBB174_587:
	s_andn2_b64 vcc, exec, s[8:9]
	v_mov_b32_e32 v5, s10
	s_cbranch_vccnz .LBB174_589
; %bb.588:
	v_mov_b32_e32 v5, v4
.LBB174_589:
	s_mov_b64 s[8:9], 0
	global_store_byte v[0:1], v5, off
.LBB174_590:
	s_and_b64 vcc, exec, s[8:9]
	s_cbranch_vccz .LBB174_602
; %bb.591:
	s_flbit_i32_b32 s8, s19
	s_min_u32 s10, s8, 32
	s_lshl_b64 s[8:9], s[18:19], s10
	s_min_u32 s8, s8, 1
	s_or_b32 s8, s9, s8
	v_cvt_f32_u32_e32 v3, s8
	s_sub_i32 s8, 32, s10
	v_ldexp_f32 v3, v3, s8
	s_mov_b32 s8, 0x43f00000
	v_cmp_gt_u32_e32 vcc, s8, v3
	v_readfirstlane_b32 s10, v3
	s_cbranch_vccz .LBB174_594
; %bb.592:
	s_cmp_gt_u32 s10, 0x3c7fffff
	s_cbranch_scc0 .LBB174_595
; %bb.593:
	s_bfe_u32 s8, s10, 0x10014
	s_add_i32 s8, s10, s8
	s_add_i32 s8, s8, 0x407ffff
	s_lshr_b32 s9, s8, 20
	s_and_b32 s8, s8, 0xff00000
	s_cmp_lg_u32 s8, 0x7f00000
	s_cselect_b32 s11, s9, 0x7e
	s_mov_b64 s[8:9], 0
	s_branch .LBB174_596
.LBB174_594:
	s_mov_b64 s[8:9], -1
                                        ; implicit-def: $vgpr4
	s_branch .LBB174_599
.LBB174_595:
	s_mov_b64 s[8:9], -1
                                        ; implicit-def: $sgpr11
.LBB174_596:
	s_andn2_b64 vcc, exec, s[8:9]
	v_mov_b32_e32 v4, s11
	s_cbranch_vccnz .LBB174_598
; %bb.597:
	v_add_f32_e32 v4, 0x46800000, v3
.LBB174_598:
	s_mov_b64 s[8:9], 0
.LBB174_599:
	s_andn2_b64 vcc, exec, s[8:9]
	s_cbranch_vccnz .LBB174_601
; %bb.600:
	s_cmp_gt_u32 s10, 0x7f800000
	s_movk_i32 s8, 0x7f
	s_cselect_b32 s8, s8, 0x7e
	v_mov_b32_e32 v4, s8
.LBB174_601:
	global_store_byte v[0:1], v4, off
.LBB174_602:
	s_mov_b64 s[8:9], 0
.LBB174_603:
	s_andn2_b64 vcc, exec, s[8:9]
	s_cbranch_vccnz .LBB174_615
; %bb.604:
	s_flbit_i32_b32 s8, s19
	s_min_u32 s10, s8, 32
	s_lshl_b64 s[8:9], s[18:19], s10
	s_min_u32 s8, s8, 1
	s_or_b32 s8, s9, s8
	v_cvt_f32_u32_e32 v3, s8
	s_sub_i32 s8, 32, s10
	v_ldexp_f32 v3, v3, s8
	s_mov_b32 s8, 0x47800000
	v_cmp_gt_u32_e32 vcc, s8, v3
	v_readfirstlane_b32 s10, v3
	s_cbranch_vccz .LBB174_607
; %bb.605:
	s_cmp_gt_u32 s10, 0x387fffff
	s_cbranch_scc0 .LBB174_608
; %bb.606:
	s_bfe_u32 s8, s10, 0x10015
	s_add_i32 s8, s10, s8
	s_add_i32 s8, s8, 0x80fffff
	s_lshr_b32 s11, s8, 21
	s_mov_b64 s[8:9], 0
	s_branch .LBB174_609
.LBB174_607:
	s_mov_b64 s[8:9], -1
                                        ; implicit-def: $vgpr4
	s_branch .LBB174_612
.LBB174_608:
	s_mov_b64 s[8:9], -1
                                        ; implicit-def: $sgpr11
.LBB174_609:
	s_andn2_b64 vcc, exec, s[8:9]
	v_mov_b32_e32 v4, s11
	s_cbranch_vccnz .LBB174_611
; %bb.610:
	v_add_f32_e32 v4, 0x43000000, v3
.LBB174_611:
	s_mov_b64 s[8:9], 0
.LBB174_612:
	s_andn2_b64 vcc, exec, s[8:9]
	s_cbranch_vccnz .LBB174_614
; %bb.613:
	s_cmp_gt_u32 s10, 0x7f800000
	s_movk_i32 s8, 0x7f
	s_cselect_b32 s8, s8, 0x7c
	v_mov_b32_e32 v4, s8
.LBB174_614:
	global_store_byte v[0:1], v4, off
.LBB174_615:
	s_mov_b64 s[8:9], 0
	s_mov_b64 s[10:11], -1
.LBB174_616:
	s_andn2_b64 vcc, exec, s[8:9]
	s_mov_b64 s[8:9], 0
	s_cbranch_vccnz .LBB174_623
; %bb.617:
	v_mov_b32_e32 v3, 14
	v_cmp_gt_i16_sdwa s[8:9], s33, v3 src0_sel:BYTE_0 src1_sel:DWORD
	s_mov_b64 s[12:13], -1
	s_and_b64 vcc, exec, s[8:9]
	s_cbranch_vccz .LBB174_621
; %bb.618:
	v_mov_b32_e32 v3, 15
	v_cmp_eq_u16_sdwa s[8:9], s33, v3 src0_sel:BYTE_0 src1_sel:DWORD
	s_mov_b64 s[6:7], -1
	s_and_b64 vcc, exec, s[8:9]
	s_cbranch_vccz .LBB174_620
; %bb.619:
	s_flbit_i32_b32 s6, s19
	s_min_u32 s8, s6, 32
	s_lshl_b64 s[6:7], s[18:19], s8
	s_min_u32 s6, s6, 1
	s_or_b32 s6, s7, s6
	v_cvt_f32_u32_e32 v3, s6
	s_sub_i32 s8, 32, s8
	s_mov_b64 s[6:7], 0
	s_mov_b64 s[10:11], -1
	v_ldexp_f32 v3, v3, s8
	v_bfe_u32 v4, v3, 16, 1
	v_add_u32_e32 v3, v3, v4
	v_add_u32_e32 v3, 0x7fff, v3
	global_store_short_d16_hi v[0:1], v3, off
.LBB174_620:
	s_mov_b64 s[12:13], 0
.LBB174_621:
	s_mov_b64 s[8:9], 0
	s_and_b64 vcc, exec, s[12:13]
	s_cbranch_vccz .LBB174_623
; %bb.622:
	v_mov_b32_e32 v3, 11
	v_cmp_ne_u16_sdwa s[6:7], s33, v3 src0_sel:BYTE_0 src1_sel:DWORD
	s_mov_b64 s[8:9], -1
.LBB174_623:
	s_and_b64 vcc, exec, s[6:7]
	s_cbranch_vccnz .LBB174_706
; %bb.624:
	s_andn2_b64 vcc, exec, s[8:9]
	s_cbranch_vccnz .LBB174_626
.LBB174_625:
	s_cmp_lg_u64 s[18:19], 0
	s_cselect_b64 s[6:7], -1, 0
	v_cndmask_b32_e64 v3, 0, 1, s[6:7]
	s_mov_b64 s[10:11], -1
	global_store_byte v[0:1], v3, off
.LBB174_626:
	s_branch .LBB174_543
.LBB174_627:
	v_mov_b32_e32 v3, 5
	v_cmp_lt_i16_sdwa s[8:9], s33, v3 src0_sel:BYTE_0 src1_sel:DWORD
	s_mov_b64 s[6:7], -1
	s_and_b64 vcc, exec, s[8:9]
	s_cbranch_vccnz .LBB174_648
; %bb.628:
	v_mov_b32_e32 v3, 8
	v_cmp_lt_i16_sdwa s[8:9], s33, v3 src0_sel:BYTE_0 src1_sel:DWORD
	s_and_b64 vcc, exec, s[8:9]
	s_cbranch_vccnz .LBB174_638
; %bb.629:
	v_mov_b32_e32 v3, 9
	v_cmp_lt_i16_sdwa s[8:9], s33, v3 src0_sel:BYTE_0 src1_sel:DWORD
	s_and_b64 vcc, exec, s[8:9]
	s_cbranch_vccnz .LBB174_635
; %bb.630:
	v_cmp_gt_i16_sdwa s[8:9], s33, v3 src0_sel:BYTE_0 src1_sel:DWORD
	s_and_b64 vcc, exec, s[8:9]
	s_cbranch_vccz .LBB174_632
; %bb.631:
	v_cvt_f64_u32_e32 v[4:5], s19
	v_ldexp_f64 v[4:5], v[4:5], 32
	v_cvt_f64_u32_e32 v[6:7], s18
	v_add_f64 v[4:5], v[4:5], v[6:7]
	v_mov_b32_e32 v6, 0
	v_mov_b32_e32 v7, v6
	global_store_dwordx4 v[0:1], v[4:7], off
	s_mov_b64 s[6:7], 0
.LBB174_632:
	s_andn2_b64 vcc, exec, s[6:7]
	s_cbranch_vccnz .LBB174_634
; %bb.633:
	s_flbit_i32_b32 s6, s19
	s_min_u32 s8, s6, 32
	s_lshl_b64 s[6:7], s[18:19], s8
	s_min_u32 s6, s6, 1
	s_or_b32 s6, s7, s6
	v_cvt_f32_u32_e32 v3, s6
	s_sub_i32 s6, 32, s8
	v_mov_b32_e32 v5, 0
	v_ldexp_f32 v4, v3, s6
	global_store_dwordx2 v[0:1], v[4:5], off
.LBB174_634:
	s_mov_b64 s[6:7], 0
.LBB174_635:
	s_andn2_b64 vcc, exec, s[6:7]
	s_cbranch_vccnz .LBB174_637
; %bb.636:
	s_flbit_i32_b32 s6, s19
	s_min_u32 s8, s6, 32
	s_lshl_b64 s[6:7], s[18:19], s8
	s_min_u32 s6, s6, 1
	s_or_b32 s6, s7, s6
	v_cvt_f32_u32_e32 v3, s6
	s_sub_i32 s6, 32, s8
	v_ldexp_f32 v3, v3, s6
	v_cvt_f16_f32_e32 v3, v3
	global_store_dword v[0:1], v3, off
.LBB174_637:
	s_mov_b64 s[6:7], 0
.LBB174_638:
	s_andn2_b64 vcc, exec, s[6:7]
	s_cbranch_vccnz .LBB174_647
; %bb.639:
	v_mov_b32_e32 v3, 6
	v_cmp_lt_i16_sdwa s[8:9], s33, v3 src0_sel:BYTE_0 src1_sel:DWORD
	s_mov_b64 s[6:7], -1
	s_and_b64 vcc, exec, s[8:9]
	s_cbranch_vccnz .LBB174_645
; %bb.640:
	v_cmp_gt_i16_sdwa s[8:9], s33, v3 src0_sel:BYTE_0 src1_sel:DWORD
	s_and_b64 vcc, exec, s[8:9]
	s_cbranch_vccz .LBB174_642
; %bb.641:
	v_cvt_f64_u32_e32 v[4:5], s19
	v_ldexp_f64 v[4:5], v[4:5], 32
	v_cvt_f64_u32_e32 v[6:7], s18
	v_add_f64 v[4:5], v[4:5], v[6:7]
	global_store_dwordx2 v[0:1], v[4:5], off
	s_mov_b64 s[6:7], 0
.LBB174_642:
	s_andn2_b64 vcc, exec, s[6:7]
	s_cbranch_vccnz .LBB174_644
; %bb.643:
	s_flbit_i32_b32 s6, s19
	s_min_u32 s8, s6, 32
	s_lshl_b64 s[6:7], s[18:19], s8
	s_min_u32 s6, s6, 1
	s_or_b32 s6, s7, s6
	v_cvt_f32_u32_e32 v3, s6
	s_sub_i32 s6, 32, s8
	v_ldexp_f32 v3, v3, s6
	global_store_dword v[0:1], v3, off
.LBB174_644:
	s_mov_b64 s[6:7], 0
.LBB174_645:
	s_andn2_b64 vcc, exec, s[6:7]
	s_cbranch_vccnz .LBB174_647
; %bb.646:
	s_flbit_i32_b32 s6, s19
	s_min_u32 s8, s6, 32
	s_lshl_b64 s[6:7], s[18:19], s8
	s_min_u32 s6, s6, 1
	s_or_b32 s6, s7, s6
	v_cvt_f32_u32_e32 v3, s6
	s_sub_i32 s6, 32, s8
	v_ldexp_f32 v3, v3, s6
	v_cvt_f16_f32_e32 v3, v3
	global_store_short v[0:1], v3, off
.LBB174_647:
	s_mov_b64 s[6:7], 0
.LBB174_648:
	s_andn2_b64 vcc, exec, s[6:7]
	s_cbranch_vccnz .LBB174_664
; %bb.649:
	v_mov_b32_e32 v3, 2
	v_cmp_lt_i16_sdwa s[8:9], s33, v3 src0_sel:BYTE_0 src1_sel:DWORD
	s_mov_b64 s[6:7], -1
	s_and_b64 vcc, exec, s[8:9]
	s_cbranch_vccnz .LBB174_659
; %bb.650:
	v_mov_b32_e32 v3, 3
	v_cmp_lt_i16_sdwa s[8:9], s33, v3 src0_sel:BYTE_0 src1_sel:DWORD
	s_and_b64 vcc, exec, s[8:9]
	s_cbranch_vccnz .LBB174_656
; %bb.651:
	v_cmp_gt_i16_sdwa s[8:9], s33, v3 src0_sel:BYTE_0 src1_sel:DWORD
	s_and_b64 vcc, exec, s[8:9]
	s_cbranch_vccz .LBB174_653
; %bb.652:
	v_pk_mov_b32 v[4:5], s[18:19], s[18:19] op_sel:[0,1]
	global_store_dwordx2 v[0:1], v[4:5], off
	s_mov_b64 s[6:7], 0
.LBB174_653:
	s_andn2_b64 vcc, exec, s[6:7]
	s_cbranch_vccnz .LBB174_655
; %bb.654:
	v_mov_b32_e32 v3, s18
	global_store_dword v[0:1], v3, off
.LBB174_655:
	s_mov_b64 s[6:7], 0
.LBB174_656:
	s_andn2_b64 vcc, exec, s[6:7]
	s_cbranch_vccnz .LBB174_658
; %bb.657:
	v_mov_b32_e32 v3, s18
	global_store_short v[0:1], v3, off
.LBB174_658:
	s_mov_b64 s[6:7], 0
.LBB174_659:
	s_andn2_b64 vcc, exec, s[6:7]
	s_cbranch_vccnz .LBB174_664
; %bb.660:
	v_mov_b32_e32 v3, 0
	v_cmp_gt_i16_sdwa s[8:9], s33, v3 src0_sel:BYTE_0 src1_sel:DWORD
	s_mov_b64 s[6:7], -1
	s_and_b64 vcc, exec, s[8:9]
	s_cbranch_vccz .LBB174_662
; %bb.661:
	v_mov_b32_e32 v3, s18
	global_store_byte v[0:1], v3, off
	s_mov_b64 s[6:7], 0
.LBB174_662:
	s_andn2_b64 vcc, exec, s[6:7]
	s_cbranch_vccnz .LBB174_664
; %bb.663:
	v_mov_b32_e32 v3, s18
	global_store_byte v[0:1], v3, off
.LBB174_664:
.LBB174_665:
	v_add_u32_e32 v2, s14, v2
	v_ashrrev_i32_e32 v1, 31, v2
	v_mov_b32_e32 v3, s21
	v_add_co_u32_e32 v0, vcc, s20, v2
	v_addc_co_u32_e32 v1, vcc, v3, v1, vcc
	v_mov_b32_e32 v3, 11
	v_cmp_lt_i16_sdwa s[6:7], s33, v3 src0_sel:BYTE_0 src1_sel:DWORD
	s_and_b64 vcc, exec, s[6:7]
	s_cbranch_vccnz .LBB174_672
; %bb.666:
	v_mov_b32_e32 v3, 25
	v_cmp_gt_i16_sdwa s[6:7], s33, v3 src0_sel:BYTE_0 src1_sel:DWORD
	s_mov_b64 s[12:13], -1
	s_mov_b64 s[8:9], 0
	s_and_b64 vcc, exec, s[6:7]
	s_mov_b64 s[10:11], 0
	s_mov_b64 s[6:7], 0
	s_cbranch_vccz .LBB174_737
; %bb.667:
	v_mov_b32_e32 v3, 28
	v_cmp_gt_i16_sdwa s[6:7], s33, v3 src0_sel:BYTE_0 src1_sel:DWORD
	s_and_b64 vcc, exec, s[6:7]
	s_cbranch_vccz .LBB174_704
; %bb.668:
	v_mov_b32_e32 v3, 43
	v_cmp_gt_i16_sdwa s[6:7], s33, v3 src0_sel:BYTE_0 src1_sel:DWORD
	s_and_b64 vcc, exec, s[6:7]
	;; [unrolled: 5-line block ×3, first 2 shown]
	s_cbranch_vccz .LBB174_707
; %bb.670:
	v_mov_b32_e32 v3, 46
	v_cmp_eq_u16_sdwa s[10:11], s33, v3 src0_sel:BYTE_0 src1_sel:DWORD
	s_mov_b64 s[6:7], -1
	s_mov_b64 s[12:13], 0
	s_and_b64 vcc, exec, s[10:11]
	s_mov_b64 s[10:11], 0
	s_cbranch_vccz .LBB174_708
; %bb.671:
	s_flbit_i32_b32 s6, s19
	s_min_u32 s10, s6, 32
	s_lshl_b64 s[6:7], s[18:19], s10
	s_min_u32 s6, s6, 1
	s_or_b32 s6, s7, s6
	v_cvt_f32_u32_e32 v3, s6
	s_sub_i32 s10, 32, s10
	s_mov_b64 s[6:7], 0
	v_ldexp_f32 v3, v3, s10
	v_bfe_u32 v4, v3, 16, 1
	v_add_u32_e32 v3, v3, v4
	v_add_u32_e32 v3, 0x7fff, v3
	v_lshrrev_b32_e32 v3, 16, v3
	global_store_dword v[0:1], v3, off
	s_mov_b64 s[10:11], -1
	s_branch .LBB174_708
.LBB174_672:
	s_mov_b64 s[10:11], 0
	s_cbranch_execnz .LBB174_801
.LBB174_673:
	s_andn2_b64 vcc, exec, s[10:11]
	s_cbranch_vccnz .LBB174_839
.LBB174_674:
	v_add_u32_e32 v0, s14, v2
	v_ashrrev_i32_e32 v1, 31, v0
	v_mov_b32_e32 v2, s21
	v_add_co_u32_e32 v0, vcc, s20, v0
	v_addc_co_u32_e32 v1, vcc, v2, v1, vcc
	v_mov_b32_e32 v2, 0xff
	v_and_b32_e32 v2, s33, v2
	v_cmp_gt_i16_e32 vcc, 11, v2
	s_cbranch_vccnz .LBB174_703
; %bb.675:
	v_cmp_lt_i16_e32 vcc, 25, v2
	s_mov_b64 s[10:11], -1
	s_mov_b64 s[8:9], 0
	s_mov_b64 s[6:7], 0
	s_cbranch_vccz .LBB174_751
; %bb.676:
	v_cmp_lt_i16_e32 vcc, 28, v2
	s_cbranch_vccz .LBB174_692
; %bb.677:
	v_cmp_lt_i16_e32 vcc, 43, v2
	;; [unrolled: 3-line block ×3, first 2 shown]
	s_cbranch_vccz .LBB174_682
; %bb.679:
	v_cmp_eq_u16_e32 vcc, 46, v2
	s_mov_b64 s[6:7], -1
	s_cbranch_vccz .LBB174_681
; %bb.680:
	s_flbit_i32_b32 s6, s19
	s_min_u32 s10, s6, 32
	s_lshl_b64 s[6:7], s[18:19], s10
	s_min_u32 s6, s6, 1
	s_or_b32 s6, s7, s6
	v_cvt_f32_u32_e32 v3, s6
	s_sub_i32 s6, 32, s10
	v_ldexp_f32 v3, v3, s6
	v_bfe_u32 v4, v3, 16, 1
	v_add_u32_e32 v3, v3, v4
	v_add_u32_e32 v3, 0x7fff, v3
	v_lshrrev_b32_e32 v3, 16, v3
	global_store_dword v[0:1], v3, off
	s_mov_b64 s[6:7], 0
.LBB174_681:
	s_mov_b64 s[10:11], 0
.LBB174_682:
	s_and_b64 vcc, exec, s[10:11]
	s_cbranch_vccz .LBB174_687
; %bb.683:
	v_cmp_eq_u16_e32 vcc, 44, v2
	s_mov_b64 s[6:7], -1
	s_cbranch_vccz .LBB174_687
; %bb.684:
	s_flbit_i32_b32 s6, s19
	s_min_u32 s10, s6, 32
	s_lshl_b64 s[6:7], s[18:19], s10
	s_min_u32 s6, s6, 1
	s_or_b32 s6, s7, s6
	v_cvt_f32_u32_e32 v3, s6
	s_sub_i32 s6, 32, s10
	v_ldexp_f32 v3, v3, s6
	v_readfirstlane_b32 s7, v3
	s_lshr_b32 s6, s7, 23
	s_cmpk_eq_i32 s6, 0xff
	v_mov_b32_e32 v3, 0xff
	s_cbranch_scc1 .LBB174_686
; %bb.685:
	s_bitcmp1_b32 s7, 22
	s_cselect_b64 s[10:11], -1, 0
	s_and_b32 s7, s7, 0x3fffff
	s_or_b32 s7, s6, s7
	s_cmp_lg_u32 s7, 0
	s_cselect_b64 s[12:13], -1, 0
	s_and_b64 s[10:11], s[10:11], s[12:13]
	v_cndmask_b32_e64 v3, 0, 1, s[10:11]
	v_add_u32_e32 v3, s6, v3
.LBB174_686:
	s_mov_b64 s[6:7], 0
	global_store_byte v[0:1], v3, off
.LBB174_687:
	s_mov_b64 s[10:11], 0
.LBB174_688:
	s_and_b64 vcc, exec, s[10:11]
	s_cbranch_vccz .LBB174_691
; %bb.689:
	v_cmp_eq_u16_e32 vcc, 29, v2
	s_mov_b64 s[6:7], -1
	s_cbranch_vccz .LBB174_691
; %bb.690:
	v_pk_mov_b32 v[4:5], s[18:19], s[18:19] op_sel:[0,1]
	global_store_dwordx2 v[0:1], v[4:5], off
	s_mov_b64 s[6:7], 0
.LBB174_691:
	s_mov_b64 s[10:11], 0
.LBB174_692:
	s_and_b64 vcc, exec, s[10:11]
	s_cbranch_vccz .LBB174_750
; %bb.693:
	v_cmp_gt_i16_e32 vcc, 27, v2
	s_mov_b64 s[10:11], -1
	s_cbranch_vccnz .LBB174_699
; %bb.694:
	v_cmp_lt_i16_e32 vcc, 27, v2
	s_cbranch_vccz .LBB174_696
; %bb.695:
	v_mov_b32_e32 v3, s18
	global_store_dword v[0:1], v3, off
	s_mov_b64 s[10:11], 0
.LBB174_696:
	s_andn2_b64 vcc, exec, s[10:11]
	s_cbranch_vccnz .LBB174_698
; %bb.697:
	v_mov_b32_e32 v3, s18
	global_store_short v[0:1], v3, off
.LBB174_698:
	s_mov_b64 s[10:11], 0
.LBB174_699:
	s_andn2_b64 vcc, exec, s[10:11]
	s_cbranch_vccnz .LBB174_750
; %bb.700:
	s_flbit_i32_b32 s10, s19
	s_min_u32 s12, s10, 32
	s_lshl_b64 s[10:11], s[18:19], s12
	s_min_u32 s10, s10, 1
	s_or_b32 s10, s11, s10
	v_cvt_f32_u32_e32 v3, s10
	s_sub_i32 s10, 32, s12
	s_mov_b32 s11, 0x437fffff
	v_mov_b32_e32 v5, 0x80
	v_ldexp_f32 v3, v3, s10
	v_cmp_lt_u32_e32 vcc, s11, v3
	v_readfirstlane_b32 s10, v3
	s_cbranch_vccnz .LBB174_749
; %bb.701:
	s_cmp_gt_u32 s10, 0x3bffffff
	s_cbranch_scc0 .LBB174_744
; %bb.702:
	s_bfe_u32 s11, s10, 0x10014
	s_add_i32 s10, s10, s11
	s_add_i32 s10, s10, 0x487ffff
	s_lshr_b32 s14, s10, 20
	s_mov_b64 s[12:13], 0
	s_mov_b64 s[10:11], -1
	s_branch .LBB174_745
.LBB174_703:
	s_mov_b64 s[8:9], 0
	s_mov_b64 s[6:7], -1
	s_branch .LBB174_840
.LBB174_704:
	s_mov_b64 s[6:7], 0
	s_branch .LBB174_718
.LBB174_705:
	s_mov_b64 s[6:7], 0
	s_branch .LBB174_714
.LBB174_706:
	s_trap 2
	s_or_b64 s[4:5], s[4:5], exec
	s_cbranch_execz .LBB174_625
	s_branch .LBB174_626
.LBB174_707:
	s_mov_b64 s[6:7], 0
.LBB174_708:
	s_and_b64 vcc, exec, s[12:13]
	s_cbranch_vccz .LBB174_713
; %bb.709:
	v_mov_b32_e32 v3, 44
	v_cmp_eq_u16_sdwa s[12:13], s33, v3 src0_sel:BYTE_0 src1_sel:DWORD
	s_mov_b64 s[6:7], -1
	s_and_b64 vcc, exec, s[12:13]
	s_cbranch_vccz .LBB174_713
; %bb.710:
	s_flbit_i32_b32 s6, s19
	s_min_u32 s10, s6, 32
	s_lshl_b64 s[6:7], s[18:19], s10
	s_min_u32 s6, s6, 1
	s_or_b32 s6, s7, s6
	v_cvt_f32_u32_e32 v3, s6
	s_sub_i32 s6, 32, s10
	v_ldexp_f32 v3, v3, s6
	v_readfirstlane_b32 s7, v3
	s_lshr_b32 s6, s7, 23
	s_cmpk_eq_i32 s6, 0xff
	v_mov_b32_e32 v3, 0xff
	s_cbranch_scc1 .LBB174_712
; %bb.711:
	s_bitcmp1_b32 s7, 22
	s_cselect_b64 s[10:11], -1, 0
	s_and_b32 s7, s7, 0x3fffff
	s_or_b32 s7, s6, s7
	s_cmp_lg_u32 s7, 0
	s_cselect_b64 s[12:13], -1, 0
	s_and_b64 s[10:11], s[10:11], s[12:13]
	v_cndmask_b32_e64 v3, 0, 1, s[10:11]
	v_add_u32_e32 v3, s6, v3
.LBB174_712:
	s_mov_b64 s[6:7], 0
	s_mov_b64 s[10:11], -1
	global_store_byte v[0:1], v3, off
.LBB174_713:
	s_mov_b64 s[12:13], 0
.LBB174_714:
	s_and_b64 vcc, exec, s[12:13]
	s_cbranch_vccz .LBB174_717
; %bb.715:
	v_mov_b32_e32 v3, 29
	v_cmp_eq_u16_sdwa s[12:13], s33, v3 src0_sel:BYTE_0 src1_sel:DWORD
	s_mov_b64 s[6:7], -1
	s_and_b64 vcc, exec, s[12:13]
	s_cbranch_vccz .LBB174_717
; %bb.716:
	v_pk_mov_b32 v[4:5], s[18:19], s[18:19] op_sel:[0,1]
	global_store_dwordx2 v[0:1], v[4:5], off
	s_mov_b64 s[6:7], 0
	s_mov_b64 s[10:11], -1
.LBB174_717:
	s_mov_b64 s[12:13], 0
.LBB174_718:
	s_and_b64 vcc, exec, s[12:13]
	s_cbranch_vccz .LBB174_736
; %bb.719:
	v_mov_b32_e32 v3, 27
	v_cmp_lt_i16_sdwa s[12:13], s33, v3 src0_sel:BYTE_0 src1_sel:DWORD
	s_mov_b64 s[10:11], -1
	s_and_b64 vcc, exec, s[12:13]
	s_cbranch_vccnz .LBB174_725
; %bb.720:
	v_cmp_gt_i16_sdwa s[12:13], s33, v3 src0_sel:BYTE_0 src1_sel:DWORD
	s_and_b64 vcc, exec, s[12:13]
	s_cbranch_vccz .LBB174_722
; %bb.721:
	v_mov_b32_e32 v3, s18
	s_mov_b64 s[10:11], 0
	global_store_dword v[0:1], v3, off
.LBB174_722:
	s_andn2_b64 vcc, exec, s[10:11]
	s_cbranch_vccnz .LBB174_724
; %bb.723:
	v_mov_b32_e32 v3, s18
	global_store_short v[0:1], v3, off
.LBB174_724:
	s_mov_b64 s[10:11], 0
.LBB174_725:
	s_andn2_b64 vcc, exec, s[10:11]
	s_cbranch_vccnz .LBB174_735
; %bb.726:
	s_flbit_i32_b32 s10, s19
	s_min_u32 s12, s10, 32
	s_lshl_b64 s[10:11], s[18:19], s12
	s_min_u32 s10, s10, 1
	s_or_b32 s10, s11, s10
	v_cvt_f32_u32_e32 v3, s10
	s_sub_i32 s10, 32, s12
	s_mov_b32 s11, 0x437fffff
	v_mov_b32_e32 v5, 0x80
	v_ldexp_f32 v3, v3, s10
	v_cmp_lt_u32_e32 vcc, s11, v3
	v_readfirstlane_b32 s10, v3
	s_cbranch_vccnz .LBB174_734
; %bb.727:
	s_cmp_gt_u32 s10, 0x3bffffff
	s_cbranch_scc0 .LBB174_729
; %bb.728:
	s_bfe_u32 s11, s10, 0x10014
	s_add_i32 s10, s10, s11
	s_add_i32 s10, s10, 0x487ffff
	s_lshr_b32 s15, s10, 20
	s_mov_b64 s[12:13], 0
	s_mov_b64 s[10:11], -1
	s_branch .LBB174_730
.LBB174_729:
	s_mov_b64 s[12:13], -1
	s_mov_b64 s[10:11], 0
                                        ; implicit-def: $sgpr15
.LBB174_730:
	s_andn2_b64 vcc, exec, s[12:13]
	v_mov_b32_e32 v4, s15
                                        ; implicit-def: $sgpr12
	s_cbranch_vccnz .LBB174_732
; %bb.731:
	v_add_f32_e32 v3, 0x46000000, v3
	v_and_b32_e32 v4, 0xff, v3
	s_mov_b32 s12, 0
	v_cmp_ne_u32_e64 s[10:11], 0, v4
.LBB174_732:
	s_andn2_b64 vcc, exec, s[10:11]
	v_mov_b32_e32 v5, s12
	s_cbranch_vccnz .LBB174_734
; %bb.733:
	v_mov_b32_e32 v5, v4
.LBB174_734:
	global_store_byte v[0:1], v5, off
.LBB174_735:
	s_mov_b64 s[10:11], -1
.LBB174_736:
	s_mov_b64 s[12:13], 0
.LBB174_737:
	s_and_b64 vcc, exec, s[12:13]
	s_cbranch_vccz .LBB174_797
; %bb.738:
	v_mov_b32_e32 v3, 22
	v_cmp_gt_i16_sdwa s[12:13], s33, v3 src0_sel:BYTE_0 src1_sel:DWORD
	s_mov_b64 s[8:9], -1
	s_and_b64 vcc, exec, s[12:13]
	s_cbranch_vccz .LBB174_790
; %bb.739:
	v_mov_b32_e32 v3, 24
	v_cmp_lt_i16_sdwa s[10:11], s33, v3 src0_sel:BYTE_0 src1_sel:DWORD
	s_and_b64 vcc, exec, s[10:11]
	s_cbranch_vccnz .LBB174_777
; %bb.740:
	v_cmp_gt_i16_sdwa s[10:11], s33, v3 src0_sel:BYTE_0 src1_sel:DWORD
	s_and_b64 vcc, exec, s[10:11]
	s_cbranch_vccz .LBB174_764
; %bb.741:
	s_flbit_i32_b32 s8, s19
	s_min_u32 s10, s8, 32
	s_lshl_b64 s[8:9], s[18:19], s10
	s_min_u32 s8, s8, 1
	s_or_b32 s8, s9, s8
	v_cvt_f32_u32_e32 v3, s8
	s_sub_i32 s8, 32, s10
	s_mov_b32 s9, 0x477fffff
	v_mov_b32_e32 v5, 0x80
	v_ldexp_f32 v3, v3, s8
	v_cmp_lt_u32_e32 vcc, s9, v3
	v_readfirstlane_b32 s8, v3
	s_cbranch_vccnz .LBB174_763
; %bb.742:
	s_cmp_gt_u32 s8, 0x37ffffff
	s_cbranch_scc0 .LBB174_758
; %bb.743:
	s_bfe_u32 s9, s8, 0x10015
	s_add_i32 s8, s8, s9
	s_add_i32 s8, s8, 0x88fffff
	s_lshr_b32 s12, s8, 21
	s_mov_b64 s[10:11], 0
	s_mov_b64 s[8:9], -1
	s_branch .LBB174_759
.LBB174_744:
	s_mov_b64 s[12:13], -1
	s_mov_b64 s[10:11], 0
                                        ; implicit-def: $sgpr14
.LBB174_745:
	s_andn2_b64 vcc, exec, s[12:13]
	v_mov_b32_e32 v4, s14
                                        ; implicit-def: $sgpr12
	s_cbranch_vccnz .LBB174_747
; %bb.746:
	v_add_f32_e32 v3, 0x46000000, v3
	v_and_b32_e32 v4, 0xff, v3
	s_mov_b32 s12, 0
	v_cmp_ne_u32_e64 s[10:11], 0, v4
.LBB174_747:
	s_andn2_b64 vcc, exec, s[10:11]
	v_mov_b32_e32 v5, s12
	s_cbranch_vccnz .LBB174_749
; %bb.748:
	v_mov_b32_e32 v5, v4
.LBB174_749:
	global_store_byte v[0:1], v5, off
.LBB174_750:
	s_mov_b64 s[10:11], 0
.LBB174_751:
	s_and_b64 vcc, exec, s[10:11]
	s_cbranch_vccz .LBB174_921
; %bb.752:
	v_cmp_lt_i16_e32 vcc, 22, v2
	s_mov_b64 s[8:9], -1
	s_cbranch_vccz .LBB174_914
; %bb.753:
	v_cmp_gt_i16_e32 vcc, 24, v2
	s_cbranch_vccnz .LBB174_901
; %bb.754:
	v_cmp_lt_i16_e32 vcc, 24, v2
	s_cbranch_vccz .LBB174_888
; %bb.755:
	s_flbit_i32_b32 s8, s19
	s_min_u32 s10, s8, 32
	s_lshl_b64 s[8:9], s[18:19], s10
	s_min_u32 s8, s8, 1
	s_or_b32 s8, s9, s8
	v_cvt_f32_u32_e32 v3, s8
	s_sub_i32 s8, 32, s10
	s_mov_b32 s9, 0x477fffff
	v_mov_b32_e32 v5, 0x80
	v_ldexp_f32 v3, v3, s8
	v_cmp_lt_u32_e32 vcc, s9, v3
	v_readfirstlane_b32 s8, v3
	s_cbranch_vccnz .LBB174_887
; %bb.756:
	s_cmp_gt_u32 s8, 0x37ffffff
	s_cbranch_scc0 .LBB174_882
; %bb.757:
	s_bfe_u32 s9, s8, 0x10015
	s_add_i32 s8, s8, s9
	s_add_i32 s8, s8, 0x88fffff
	s_lshr_b32 s12, s8, 21
	s_mov_b64 s[10:11], 0
	s_mov_b64 s[8:9], -1
	s_branch .LBB174_883
.LBB174_758:
	s_mov_b64 s[10:11], -1
	s_mov_b64 s[8:9], 0
                                        ; implicit-def: $sgpr12
.LBB174_759:
	s_andn2_b64 vcc, exec, s[10:11]
	v_mov_b32_e32 v4, s12
                                        ; implicit-def: $sgpr10
	s_cbranch_vccnz .LBB174_761
; %bb.760:
	v_add_f32_e32 v3, 0x42800000, v3
	v_and_b32_e32 v4, 0xff, v3
	s_mov_b32 s10, 0
	v_cmp_ne_u32_e64 s[8:9], 0, v4
.LBB174_761:
	s_andn2_b64 vcc, exec, s[8:9]
	v_mov_b32_e32 v5, s10
	s_cbranch_vccnz .LBB174_763
; %bb.762:
	v_mov_b32_e32 v5, v4
.LBB174_763:
	s_mov_b64 s[8:9], 0
	global_store_byte v[0:1], v5, off
.LBB174_764:
	s_and_b64 vcc, exec, s[8:9]
	s_cbranch_vccz .LBB174_776
; %bb.765:
	s_flbit_i32_b32 s8, s19
	s_min_u32 s10, s8, 32
	s_lshl_b64 s[8:9], s[18:19], s10
	s_min_u32 s8, s8, 1
	s_or_b32 s8, s9, s8
	v_cvt_f32_u32_e32 v3, s8
	s_sub_i32 s8, 32, s10
	v_ldexp_f32 v3, v3, s8
	s_mov_b32 s8, 0x43f00000
	v_cmp_gt_u32_e32 vcc, s8, v3
	v_readfirstlane_b32 s10, v3
	s_cbranch_vccz .LBB174_768
; %bb.766:
	s_cmp_gt_u32 s10, 0x3c7fffff
	s_cbranch_scc0 .LBB174_769
; %bb.767:
	s_bfe_u32 s8, s10, 0x10014
	s_add_i32 s8, s10, s8
	s_add_i32 s8, s8, 0x407ffff
	s_lshr_b32 s9, s8, 20
	s_and_b32 s8, s8, 0xff00000
	s_cmp_lg_u32 s8, 0x7f00000
	s_cselect_b32 s11, s9, 0x7e
	s_mov_b64 s[8:9], 0
	s_branch .LBB174_770
.LBB174_768:
	s_mov_b64 s[8:9], -1
                                        ; implicit-def: $vgpr4
	s_branch .LBB174_773
.LBB174_769:
	s_mov_b64 s[8:9], -1
                                        ; implicit-def: $sgpr11
.LBB174_770:
	s_andn2_b64 vcc, exec, s[8:9]
	v_mov_b32_e32 v4, s11
	s_cbranch_vccnz .LBB174_772
; %bb.771:
	v_add_f32_e32 v4, 0x46800000, v3
.LBB174_772:
	s_mov_b64 s[8:9], 0
.LBB174_773:
	s_andn2_b64 vcc, exec, s[8:9]
	s_cbranch_vccnz .LBB174_775
; %bb.774:
	s_cmp_gt_u32 s10, 0x7f800000
	s_movk_i32 s8, 0x7f
	s_cselect_b32 s8, s8, 0x7e
	v_mov_b32_e32 v4, s8
.LBB174_775:
	global_store_byte v[0:1], v4, off
.LBB174_776:
	s_mov_b64 s[8:9], 0
.LBB174_777:
	s_andn2_b64 vcc, exec, s[8:9]
	s_cbranch_vccnz .LBB174_789
; %bb.778:
	s_flbit_i32_b32 s8, s19
	s_min_u32 s10, s8, 32
	s_lshl_b64 s[8:9], s[18:19], s10
	s_min_u32 s8, s8, 1
	s_or_b32 s8, s9, s8
	v_cvt_f32_u32_e32 v3, s8
	s_sub_i32 s8, 32, s10
	v_ldexp_f32 v3, v3, s8
	s_mov_b32 s8, 0x47800000
	v_cmp_gt_u32_e32 vcc, s8, v3
	v_readfirstlane_b32 s10, v3
	s_cbranch_vccz .LBB174_781
; %bb.779:
	s_cmp_gt_u32 s10, 0x387fffff
	s_cbranch_scc0 .LBB174_782
; %bb.780:
	s_bfe_u32 s8, s10, 0x10015
	s_add_i32 s8, s10, s8
	s_add_i32 s8, s8, 0x80fffff
	s_lshr_b32 s11, s8, 21
	s_mov_b64 s[8:9], 0
	s_branch .LBB174_783
.LBB174_781:
	s_mov_b64 s[8:9], -1
                                        ; implicit-def: $vgpr4
	s_branch .LBB174_786
.LBB174_782:
	s_mov_b64 s[8:9], -1
                                        ; implicit-def: $sgpr11
.LBB174_783:
	s_andn2_b64 vcc, exec, s[8:9]
	v_mov_b32_e32 v4, s11
	s_cbranch_vccnz .LBB174_785
; %bb.784:
	v_add_f32_e32 v4, 0x43000000, v3
.LBB174_785:
	s_mov_b64 s[8:9], 0
.LBB174_786:
	s_andn2_b64 vcc, exec, s[8:9]
	s_cbranch_vccnz .LBB174_788
; %bb.787:
	s_cmp_gt_u32 s10, 0x7f800000
	s_movk_i32 s8, 0x7f
	s_cselect_b32 s8, s8, 0x7c
	v_mov_b32_e32 v4, s8
.LBB174_788:
	global_store_byte v[0:1], v4, off
.LBB174_789:
	s_mov_b64 s[8:9], 0
	s_mov_b64 s[10:11], -1
.LBB174_790:
	s_andn2_b64 vcc, exec, s[8:9]
	s_mov_b64 s[8:9], 0
	s_cbranch_vccnz .LBB174_797
; %bb.791:
	v_mov_b32_e32 v3, 14
	v_cmp_gt_i16_sdwa s[8:9], s33, v3 src0_sel:BYTE_0 src1_sel:DWORD
	s_mov_b64 s[12:13], -1
	s_and_b64 vcc, exec, s[8:9]
	s_cbranch_vccz .LBB174_795
; %bb.792:
	v_mov_b32_e32 v3, 15
	v_cmp_eq_u16_sdwa s[8:9], s33, v3 src0_sel:BYTE_0 src1_sel:DWORD
	s_mov_b64 s[6:7], -1
	s_and_b64 vcc, exec, s[8:9]
	s_cbranch_vccz .LBB174_794
; %bb.793:
	s_flbit_i32_b32 s6, s19
	s_min_u32 s8, s6, 32
	s_lshl_b64 s[6:7], s[18:19], s8
	s_min_u32 s6, s6, 1
	s_or_b32 s6, s7, s6
	v_cvt_f32_u32_e32 v3, s6
	s_sub_i32 s8, 32, s8
	s_mov_b64 s[6:7], 0
	s_mov_b64 s[10:11], -1
	v_ldexp_f32 v3, v3, s8
	v_bfe_u32 v4, v3, 16, 1
	v_add_u32_e32 v3, v3, v4
	v_add_u32_e32 v3, 0x7fff, v3
	global_store_short_d16_hi v[0:1], v3, off
.LBB174_794:
	s_mov_b64 s[12:13], 0
.LBB174_795:
	s_mov_b64 s[8:9], 0
	s_and_b64 vcc, exec, s[12:13]
	s_cbranch_vccz .LBB174_797
; %bb.796:
	v_mov_b32_e32 v3, 11
	v_cmp_ne_u16_sdwa s[6:7], s33, v3 src0_sel:BYTE_0 src1_sel:DWORD
	s_mov_b64 s[8:9], -1
.LBB174_797:
	s_and_b64 vcc, exec, s[6:7]
	s_cbranch_vccnz .LBB174_881
; %bb.798:
	s_andn2_b64 vcc, exec, s[8:9]
	s_cbranch_vccnz .LBB174_800
.LBB174_799:
	s_cmp_lg_u64 s[18:19], 0
	s_cselect_b64 s[6:7], -1, 0
	v_cndmask_b32_e64 v3, 0, 1, s[6:7]
	s_mov_b64 s[10:11], -1
	global_store_byte v[0:1], v3, off
.LBB174_800:
	s_branch .LBB174_673
.LBB174_801:
	v_mov_b32_e32 v3, 5
	v_cmp_lt_i16_sdwa s[8:9], s33, v3 src0_sel:BYTE_0 src1_sel:DWORD
	s_mov_b64 s[6:7], -1
	s_and_b64 vcc, exec, s[8:9]
	s_cbranch_vccnz .LBB174_822
; %bb.802:
	v_mov_b32_e32 v3, 8
	v_cmp_lt_i16_sdwa s[8:9], s33, v3 src0_sel:BYTE_0 src1_sel:DWORD
	s_and_b64 vcc, exec, s[8:9]
	s_cbranch_vccnz .LBB174_812
; %bb.803:
	v_mov_b32_e32 v3, 9
	v_cmp_lt_i16_sdwa s[8:9], s33, v3 src0_sel:BYTE_0 src1_sel:DWORD
	s_and_b64 vcc, exec, s[8:9]
	s_cbranch_vccnz .LBB174_809
; %bb.804:
	v_cmp_gt_i16_sdwa s[8:9], s33, v3 src0_sel:BYTE_0 src1_sel:DWORD
	s_and_b64 vcc, exec, s[8:9]
	s_cbranch_vccz .LBB174_806
; %bb.805:
	v_cvt_f64_u32_e32 v[4:5], s19
	v_ldexp_f64 v[4:5], v[4:5], 32
	v_cvt_f64_u32_e32 v[6:7], s18
	v_add_f64 v[4:5], v[4:5], v[6:7]
	v_mov_b32_e32 v6, 0
	v_mov_b32_e32 v7, v6
	global_store_dwordx4 v[0:1], v[4:7], off
	s_mov_b64 s[6:7], 0
.LBB174_806:
	s_andn2_b64 vcc, exec, s[6:7]
	s_cbranch_vccnz .LBB174_808
; %bb.807:
	s_flbit_i32_b32 s6, s19
	s_min_u32 s8, s6, 32
	s_lshl_b64 s[6:7], s[18:19], s8
	s_min_u32 s6, s6, 1
	s_or_b32 s6, s7, s6
	v_cvt_f32_u32_e32 v3, s6
	s_sub_i32 s6, 32, s8
	v_mov_b32_e32 v5, 0
	v_ldexp_f32 v4, v3, s6
	global_store_dwordx2 v[0:1], v[4:5], off
.LBB174_808:
	s_mov_b64 s[6:7], 0
.LBB174_809:
	s_andn2_b64 vcc, exec, s[6:7]
	s_cbranch_vccnz .LBB174_811
; %bb.810:
	s_flbit_i32_b32 s6, s19
	s_min_u32 s8, s6, 32
	s_lshl_b64 s[6:7], s[18:19], s8
	s_min_u32 s6, s6, 1
	s_or_b32 s6, s7, s6
	v_cvt_f32_u32_e32 v3, s6
	s_sub_i32 s6, 32, s8
	v_ldexp_f32 v3, v3, s6
	v_cvt_f16_f32_e32 v3, v3
	global_store_dword v[0:1], v3, off
.LBB174_811:
	s_mov_b64 s[6:7], 0
.LBB174_812:
	s_andn2_b64 vcc, exec, s[6:7]
	s_cbranch_vccnz .LBB174_821
; %bb.813:
	v_mov_b32_e32 v3, 6
	v_cmp_lt_i16_sdwa s[8:9], s33, v3 src0_sel:BYTE_0 src1_sel:DWORD
	s_mov_b64 s[6:7], -1
	s_and_b64 vcc, exec, s[8:9]
	s_cbranch_vccnz .LBB174_819
; %bb.814:
	v_cmp_gt_i16_sdwa s[8:9], s33, v3 src0_sel:BYTE_0 src1_sel:DWORD
	s_and_b64 vcc, exec, s[8:9]
	s_cbranch_vccz .LBB174_816
; %bb.815:
	v_cvt_f64_u32_e32 v[4:5], s19
	v_ldexp_f64 v[4:5], v[4:5], 32
	v_cvt_f64_u32_e32 v[6:7], s18
	v_add_f64 v[4:5], v[4:5], v[6:7]
	global_store_dwordx2 v[0:1], v[4:5], off
	s_mov_b64 s[6:7], 0
.LBB174_816:
	s_andn2_b64 vcc, exec, s[6:7]
	s_cbranch_vccnz .LBB174_818
; %bb.817:
	s_flbit_i32_b32 s6, s19
	s_min_u32 s8, s6, 32
	s_lshl_b64 s[6:7], s[18:19], s8
	s_min_u32 s6, s6, 1
	s_or_b32 s6, s7, s6
	v_cvt_f32_u32_e32 v3, s6
	s_sub_i32 s6, 32, s8
	v_ldexp_f32 v3, v3, s6
	global_store_dword v[0:1], v3, off
.LBB174_818:
	s_mov_b64 s[6:7], 0
.LBB174_819:
	s_andn2_b64 vcc, exec, s[6:7]
	s_cbranch_vccnz .LBB174_821
; %bb.820:
	s_flbit_i32_b32 s6, s19
	s_min_u32 s8, s6, 32
	s_lshl_b64 s[6:7], s[18:19], s8
	s_min_u32 s6, s6, 1
	s_or_b32 s6, s7, s6
	v_cvt_f32_u32_e32 v3, s6
	s_sub_i32 s6, 32, s8
	v_ldexp_f32 v3, v3, s6
	v_cvt_f16_f32_e32 v3, v3
	global_store_short v[0:1], v3, off
.LBB174_821:
	s_mov_b64 s[6:7], 0
.LBB174_822:
	s_andn2_b64 vcc, exec, s[6:7]
	s_cbranch_vccnz .LBB174_838
; %bb.823:
	v_mov_b32_e32 v3, 2
	v_cmp_lt_i16_sdwa s[8:9], s33, v3 src0_sel:BYTE_0 src1_sel:DWORD
	s_mov_b64 s[6:7], -1
	s_and_b64 vcc, exec, s[8:9]
	s_cbranch_vccnz .LBB174_833
; %bb.824:
	v_mov_b32_e32 v3, 3
	v_cmp_lt_i16_sdwa s[8:9], s33, v3 src0_sel:BYTE_0 src1_sel:DWORD
	s_and_b64 vcc, exec, s[8:9]
	s_cbranch_vccnz .LBB174_830
; %bb.825:
	v_cmp_gt_i16_sdwa s[8:9], s33, v3 src0_sel:BYTE_0 src1_sel:DWORD
	s_and_b64 vcc, exec, s[8:9]
	s_cbranch_vccz .LBB174_827
; %bb.826:
	v_pk_mov_b32 v[4:5], s[18:19], s[18:19] op_sel:[0,1]
	global_store_dwordx2 v[0:1], v[4:5], off
	s_mov_b64 s[6:7], 0
.LBB174_827:
	s_andn2_b64 vcc, exec, s[6:7]
	s_cbranch_vccnz .LBB174_829
; %bb.828:
	v_mov_b32_e32 v3, s18
	global_store_dword v[0:1], v3, off
.LBB174_829:
	s_mov_b64 s[6:7], 0
.LBB174_830:
	s_andn2_b64 vcc, exec, s[6:7]
	s_cbranch_vccnz .LBB174_832
; %bb.831:
	v_mov_b32_e32 v3, s18
	global_store_short v[0:1], v3, off
.LBB174_832:
	s_mov_b64 s[6:7], 0
.LBB174_833:
	s_andn2_b64 vcc, exec, s[6:7]
	s_cbranch_vccnz .LBB174_838
; %bb.834:
	v_mov_b32_e32 v3, 0
	v_cmp_gt_i16_sdwa s[8:9], s33, v3 src0_sel:BYTE_0 src1_sel:DWORD
	s_mov_b64 s[6:7], -1
	s_and_b64 vcc, exec, s[8:9]
	s_cbranch_vccz .LBB174_836
; %bb.835:
	v_mov_b32_e32 v3, s18
	global_store_byte v[0:1], v3, off
	s_mov_b64 s[6:7], 0
.LBB174_836:
	s_andn2_b64 vcc, exec, s[6:7]
	s_cbranch_vccnz .LBB174_838
; %bb.837:
	v_mov_b32_e32 v3, s18
	global_store_byte v[0:1], v3, off
.LBB174_838:
	s_branch .LBB174_674
.LBB174_839:
	s_mov_b64 s[6:7], 0
	s_mov_b64 s[8:9], 0
                                        ; implicit-def: $vgpr2
                                        ; implicit-def: $vgpr0_vgpr1
.LBB174_840:
	s_andn2_b64 s[0:1], s[0:1], exec
	s_and_b64 s[4:5], s[4:5], exec
	s_and_b64 s[6:7], s[6:7], exec
	;; [unrolled: 1-line block ×3, first 2 shown]
	s_or_b64 s[0:1], s[0:1], s[4:5]
	s_or_b64 exec, exec, s[2:3]
	s_and_saveexec_b64 s[2:3], s[0:1]
	s_cbranch_execnz .LBB174_413
.LBB174_841:
	s_or_b64 exec, exec, s[2:3]
	s_and_saveexec_b64 s[0:1], s[22:23]
	s_xor_b64 s[0:1], exec, s[0:1]
	s_cbranch_execz .LBB174_414
.LBB174_842:
	s_cmp_lg_u64 s[18:19], 0
	s_cselect_b64 s[2:3], -1, 0
	v_cndmask_b32_e64 v3, 0, 1, s[2:3]
	global_store_byte v[0:1], v3, off
	s_or_b64 exec, exec, s[0:1]
	s_and_saveexec_b64 s[0:1], s[6:7]
	s_cbranch_execz .LBB174_880
.LBB174_843:
	v_cmp_gt_i16_e32 vcc, 5, v2
	s_mov_b64 s[0:1], -1
	s_cbranch_vccnz .LBB174_864
; %bb.844:
	v_cmp_gt_i16_e32 vcc, 8, v2
	s_cbranch_vccnz .LBB174_854
; %bb.845:
	v_cmp_gt_i16_e32 vcc, 9, v2
	s_cbranch_vccnz .LBB174_851
; %bb.846:
	v_cmp_lt_i16_e32 vcc, 9, v2
	s_cbranch_vccz .LBB174_848
; %bb.847:
	v_cvt_f64_u32_e32 v[4:5], s19
	v_ldexp_f64 v[4:5], v[4:5], 32
	v_cvt_f64_u32_e32 v[6:7], s18
	v_add_f64 v[4:5], v[4:5], v[6:7]
	v_mov_b32_e32 v6, 0
	v_mov_b32_e32 v7, v6
	global_store_dwordx4 v[0:1], v[4:7], off
	s_mov_b64 s[0:1], 0
.LBB174_848:
	s_andn2_b64 vcc, exec, s[0:1]
	s_cbranch_vccnz .LBB174_850
; %bb.849:
	s_flbit_i32_b32 s0, s19
	s_min_u32 s2, s0, 32
	s_lshl_b64 s[0:1], s[18:19], s2
	s_min_u32 s0, s0, 1
	s_or_b32 s0, s1, s0
	v_cvt_f32_u32_e32 v3, s0
	s_sub_i32 s0, 32, s2
	v_mov_b32_e32 v5, 0
	v_ldexp_f32 v4, v3, s0
	global_store_dwordx2 v[0:1], v[4:5], off
.LBB174_850:
	s_mov_b64 s[0:1], 0
.LBB174_851:
	s_andn2_b64 vcc, exec, s[0:1]
	s_cbranch_vccnz .LBB174_853
; %bb.852:
	s_flbit_i32_b32 s0, s19
	s_min_u32 s2, s0, 32
	s_lshl_b64 s[0:1], s[18:19], s2
	s_min_u32 s0, s0, 1
	s_or_b32 s0, s1, s0
	v_cvt_f32_u32_e32 v3, s0
	s_sub_i32 s0, 32, s2
	v_ldexp_f32 v3, v3, s0
	v_cvt_f16_f32_e32 v3, v3
	global_store_dword v[0:1], v3, off
.LBB174_853:
	s_mov_b64 s[0:1], 0
.LBB174_854:
	s_andn2_b64 vcc, exec, s[0:1]
	s_cbranch_vccnz .LBB174_863
; %bb.855:
	v_cmp_gt_i16_e32 vcc, 6, v2
	s_mov_b64 s[0:1], -1
	s_cbranch_vccnz .LBB174_861
; %bb.856:
	v_cmp_lt_i16_e32 vcc, 6, v2
	s_cbranch_vccz .LBB174_858
; %bb.857:
	v_cvt_f64_u32_e32 v[4:5], s19
	v_ldexp_f64 v[4:5], v[4:5], 32
	v_cvt_f64_u32_e32 v[6:7], s18
	v_add_f64 v[4:5], v[4:5], v[6:7]
	global_store_dwordx2 v[0:1], v[4:5], off
	s_mov_b64 s[0:1], 0
.LBB174_858:
	s_andn2_b64 vcc, exec, s[0:1]
	s_cbranch_vccnz .LBB174_860
; %bb.859:
	s_flbit_i32_b32 s0, s19
	s_min_u32 s2, s0, 32
	s_lshl_b64 s[0:1], s[18:19], s2
	s_min_u32 s0, s0, 1
	s_or_b32 s0, s1, s0
	v_cvt_f32_u32_e32 v3, s0
	s_sub_i32 s0, 32, s2
	v_ldexp_f32 v3, v3, s0
	global_store_dword v[0:1], v3, off
.LBB174_860:
	s_mov_b64 s[0:1], 0
.LBB174_861:
	s_andn2_b64 vcc, exec, s[0:1]
	s_cbranch_vccnz .LBB174_863
; %bb.862:
	s_flbit_i32_b32 s0, s19
	s_min_u32 s2, s0, 32
	s_lshl_b64 s[0:1], s[18:19], s2
	s_min_u32 s0, s0, 1
	s_or_b32 s0, s1, s0
	v_cvt_f32_u32_e32 v3, s0
	s_sub_i32 s0, 32, s2
	v_ldexp_f32 v3, v3, s0
	v_cvt_f16_f32_e32 v3, v3
	global_store_short v[0:1], v3, off
.LBB174_863:
	s_mov_b64 s[0:1], 0
.LBB174_864:
	s_andn2_b64 vcc, exec, s[0:1]
	s_cbranch_vccnz .LBB174_880
; %bb.865:
	v_cmp_gt_i16_e32 vcc, 2, v2
	s_mov_b64 s[0:1], -1
	s_cbranch_vccnz .LBB174_875
; %bb.866:
	v_cmp_gt_i16_e32 vcc, 3, v2
	s_cbranch_vccnz .LBB174_872
; %bb.867:
	v_cmp_lt_i16_e32 vcc, 3, v2
	s_cbranch_vccz .LBB174_869
; %bb.868:
	v_pk_mov_b32 v[4:5], s[18:19], s[18:19] op_sel:[0,1]
	global_store_dwordx2 v[0:1], v[4:5], off
	s_mov_b64 s[0:1], 0
.LBB174_869:
	s_andn2_b64 vcc, exec, s[0:1]
	s_cbranch_vccnz .LBB174_871
; %bb.870:
	v_mov_b32_e32 v3, s18
	global_store_dword v[0:1], v3, off
.LBB174_871:
	s_mov_b64 s[0:1], 0
.LBB174_872:
	s_andn2_b64 vcc, exec, s[0:1]
	s_cbranch_vccnz .LBB174_874
; %bb.873:
	v_mov_b32_e32 v3, s18
	global_store_short v[0:1], v3, off
.LBB174_874:
	s_mov_b64 s[0:1], 0
.LBB174_875:
	s_andn2_b64 vcc, exec, s[0:1]
	s_cbranch_vccnz .LBB174_880
; %bb.876:
	v_cmp_lt_i16_e32 vcc, 0, v2
	s_mov_b64 s[0:1], -1
	s_cbranch_vccz .LBB174_878
; %bb.877:
	v_mov_b32_e32 v2, s18
	global_store_byte v[0:1], v2, off
	s_mov_b64 s[0:1], 0
.LBB174_878:
	s_andn2_b64 vcc, exec, s[0:1]
	s_cbranch_vccnz .LBB174_880
; %bb.879:
	v_mov_b32_e32 v2, s18
	global_store_byte v[0:1], v2, off
	s_endpgm
.LBB174_880:
	s_endpgm
.LBB174_881:
	s_trap 2
	s_or_b64 s[4:5], s[4:5], exec
	s_cbranch_execz .LBB174_799
	s_branch .LBB174_800
.LBB174_882:
	s_mov_b64 s[10:11], -1
	s_mov_b64 s[8:9], 0
                                        ; implicit-def: $sgpr12
.LBB174_883:
	s_andn2_b64 vcc, exec, s[10:11]
	v_mov_b32_e32 v4, s12
                                        ; implicit-def: $sgpr10
	s_cbranch_vccnz .LBB174_885
; %bb.884:
	v_add_f32_e32 v3, 0x42800000, v3
	v_and_b32_e32 v4, 0xff, v3
	s_mov_b32 s10, 0
	v_cmp_ne_u32_e64 s[8:9], 0, v4
.LBB174_885:
	s_andn2_b64 vcc, exec, s[8:9]
	v_mov_b32_e32 v5, s10
	s_cbranch_vccnz .LBB174_887
; %bb.886:
	v_mov_b32_e32 v5, v4
.LBB174_887:
	s_mov_b64 s[8:9], 0
	global_store_byte v[0:1], v5, off
.LBB174_888:
	s_and_b64 vcc, exec, s[8:9]
	s_cbranch_vccz .LBB174_900
; %bb.889:
	s_flbit_i32_b32 s8, s19
	s_min_u32 s10, s8, 32
	s_lshl_b64 s[8:9], s[18:19], s10
	s_min_u32 s8, s8, 1
	s_or_b32 s8, s9, s8
	v_cvt_f32_u32_e32 v3, s8
	s_sub_i32 s8, 32, s10
	v_ldexp_f32 v3, v3, s8
	s_mov_b32 s8, 0x43f00000
	v_cmp_gt_u32_e32 vcc, s8, v3
	v_readfirstlane_b32 s10, v3
	s_cbranch_vccz .LBB174_892
; %bb.890:
	s_cmp_gt_u32 s10, 0x3c7fffff
	s_cbranch_scc0 .LBB174_893
; %bb.891:
	s_bfe_u32 s8, s10, 0x10014
	s_add_i32 s8, s10, s8
	s_add_i32 s8, s8, 0x407ffff
	s_lshr_b32 s9, s8, 20
	s_and_b32 s8, s8, 0xff00000
	s_cmp_lg_u32 s8, 0x7f00000
	s_cselect_b32 s11, s9, 0x7e
	s_mov_b64 s[8:9], 0
	s_branch .LBB174_894
.LBB174_892:
	s_mov_b64 s[8:9], -1
                                        ; implicit-def: $vgpr4
	s_branch .LBB174_897
.LBB174_893:
	s_mov_b64 s[8:9], -1
                                        ; implicit-def: $sgpr11
.LBB174_894:
	s_andn2_b64 vcc, exec, s[8:9]
	v_mov_b32_e32 v4, s11
	s_cbranch_vccnz .LBB174_896
; %bb.895:
	v_add_f32_e32 v4, 0x46800000, v3
.LBB174_896:
	s_mov_b64 s[8:9], 0
.LBB174_897:
	s_andn2_b64 vcc, exec, s[8:9]
	s_cbranch_vccnz .LBB174_899
; %bb.898:
	s_cmp_gt_u32 s10, 0x7f800000
	s_movk_i32 s8, 0x7f
	s_cselect_b32 s8, s8, 0x7e
	v_mov_b32_e32 v4, s8
.LBB174_899:
	global_store_byte v[0:1], v4, off
.LBB174_900:
	s_mov_b64 s[8:9], 0
.LBB174_901:
	s_andn2_b64 vcc, exec, s[8:9]
	s_cbranch_vccnz .LBB174_913
; %bb.902:
	s_flbit_i32_b32 s8, s19
	s_min_u32 s10, s8, 32
	s_lshl_b64 s[8:9], s[18:19], s10
	s_min_u32 s8, s8, 1
	s_or_b32 s8, s9, s8
	v_cvt_f32_u32_e32 v3, s8
	s_sub_i32 s8, 32, s10
	v_ldexp_f32 v3, v3, s8
	s_mov_b32 s8, 0x47800000
	v_cmp_gt_u32_e32 vcc, s8, v3
	v_readfirstlane_b32 s10, v3
	s_cbranch_vccz .LBB174_905
; %bb.903:
	s_cmp_gt_u32 s10, 0x387fffff
	s_cbranch_scc0 .LBB174_906
; %bb.904:
	s_bfe_u32 s8, s10, 0x10015
	s_add_i32 s8, s10, s8
	s_add_i32 s8, s8, 0x80fffff
	s_lshr_b32 s11, s8, 21
	s_mov_b64 s[8:9], 0
	s_branch .LBB174_907
.LBB174_905:
	s_mov_b64 s[8:9], -1
                                        ; implicit-def: $vgpr4
	s_branch .LBB174_910
.LBB174_906:
	s_mov_b64 s[8:9], -1
                                        ; implicit-def: $sgpr11
.LBB174_907:
	s_andn2_b64 vcc, exec, s[8:9]
	v_mov_b32_e32 v4, s11
	s_cbranch_vccnz .LBB174_909
; %bb.908:
	v_add_f32_e32 v4, 0x43000000, v3
.LBB174_909:
	s_mov_b64 s[8:9], 0
.LBB174_910:
	s_andn2_b64 vcc, exec, s[8:9]
	s_cbranch_vccnz .LBB174_912
; %bb.911:
	s_cmp_gt_u32 s10, 0x7f800000
	s_movk_i32 s8, 0x7f
	s_cselect_b32 s8, s8, 0x7c
	v_mov_b32_e32 v4, s8
.LBB174_912:
	global_store_byte v[0:1], v4, off
.LBB174_913:
	s_mov_b64 s[8:9], 0
.LBB174_914:
	s_andn2_b64 vcc, exec, s[8:9]
	s_mov_b64 s[8:9], 0
	s_cbranch_vccnz .LBB174_921
; %bb.915:
	v_cmp_lt_i16_e32 vcc, 14, v2
	s_mov_b64 s[10:11], -1
	s_cbranch_vccz .LBB174_919
; %bb.916:
	v_cmp_eq_u16_e32 vcc, 15, v2
	s_mov_b64 s[6:7], -1
	s_cbranch_vccz .LBB174_918
; %bb.917:
	s_flbit_i32_b32 s6, s19
	s_min_u32 s8, s6, 32
	s_lshl_b64 s[6:7], s[18:19], s8
	s_min_u32 s6, s6, 1
	s_or_b32 s6, s7, s6
	v_cvt_f32_u32_e32 v3, s6
	s_sub_i32 s6, 32, s8
	v_ldexp_f32 v3, v3, s6
	v_bfe_u32 v4, v3, 16, 1
	v_add_u32_e32 v3, v3, v4
	v_add_u32_e32 v3, 0x7fff, v3
	global_store_short_d16_hi v[0:1], v3, off
	s_mov_b64 s[6:7], 0
.LBB174_918:
	s_mov_b64 s[10:11], 0
.LBB174_919:
	s_mov_b64 s[8:9], 0
	s_and_b64 vcc, exec, s[10:11]
	s_cbranch_vccz .LBB174_921
; %bb.920:
	v_cmp_ne_u16_e64 s[6:7], 11, v2
	s_mov_b64 s[8:9], -1
.LBB174_921:
	s_and_b64 vcc, exec, s[6:7]
	s_cbranch_vccnz .LBB174_923
.LBB174_922:
	s_mov_b64 s[6:7], 0
	s_branch .LBB174_840
.LBB174_923:
	s_mov_b64 s[8:9], 0
	s_or_b64 s[4:5], s[4:5], exec
	s_trap 2
	s_branch .LBB174_922
	.section	.rodata,"a",@progbits
	.p2align	6, 0x0
	.amdhsa_kernel _ZN2at6native32elementwise_kernel_manual_unrollILi128ELi4EZNS0_15gpu_kernel_implINS0_11FillFunctorImEEEEvRNS_18TensorIteratorBaseERKT_EUlibE_EEviT1_
		.amdhsa_group_segment_fixed_size 0
		.amdhsa_private_segment_fixed_size 0
		.amdhsa_kernarg_size 40
		.amdhsa_user_sgpr_count 6
		.amdhsa_user_sgpr_private_segment_buffer 1
		.amdhsa_user_sgpr_dispatch_ptr 0
		.amdhsa_user_sgpr_queue_ptr 0
		.amdhsa_user_sgpr_kernarg_segment_ptr 1
		.amdhsa_user_sgpr_dispatch_id 0
		.amdhsa_user_sgpr_flat_scratch_init 0
		.amdhsa_user_sgpr_kernarg_preload_length 0
		.amdhsa_user_sgpr_kernarg_preload_offset 0
		.amdhsa_user_sgpr_private_segment_size 0
		.amdhsa_uses_dynamic_stack 0
		.amdhsa_system_sgpr_private_segment_wavefront_offset 0
		.amdhsa_system_sgpr_workgroup_id_x 1
		.amdhsa_system_sgpr_workgroup_id_y 0
		.amdhsa_system_sgpr_workgroup_id_z 0
		.amdhsa_system_sgpr_workgroup_info 0
		.amdhsa_system_vgpr_workitem_id 0
		.amdhsa_next_free_vgpr 24
		.amdhsa_next_free_sgpr 53
		.amdhsa_accum_offset 24
		.amdhsa_reserve_vcc 1
		.amdhsa_reserve_flat_scratch 0
		.amdhsa_float_round_mode_32 0
		.amdhsa_float_round_mode_16_64 0
		.amdhsa_float_denorm_mode_32 3
		.amdhsa_float_denorm_mode_16_64 3
		.amdhsa_dx10_clamp 1
		.amdhsa_ieee_mode 1
		.amdhsa_fp16_overflow 0
		.amdhsa_tg_split 0
		.amdhsa_exception_fp_ieee_invalid_op 0
		.amdhsa_exception_fp_denorm_src 0
		.amdhsa_exception_fp_ieee_div_zero 0
		.amdhsa_exception_fp_ieee_overflow 0
		.amdhsa_exception_fp_ieee_underflow 0
		.amdhsa_exception_fp_ieee_inexact 0
		.amdhsa_exception_int_div_zero 0
	.end_amdhsa_kernel
	.section	.text._ZN2at6native32elementwise_kernel_manual_unrollILi128ELi4EZNS0_15gpu_kernel_implINS0_11FillFunctorImEEEEvRNS_18TensorIteratorBaseERKT_EUlibE_EEviT1_,"axG",@progbits,_ZN2at6native32elementwise_kernel_manual_unrollILi128ELi4EZNS0_15gpu_kernel_implINS0_11FillFunctorImEEEEvRNS_18TensorIteratorBaseERKT_EUlibE_EEviT1_,comdat
.Lfunc_end174:
	.size	_ZN2at6native32elementwise_kernel_manual_unrollILi128ELi4EZNS0_15gpu_kernel_implINS0_11FillFunctorImEEEEvRNS_18TensorIteratorBaseERKT_EUlibE_EEviT1_, .Lfunc_end174-_ZN2at6native32elementwise_kernel_manual_unrollILi128ELi4EZNS0_15gpu_kernel_implINS0_11FillFunctorImEEEEvRNS_18TensorIteratorBaseERKT_EUlibE_EEviT1_
                                        ; -- End function
	.section	.AMDGPU.csdata,"",@progbits
; Kernel info:
; codeLenInByte = 15004
; NumSgprs: 57
; NumVgprs: 24
; NumAgprs: 0
; TotalNumVgprs: 24
; ScratchSize: 0
; MemoryBound: 0
; FloatMode: 240
; IeeeMode: 1
; LDSByteSize: 0 bytes/workgroup (compile time only)
; SGPRBlocks: 7
; VGPRBlocks: 2
; NumSGPRsForWavesPerEU: 57
; NumVGPRsForWavesPerEU: 24
; AccumOffset: 24
; Occupancy: 8
; WaveLimiterHint : 0
; COMPUTE_PGM_RSRC2:SCRATCH_EN: 0
; COMPUTE_PGM_RSRC2:USER_SGPR: 6
; COMPUTE_PGM_RSRC2:TRAP_HANDLER: 0
; COMPUTE_PGM_RSRC2:TGID_X_EN: 1
; COMPUTE_PGM_RSRC2:TGID_Y_EN: 0
; COMPUTE_PGM_RSRC2:TGID_Z_EN: 0
; COMPUTE_PGM_RSRC2:TIDIG_COMP_CNT: 0
; COMPUTE_PGM_RSRC3_GFX90A:ACCUM_OFFSET: 5
; COMPUTE_PGM_RSRC3_GFX90A:TG_SPLIT: 0
	.section	.text._ZN2at6native32elementwise_kernel_manual_unrollILi128ELi4EZNS0_15gpu_kernel_implINS0_11FillFunctorImEEEEvRNS_18TensorIteratorBaseERKT_EUlibE0_EEviT1_,"axG",@progbits,_ZN2at6native32elementwise_kernel_manual_unrollILi128ELi4EZNS0_15gpu_kernel_implINS0_11FillFunctorImEEEEvRNS_18TensorIteratorBaseERKT_EUlibE0_EEviT1_,comdat
	.protected	_ZN2at6native32elementwise_kernel_manual_unrollILi128ELi4EZNS0_15gpu_kernel_implINS0_11FillFunctorImEEEEvRNS_18TensorIteratorBaseERKT_EUlibE0_EEviT1_ ; -- Begin function _ZN2at6native32elementwise_kernel_manual_unrollILi128ELi4EZNS0_15gpu_kernel_implINS0_11FillFunctorImEEEEvRNS_18TensorIteratorBaseERKT_EUlibE0_EEviT1_
	.globl	_ZN2at6native32elementwise_kernel_manual_unrollILi128ELi4EZNS0_15gpu_kernel_implINS0_11FillFunctorImEEEEvRNS_18TensorIteratorBaseERKT_EUlibE0_EEviT1_
	.p2align	8
	.type	_ZN2at6native32elementwise_kernel_manual_unrollILi128ELi4EZNS0_15gpu_kernel_implINS0_11FillFunctorImEEEEvRNS_18TensorIteratorBaseERKT_EUlibE0_EEviT1_,@function
_ZN2at6native32elementwise_kernel_manual_unrollILi128ELi4EZNS0_15gpu_kernel_implINS0_11FillFunctorImEEEEvRNS_18TensorIteratorBaseERKT_EUlibE0_EEviT1_: ; @_ZN2at6native32elementwise_kernel_manual_unrollILi128ELi4EZNS0_15gpu_kernel_implINS0_11FillFunctorImEEEEvRNS_18TensorIteratorBaseERKT_EUlibE0_EEviT1_
; %bb.0:
	s_load_dword s82, s[4:5], 0x0
	s_load_dword s33, s[4:5], 0x8
	s_or_b32 s4, s4, 8
	v_lshl_or_b32 v9, s6, 9, v0
	v_or_b32_e32 v8, 0x180, v9
	s_waitcnt lgkmcnt(0)
	v_cmp_le_i32_e32 vcc, s82, v8
	s_add_i32 s80, s33, -1
	s_cmp_gt_u32 s80, 1
	s_cselect_b64 s[48:49], -1, 0
	s_mov_b64 s[34:35], 0
	s_mov_b64 s[6:7], 0
	s_and_saveexec_b64 s[0:1], vcc
	s_xor_b64 s[50:51], exec, s[0:1]
	s_cbranch_execz .LBB175_462
; %bb.1:
	s_load_dwordx2 s[56:57], s[4:5], 0xc4
	s_load_dwordx4 s[28:31], s[4:5], 0x108
	s_cmp_lg_u32 s33, 0
	s_cselect_b64 s[64:65], -1, 0
	s_add_u32 s62, s4, 0xc4
	s_addc_u32 s63, s5, 0
	s_min_u32 s83, s80, 15
	s_cmp_gt_u32 s33, 1
	s_waitcnt lgkmcnt(0)
	s_flbit_i32_b32 s0, s31
	s_cselect_b64 s[58:59], -1, 0
	s_min_u32 s2, s0, 32
	s_lshl_b64 s[0:1], s[30:31], s2
	s_min_u32 s0, s0, 1
	s_or_b32 s0, s1, s0
	v_cvt_f32_u32_e32 v0, s0
	s_sub_i32 s0, 32, s2
	s_mov_b32 s2, 0x47800000
	v_mov_b32_e32 v3, 0x7e
	v_ldexp_f32 v4, v0, s0
	v_and_b32_e32 v1, 0x400000, v4
	v_lshrrev_b32_e32 v0, 23, v4
	v_cmp_ne_u32_e32 vcc, 0, v1
	v_and_b32_e32 v1, 0x3fffff, v4
	s_movk_i32 s0, 0xff
	v_or_b32_e32 v1, v0, v1
	v_cmp_eq_u32_e64 s[18:19], s0, v0
	v_cmp_ne_u32_e64 s[0:1], 0, v1
	s_and_b64 s[0:1], vcc, s[0:1]
	v_cndmask_b32_e64 v1, 0, 1, s[0:1]
	s_mov_b32 s0, 0x43800000
	v_cmp_gt_u32_e64 s[16:17], s0, v4
	s_mov_b32 s0, 0x3bffffff
	v_add_f32_e32 v21, 0x46000000, v4
	v_add_u32_e32 v22, v0, v1
	v_cmp_lt_u32_e64 s[14:15], s0, v4
	v_bfe_u32 v0, v4, 20, 1
	v_readfirstlane_b32 s0, v21
	v_add_u32_e32 v0, v4, v0
	s_and_b32 s0, s0, 0xff
	v_cmp_gt_u32_e64 s[12:13], s2, v4
	s_mov_b32 s2, 0x37ffffff
	v_add_f32_e32 v18, 0x42800000, v4
	v_add_u32_e32 v1, 0x487ffff, v0
	s_cmp_lg_u32 s0, 0
	v_cmp_lt_u32_e64 s[10:11], s2, v4
	v_readfirstlane_b32 s2, v18
	v_lshrrev_b32_e32 v20, 20, v1
	s_cselect_b64 s[54:55], -1, 0
	v_bfe_u32 v1, v4, 21, 1
	s_and_b32 s2, s2, 0xff
	v_add_u32_e32 v1, v4, v1
	s_cmp_lg_u32 s2, 0
	s_mov_b32 s2, 0x43efffff
	v_add_u32_e32 v2, 0x88fffff, v1
	v_cmp_lt_u32_e64 s[6:7], s2, v4
	s_mov_b32 s2, 0x3c800000
	v_add_u32_e32 v0, 0x407ffff, v0
	v_lshrrev_b32_e32 v17, 21, v2
	v_cmp_gt_u32_e64 s[8:9], s2, v4
	v_lshrrev_b32_e32 v2, 20, v0
	v_and_b32_e32 v0, 0xff00000, v0
	s_mov_b32 s2, 0x7f00000
	v_cmp_ne_u32_e32 vcc, s2, v0
	v_add_u32_e32 v0, 0x80fffff, v1
	s_mov_b32 s20, 0x7f800000
	v_cndmask_b32_e32 v15, v3, v2, vcc
	v_lshrrev_b32_e32 v12, 21, v0
	v_mov_b32_e32 v0, 0x7f
	v_cmp_lt_u32_e32 vcc, s20, v4
	v_mov_b32_e32 v1, 0x7c
	s_load_dwordx4 s[36:39], s[4:5], 0x4
	s_load_dwordx2 s[60:61], s[4:5], 0x14
	s_load_dword s81, s[4:5], 0x118
	v_cndmask_b32_e32 v19, v3, v0, vcc
	v_cndmask_b32_e32 v14, v1, v0, vcc
	v_bfe_u32 v0, v4, 16, 1
	v_add_u32_e32 v0, v4, v0
	v_add_u32_e32 v0, 0x7fff, v0
	v_cvt_f16_f32_e32 v8, v4
	s_cselect_b64 s[52:53], -1, 0
	v_lshrrev_b32_e32 v11, 16, v0
	s_cmp_lg_u64 s[30:31], 0
	v_cvt_f64_u32_e32 v[0:1], s31
	s_mov_b32 s0, 0x477fffff
	s_mov_b32 s2, 0x38800000
	s_cselect_b64 s[20:21], -1, 0
	v_ldexp_f64 v[0:1], v[0:1], 32
	v_cvt_f64_u32_e32 v[2:3], s30
	v_cmp_lt_u32_e64 s[0:1], s0, v4
	v_add_f32_e32 v16, 0x46800000, v4
	v_cmp_gt_u32_e64 s[2:3], s2, v4
	v_add_f32_e32 v13, 0x43000000, v4
	s_mov_b64 s[72:73], 0
	v_cndmask_b32_e64 v10, 0, 1, s[20:21]
	v_add_f64 v[0:1], v[0:1], v[2:3]
	v_cmp_gt_i32_e32 vcc, s82, v9
	s_mov_b64 s[22:23], -1
	s_mov_b64 s[66:67], 0
	s_and_saveexec_b64 s[68:69], vcc
	s_cbranch_execz .LBB175_114
; %bb.2:
	s_andn2_b64 vcc, exec, s[48:49]
	s_cbranch_vccnz .LBB175_7
; %bb.3:
	s_andn2_b64 vcc, exec, s[64:65]
	s_cbranch_vccnz .LBB175_8
; %bb.4:
	s_add_i32 s75, s83, 1
	s_mov_b32 s74, 0
	s_cmp_eq_u32 s80, 2
	v_mov_b32_e32 v2, 0
	s_cbranch_scc1 .LBB175_9
; %bb.5:
	s_and_b32 s74, s75, 28
	s_mov_b32 s76, 0
	v_mov_b32_e32 v2, 0
	s_mov_b64 s[66:67], s[4:5]
	s_mov_b64 s[70:71], s[62:63]
	v_mov_b32_e32 v5, v9
.LBB175_6:                              ; =>This Inner Loop Header: Depth=1
	s_load_dwordx8 s[20:27], s[66:67], 0x4
	s_load_dwordx4 s[40:43], s[66:67], 0x24
	s_load_dwordx4 s[44:47], s[70:71], 0x0
	s_add_u32 s66, s66, 48
	s_addc_u32 s67, s67, 0
	s_waitcnt lgkmcnt(0)
	v_mul_hi_u32 v3, s21, v5
	v_add_u32_e32 v3, v5, v3
	v_lshrrev_b32_e32 v3, s22, v3
	v_mul_lo_u32 v6, v3, s20
	v_mul_hi_u32 v7, s24, v3
	v_sub_u32_e32 v5, v5, v6
	v_add_u32_e32 v6, v3, v7
	v_lshrrev_b32_e32 v6, s25, v6
	v_mul_lo_u32 v7, v6, s23
	v_mul_hi_u32 v23, s27, v6
	v_sub_u32_e32 v3, v3, v7
	v_add_u32_e32 v7, v6, v23
	v_mul_lo_u32 v5, v5, s44
	v_mul_lo_u32 v3, v3, s45
	v_lshrrev_b32_e32 v7, s40, v7
	v_add3_u32 v2, v5, v2, v3
	v_mul_hi_u32 v5, s42, v7
	v_add_u32_e32 v5, v7, v5
	v_mul_lo_u32 v3, v7, s26
	v_lshrrev_b32_e32 v5, s43, v5
	s_add_i32 s76, s76, 4
	v_sub_u32_e32 v3, v6, v3
	v_mul_lo_u32 v6, v5, s41
	s_add_u32 s70, s70, 16
	v_sub_u32_e32 v6, v7, v6
	s_addc_u32 s71, s71, 0
	v_mul_lo_u32 v3, v3, s46
	v_mul_lo_u32 v6, v6, s47
	s_cmp_lg_u32 s74, s76
	v_add3_u32 v2, v3, v2, v6
	s_cbranch_scc1 .LBB175_6
	s_branch .LBB175_10
.LBB175_7:
                                        ; implicit-def: $vgpr2
	s_branch .LBB175_14
.LBB175_8:
	v_mov_b32_e32 v2, 0
	s_branch .LBB175_13
.LBB175_9:
	v_mov_b32_e32 v5, v9
.LBB175_10:
	s_and_b32 s24, s75, 3
	s_cmp_eq_u32 s24, 0
	s_cbranch_scc1 .LBB175_13
; %bb.11:
	s_lshl_b32 s20, s74, 2
	s_add_u32 s20, s20, s4
	s_addc_u32 s21, s5, 0
	s_add_u32 s20, s20, 0xc4
	s_addc_u32 s21, s21, 0
	s_mul_i32 s22, s74, 12
	s_add_u32 s22, s4, s22
	s_addc_u32 s23, s5, 0
.LBB175_12:                             ; =>This Inner Loop Header: Depth=1
	s_load_dwordx2 s[26:27], s[22:23], 0x4
	s_load_dword s25, s[22:23], 0xc
	s_load_dword s40, s[20:21], 0x0
	s_add_u32 s22, s22, 12
	s_addc_u32 s23, s23, 0
	s_waitcnt lgkmcnt(0)
	v_mul_hi_u32 v3, s27, v5
	v_add_u32_e32 v3, v5, v3
	v_lshrrev_b32_e32 v3, s25, v3
	s_add_u32 s20, s20, 4
	v_mul_lo_u32 v6, v3, s26
	s_addc_u32 s21, s21, 0
	s_add_i32 s24, s24, -1
	v_sub_u32_e32 v6, v5, v6
	s_cmp_lg_u32 s24, 0
	v_mov_b32_e32 v5, v3
	v_mad_u64_u32 v[2:3], s[26:27], v6, s40, v[2:3]
	s_cbranch_scc1 .LBB175_12
.LBB175_13:
	s_cbranch_execnz .LBB175_16
.LBB175_14:
	s_waitcnt lgkmcnt(0)
	v_mul_hi_u32 v2, s37, v9
	v_add_u32_e32 v2, v9, v2
	v_lshrrev_b32_e32 v3, s38, v2
	v_mul_lo_u32 v2, v3, s36
	v_sub_u32_e32 v2, v9, v2
	s_andn2_b64 vcc, exec, s[58:59]
	v_mul_lo_u32 v2, v2, s56
	s_cbranch_vccnz .LBB175_16
; %bb.15:
	v_mul_hi_u32 v5, s60, v3
	v_add_u32_e32 v5, v3, v5
	v_lshrrev_b32_e32 v5, s61, v5
	v_mul_lo_u32 v5, v5, s39
	v_sub_u32_e32 v3, v3, v5
	v_mad_u64_u32 v[2:3], s[20:21], v3, s57, v[2:3]
.LBB175_16:
	v_mov_b32_e32 v3, s29
	v_add_co_u32_e32 v6, vcc, s28, v2
	v_mov_b32_e32 v2, 11
	v_addc_co_u32_e32 v7, vcc, 0, v3, vcc
	s_waitcnt lgkmcnt(0)
	v_cmp_lt_i16_sdwa s[20:21], s81, v2 src0_sel:BYTE_0 src1_sel:DWORD
	s_and_b64 vcc, exec, s[20:21]
	s_cbranch_vccnz .LBB175_23
; %bb.17:
	v_mov_b32_e32 v2, 25
	v_cmp_gt_i16_sdwa s[20:21], s81, v2 src0_sel:BYTE_0 src1_sel:DWORD
	s_and_b64 vcc, exec, s[20:21]
	s_cbranch_vccz .LBB175_26
; %bb.18:
	v_mov_b32_e32 v2, 28
	v_cmp_gt_i16_sdwa s[20:21], s81, v2 src0_sel:BYTE_0 src1_sel:DWORD
	s_and_b64 vcc, exec, s[20:21]
	s_cbranch_vccz .LBB175_27
	;; [unrolled: 5-line block ×4, first 2 shown]
; %bb.21:
	v_mov_b32_e32 v2, 46
	v_cmp_eq_u16_sdwa s[22:23], s81, v2 src0_sel:BYTE_0 src1_sel:DWORD
	s_mov_b64 s[24:25], 0
	s_mov_b64 s[20:21], -1
	s_and_b64 vcc, exec, s[22:23]
	s_mov_b64 s[22:23], 0
	s_cbranch_vccz .LBB175_30
; %bb.22:
	global_store_dword v[6:7], v11, off
	s_mov_b64 s[22:23], -1
	s_mov_b64 s[20:21], 0
	s_branch .LBB175_30
.LBB175_23:
	s_mov_b64 s[20:21], 0
	s_mov_b64 s[22:23], 0
	s_cbranch_execnz .LBB175_74
.LBB175_24:
	s_andn2_b64 vcc, exec, s[22:23]
	s_cbranch_vccnz .LBB175_112
.LBB175_25:
	v_add_u32_e32 v9, 0x80, v9
	s_mov_b64 s[22:23], -1
	s_branch .LBB175_113
.LBB175_26:
	s_mov_b64 s[20:21], 0
	s_mov_b64 s[22:23], 0
	s_cbranch_execnz .LBB175_52
	s_branch .LBB175_73
.LBB175_27:
	s_mov_b64 s[24:25], -1
	s_mov_b64 s[20:21], 0
	s_mov_b64 s[22:23], 0
	s_branch .LBB175_38
.LBB175_28:
	s_mov_b64 s[24:25], -1
	s_mov_b64 s[20:21], 0
	s_mov_b64 s[22:23], 0
	s_branch .LBB175_34
.LBB175_29:
	s_mov_b64 s[24:25], -1
	s_mov_b64 s[20:21], 0
	s_mov_b64 s[22:23], 0
.LBB175_30:
	s_and_b64 vcc, exec, s[24:25]
	s_cbranch_vccz .LBB175_33
; %bb.31:
	v_mov_b32_e32 v2, 44
	v_cmp_eq_u16_sdwa s[24:25], s81, v2 src0_sel:BYTE_0 src1_sel:DWORD
	s_mov_b64 s[20:21], -1
	s_and_b64 vcc, exec, s[24:25]
	s_cbranch_vccz .LBB175_33
; %bb.32:
	v_mov_b32_e32 v2, 0xff
	v_cndmask_b32_e64 v2, v22, v2, s[18:19]
	global_store_byte v[6:7], v2, off
	s_mov_b64 s[22:23], -1
	s_mov_b64 s[20:21], 0
.LBB175_33:
	s_mov_b64 s[24:25], 0
.LBB175_34:
	s_and_b64 vcc, exec, s[24:25]
	s_cbranch_vccz .LBB175_37
; %bb.35:
	v_mov_b32_e32 v2, 29
	v_cmp_eq_u16_sdwa s[24:25], s81, v2 src0_sel:BYTE_0 src1_sel:DWORD
	s_mov_b64 s[20:21], -1
	s_and_b64 vcc, exec, s[24:25]
	s_cbranch_vccz .LBB175_37
; %bb.36:
	v_pk_mov_b32 v[2:3], s[30:31], s[30:31] op_sel:[0,1]
	global_store_dwordx2 v[6:7], v[2:3], off
	s_mov_b64 s[22:23], -1
	s_mov_b64 s[20:21], 0
.LBB175_37:
	s_mov_b64 s[24:25], 0
.LBB175_38:
	s_and_b64 vcc, exec, s[24:25]
	s_cbranch_vccz .LBB175_51
; %bb.39:
	v_mov_b32_e32 v2, 27
	v_cmp_lt_i16_sdwa s[24:25], s81, v2 src0_sel:BYTE_0 src1_sel:DWORD
	s_mov_b64 s[22:23], -1
	s_and_b64 vcc, exec, s[24:25]
	s_cbranch_vccnz .LBB175_45
; %bb.40:
	v_cmp_gt_i16_sdwa s[24:25], s81, v2 src0_sel:BYTE_0 src1_sel:DWORD
	s_and_b64 vcc, exec, s[24:25]
	s_cbranch_vccz .LBB175_42
; %bb.41:
	v_mov_b32_e32 v2, s30
	s_mov_b64 s[22:23], 0
	global_store_dword v[6:7], v2, off
.LBB175_42:
	s_andn2_b64 vcc, exec, s[22:23]
	s_cbranch_vccnz .LBB175_44
; %bb.43:
	v_mov_b32_e32 v2, s30
	global_store_short v[6:7], v2, off
.LBB175_44:
	s_mov_b64 s[22:23], 0
.LBB175_45:
	s_andn2_b64 vcc, exec, s[22:23]
	s_cbranch_vccnz .LBB175_50
; %bb.46:
	s_andn2_b64 vcc, exec, s[16:17]
	v_mov_b32_e32 v2, 0x80
	s_cbranch_vccnz .LBB175_49
; %bb.47:
	s_or_b64 s[22:23], s[14:15], s[54:55]
	s_andn2_b64 vcc, exec, s[22:23]
	v_mov_b32_e32 v2, 0
	s_cbranch_vccnz .LBB175_49
; %bb.48:
	v_cndmask_b32_e64 v2, v21, v20, s[14:15]
.LBB175_49:
	global_store_byte v[6:7], v2, off
.LBB175_50:
	s_mov_b64 s[22:23], -1
.LBB175_51:
	s_branch .LBB175_73
.LBB175_52:
	v_mov_b32_e32 v2, 22
	v_cmp_gt_i16_sdwa s[26:27], s81, v2 src0_sel:BYTE_0 src1_sel:DWORD
	s_mov_b64 s[24:25], -1
	s_and_b64 vcc, exec, s[26:27]
	s_cbranch_vccz .LBB175_65
; %bb.53:
	v_mov_b32_e32 v2, 24
	v_cmp_lt_i16_sdwa s[24:25], s81, v2 src0_sel:BYTE_0 src1_sel:DWORD
	s_mov_b64 s[22:23], -1
	s_and_b64 vcc, exec, s[24:25]
	s_cbranch_vccnz .LBB175_62
; %bb.54:
	v_cmp_gt_i16_sdwa s[24:25], s81, v2 src0_sel:BYTE_0 src1_sel:DWORD
	s_and_b64 vcc, exec, s[24:25]
	s_cbranch_vccz .LBB175_59
; %bb.55:
	s_andn2_b64 vcc, exec, s[12:13]
	v_mov_b32_e32 v2, 0x80
	s_cbranch_vccnz .LBB175_58
; %bb.56:
	s_or_b64 s[22:23], s[10:11], s[52:53]
	s_andn2_b64 vcc, exec, s[22:23]
	v_mov_b32_e32 v2, 0
	s_cbranch_vccnz .LBB175_58
; %bb.57:
	v_cndmask_b32_e64 v2, v18, v17, s[10:11]
.LBB175_58:
	s_mov_b64 s[22:23], 0
	global_store_byte v[6:7], v2, off
.LBB175_59:
	s_and_b64 vcc, exec, s[22:23]
	s_cbranch_vccz .LBB175_61
; %bb.60:
	v_cndmask_b32_e64 v2, v15, v16, s[8:9]
	v_cndmask_b32_e64 v2, v2, v19, s[6:7]
	global_store_byte v[6:7], v2, off
.LBB175_61:
	s_mov_b64 s[22:23], 0
.LBB175_62:
	s_andn2_b64 vcc, exec, s[22:23]
	s_cbranch_vccnz .LBB175_64
; %bb.63:
	v_cndmask_b32_e64 v2, v12, v13, s[2:3]
	v_cndmask_b32_e64 v2, v2, v14, s[0:1]
	global_store_byte v[6:7], v2, off
.LBB175_64:
	s_mov_b64 s[24:25], 0
	s_mov_b64 s[22:23], -1
.LBB175_65:
	s_andn2_b64 vcc, exec, s[24:25]
	s_cbranch_vccnz .LBB175_73
; %bb.66:
	v_mov_b32_e32 v2, 14
	v_cmp_gt_i16_sdwa s[26:27], s81, v2 src0_sel:BYTE_0 src1_sel:DWORD
	s_mov_b64 s[24:25], -1
	s_and_b64 vcc, exec, s[26:27]
	s_cbranch_vccz .LBB175_70
; %bb.67:
	v_mov_b32_e32 v2, 15
	v_cmp_eq_u16_sdwa s[24:25], s81, v2 src0_sel:BYTE_0 src1_sel:DWORD
	s_mov_b64 s[20:21], -1
	s_and_b64 vcc, exec, s[24:25]
	s_cbranch_vccz .LBB175_69
; %bb.68:
	global_store_short v[6:7], v11, off
	s_mov_b64 s[22:23], -1
	s_mov_b64 s[20:21], 0
.LBB175_69:
	s_mov_b64 s[24:25], 0
.LBB175_70:
	s_and_b64 vcc, exec, s[24:25]
	s_cbranch_vccz .LBB175_73
; %bb.71:
	v_mov_b32_e32 v2, 11
	v_cmp_eq_u16_sdwa s[24:25], s81, v2 src0_sel:BYTE_0 src1_sel:DWORD
	s_mov_b64 s[20:21], -1
	s_and_b64 vcc, exec, s[24:25]
	s_cbranch_vccz .LBB175_73
; %bb.72:
	s_mov_b64 s[22:23], -1
	s_mov_b64 s[20:21], 0
	global_store_byte v[6:7], v10, off
.LBB175_73:
	s_branch .LBB175_24
.LBB175_74:
	v_mov_b32_e32 v2, 5
	v_cmp_lt_i16_sdwa s[24:25], s81, v2 src0_sel:BYTE_0 src1_sel:DWORD
	s_mov_b64 s[22:23], -1
	s_and_b64 vcc, exec, s[24:25]
	s_cbranch_vccnz .LBB175_95
; %bb.75:
	v_mov_b32_e32 v2, 8
	v_cmp_lt_i16_sdwa s[24:25], s81, v2 src0_sel:BYTE_0 src1_sel:DWORD
	s_and_b64 vcc, exec, s[24:25]
	s_cbranch_vccnz .LBB175_85
; %bb.76:
	v_mov_b32_e32 v2, 9
	v_cmp_lt_i16_sdwa s[24:25], s81, v2 src0_sel:BYTE_0 src1_sel:DWORD
	s_and_b64 vcc, exec, s[24:25]
	s_cbranch_vccnz .LBB175_82
; %bb.77:
	v_cmp_gt_i16_sdwa s[24:25], s81, v2 src0_sel:BYTE_0 src1_sel:DWORD
	s_and_b64 vcc, exec, s[24:25]
	s_cbranch_vccz .LBB175_79
; %bb.78:
	v_mov_b32_e32 v2, 0
	v_mov_b32_e32 v3, v2
	global_store_dwordx4 v[6:7], v[0:3], off
	s_mov_b64 s[22:23], 0
.LBB175_79:
	s_andn2_b64 vcc, exec, s[22:23]
	s_cbranch_vccnz .LBB175_81
; %bb.80:
	v_mov_b32_e32 v5, 0
	global_store_dwordx2 v[6:7], v[4:5], off
.LBB175_81:
	s_mov_b64 s[22:23], 0
.LBB175_82:
	s_andn2_b64 vcc, exec, s[22:23]
	s_cbranch_vccnz .LBB175_84
; %bb.83:
	global_store_dword v[6:7], v8, off
.LBB175_84:
	s_mov_b64 s[22:23], 0
.LBB175_85:
	s_andn2_b64 vcc, exec, s[22:23]
	s_cbranch_vccnz .LBB175_94
; %bb.86:
	v_mov_b32_e32 v2, 6
	v_cmp_lt_i16_sdwa s[24:25], s81, v2 src0_sel:BYTE_0 src1_sel:DWORD
	s_mov_b64 s[22:23], -1
	s_and_b64 vcc, exec, s[24:25]
	s_cbranch_vccnz .LBB175_92
; %bb.87:
	v_cmp_gt_i16_sdwa s[24:25], s81, v2 src0_sel:BYTE_0 src1_sel:DWORD
	s_and_b64 vcc, exec, s[24:25]
	s_cbranch_vccz .LBB175_89
; %bb.88:
	global_store_dwordx2 v[6:7], v[0:1], off
	s_mov_b64 s[22:23], 0
.LBB175_89:
	s_andn2_b64 vcc, exec, s[22:23]
	s_cbranch_vccnz .LBB175_91
; %bb.90:
	global_store_dword v[6:7], v4, off
.LBB175_91:
	s_mov_b64 s[22:23], 0
.LBB175_92:
	s_andn2_b64 vcc, exec, s[22:23]
	s_cbranch_vccnz .LBB175_94
; %bb.93:
	global_store_short v[6:7], v8, off
.LBB175_94:
	s_mov_b64 s[22:23], 0
.LBB175_95:
	s_andn2_b64 vcc, exec, s[22:23]
	s_cbranch_vccnz .LBB175_111
; %bb.96:
	v_mov_b32_e32 v2, 2
	v_cmp_lt_i16_sdwa s[24:25], s81, v2 src0_sel:BYTE_0 src1_sel:DWORD
	s_mov_b64 s[22:23], -1
	s_and_b64 vcc, exec, s[24:25]
	s_cbranch_vccnz .LBB175_106
; %bb.97:
	v_mov_b32_e32 v2, 3
	v_cmp_lt_i16_sdwa s[24:25], s81, v2 src0_sel:BYTE_0 src1_sel:DWORD
	s_and_b64 vcc, exec, s[24:25]
	s_cbranch_vccnz .LBB175_103
; %bb.98:
	v_cmp_gt_i16_sdwa s[24:25], s81, v2 src0_sel:BYTE_0 src1_sel:DWORD
	s_and_b64 vcc, exec, s[24:25]
	s_cbranch_vccz .LBB175_100
; %bb.99:
	v_pk_mov_b32 v[2:3], s[30:31], s[30:31] op_sel:[0,1]
	global_store_dwordx2 v[6:7], v[2:3], off
	s_mov_b64 s[22:23], 0
.LBB175_100:
	s_andn2_b64 vcc, exec, s[22:23]
	s_cbranch_vccnz .LBB175_102
; %bb.101:
	v_mov_b32_e32 v2, s30
	global_store_dword v[6:7], v2, off
.LBB175_102:
	s_mov_b64 s[22:23], 0
.LBB175_103:
	s_andn2_b64 vcc, exec, s[22:23]
	s_cbranch_vccnz .LBB175_105
; %bb.104:
	v_mov_b32_e32 v2, s30
	global_store_short v[6:7], v2, off
.LBB175_105:
	s_mov_b64 s[22:23], 0
.LBB175_106:
	s_andn2_b64 vcc, exec, s[22:23]
	s_cbranch_vccnz .LBB175_111
; %bb.107:
	v_mov_b32_e32 v2, 0
	v_cmp_gt_i16_sdwa s[24:25], s81, v2 src0_sel:BYTE_0 src1_sel:DWORD
	s_mov_b64 s[22:23], -1
	s_and_b64 vcc, exec, s[24:25]
	s_cbranch_vccz .LBB175_109
; %bb.108:
	v_mov_b32_e32 v2, s30
	global_store_byte v[6:7], v2, off
	s_mov_b64 s[22:23], 0
.LBB175_109:
	s_andn2_b64 vcc, exec, s[22:23]
	s_cbranch_vccnz .LBB175_111
; %bb.110:
	v_mov_b32_e32 v2, s30
	global_store_byte v[6:7], v2, off
.LBB175_111:
	s_branch .LBB175_25
.LBB175_112:
	s_mov_b64 s[22:23], 0
                                        ; implicit-def: $vgpr9
.LBB175_113:
	s_and_b64 s[66:67], s[20:21], exec
	s_orn2_b64 s[22:23], s[22:23], exec
.LBB175_114:
	s_or_b64 exec, exec, s[68:69]
	s_mov_b64 s[20:21], 0
                                        ; implicit-def: $vgpr23
                                        ; implicit-def: $vgpr6_vgpr7
	s_and_saveexec_b64 s[68:69], s[22:23]
	s_cbranch_execz .LBB175_121
; %bb.115:
	v_cmp_gt_i32_e32 vcc, s82, v9
	s_mov_b64 s[20:21], -1
	s_mov_b64 s[70:71], s[66:67]
	s_and_saveexec_b64 s[72:73], vcc
	s_cbranch_execz .LBB175_232
; %bb.116:
	s_andn2_b64 vcc, exec, s[48:49]
	s_cbranch_vccnz .LBB175_124
; %bb.117:
	s_andn2_b64 vcc, exec, s[64:65]
	s_cbranch_vccnz .LBB175_125
; %bb.118:
	s_add_i32 s77, s83, 1
	s_mov_b32 s76, 0
	s_cmp_eq_u32 s80, 2
	v_mov_b32_e32 v2, 0
	s_cbranch_scc1 .LBB175_126
; %bb.119:
	s_and_b32 s76, s77, 28
	s_mov_b32 s78, 0
	v_mov_b32_e32 v2, 0
	s_mov_b64 s[70:71], s[4:5]
	s_mov_b64 s[74:75], s[62:63]
	v_mov_b32_e32 v5, v9
.LBB175_120:                            ; =>This Inner Loop Header: Depth=1
	s_load_dwordx8 s[20:27], s[70:71], 0x4
	s_load_dwordx4 s[40:43], s[70:71], 0x24
	s_load_dwordx4 s[44:47], s[74:75], 0x0
	s_add_u32 s70, s70, 48
	s_addc_u32 s71, s71, 0
	s_waitcnt lgkmcnt(0)
	v_mul_hi_u32 v3, s21, v5
	v_add_u32_e32 v3, v5, v3
	v_lshrrev_b32_e32 v3, s22, v3
	v_mul_lo_u32 v6, v3, s20
	v_mul_hi_u32 v7, s24, v3
	v_sub_u32_e32 v5, v5, v6
	v_add_u32_e32 v6, v3, v7
	v_lshrrev_b32_e32 v6, s25, v6
	v_mul_lo_u32 v7, v6, s23
	v_mul_hi_u32 v23, s27, v6
	v_sub_u32_e32 v3, v3, v7
	v_add_u32_e32 v7, v6, v23
	v_mul_lo_u32 v5, v5, s44
	v_mul_lo_u32 v3, v3, s45
	v_lshrrev_b32_e32 v7, s40, v7
	v_add3_u32 v2, v5, v2, v3
	v_mul_hi_u32 v5, s42, v7
	v_add_u32_e32 v5, v7, v5
	v_mul_lo_u32 v3, v7, s26
	v_lshrrev_b32_e32 v5, s43, v5
	s_add_i32 s78, s78, 4
	v_sub_u32_e32 v3, v6, v3
	v_mul_lo_u32 v6, v5, s41
	s_add_u32 s74, s74, 16
	v_sub_u32_e32 v6, v7, v6
	s_addc_u32 s75, s75, 0
	v_mul_lo_u32 v3, v3, s46
	v_mul_lo_u32 v6, v6, s47
	s_cmp_eq_u32 s76, s78
	v_add3_u32 v2, v3, v2, v6
	s_cbranch_scc0 .LBB175_120
	s_branch .LBB175_127
.LBB175_121:
	s_or_b64 exec, exec, s[68:69]
	s_mov_b64 s[0:1], 0
	s_and_saveexec_b64 s[2:3], s[66:67]
	s_cbranch_execnz .LBB175_422
.LBB175_122:
	s_or_b64 exec, exec, s[2:3]
	s_and_saveexec_b64 s[2:3], s[72:73]
	s_xor_b64 s[2:3], exec, s[2:3]
	s_cbranch_execz .LBB175_423
.LBB175_123:
	global_store_byte v[6:7], v10, off
	s_or_b64 exec, exec, s[2:3]
	s_and_saveexec_b64 s[2:3], s[20:21]
	s_xor_b64 s[2:3], exec, s[2:3]
	s_cbranch_execz .LBB175_461
	s_branch .LBB175_424
.LBB175_124:
                                        ; implicit-def: $vgpr2
	s_andn2_b64 vcc, exec, s[20:21]
	s_cbranch_vccz .LBB175_131
	s_branch .LBB175_133
.LBB175_125:
	v_mov_b32_e32 v2, 0
	s_branch .LBB175_130
.LBB175_126:
	v_mov_b32_e32 v5, v9
.LBB175_127:
	s_and_b32 s24, s77, 3
	s_cmp_eq_u32 s24, 0
	s_cbranch_scc1 .LBB175_130
; %bb.128:
	s_lshl_b32 s20, s76, 2
	s_add_u32 s20, s20, s4
	s_addc_u32 s21, s5, 0
	s_add_u32 s20, s20, 0xc4
	s_addc_u32 s21, s21, 0
	s_mul_i32 s22, s76, 12
	s_add_u32 s22, s4, s22
	s_addc_u32 s23, s5, 0
.LBB175_129:                            ; =>This Inner Loop Header: Depth=1
	s_load_dwordx2 s[26:27], s[22:23], 0x4
	s_load_dword s25, s[22:23], 0xc
	s_load_dword s40, s[20:21], 0x0
	s_add_u32 s22, s22, 12
	s_addc_u32 s23, s23, 0
	s_waitcnt lgkmcnt(0)
	v_mul_hi_u32 v3, s27, v5
	v_add_u32_e32 v3, v5, v3
	v_lshrrev_b32_e32 v3, s25, v3
	s_add_u32 s20, s20, 4
	v_mul_lo_u32 v6, v3, s26
	s_addc_u32 s21, s21, 0
	s_add_i32 s24, s24, -1
	v_sub_u32_e32 v6, v5, v6
	s_cmp_lg_u32 s24, 0
	v_mov_b32_e32 v5, v3
	v_mad_u64_u32 v[2:3], s[26:27], v6, s40, v[2:3]
	s_cbranch_scc1 .LBB175_129
.LBB175_130:
	s_cbranch_execnz .LBB175_133
.LBB175_131:
	s_waitcnt lgkmcnt(0)
	v_mul_hi_u32 v2, s37, v9
	v_add_u32_e32 v2, v9, v2
	v_lshrrev_b32_e32 v3, s38, v2
	v_mul_lo_u32 v2, v3, s36
	v_sub_u32_e32 v2, v9, v2
	s_andn2_b64 vcc, exec, s[58:59]
	v_mul_lo_u32 v2, v2, s56
	s_cbranch_vccnz .LBB175_133
; %bb.132:
	v_mul_hi_u32 v5, s60, v3
	v_add_u32_e32 v5, v3, v5
	v_lshrrev_b32_e32 v5, s61, v5
	v_mul_lo_u32 v5, v5, s39
	v_sub_u32_e32 v3, v3, v5
	v_mad_u64_u32 v[2:3], s[20:21], v3, s57, v[2:3]
.LBB175_133:
	v_mov_b32_e32 v3, s29
	v_add_co_u32_e32 v6, vcc, s28, v2
	v_mov_b32_e32 v2, 11
	v_addc_co_u32_e32 v7, vcc, 0, v3, vcc
	s_waitcnt lgkmcnt(0)
	v_cmp_lt_i16_sdwa s[20:21], s81, v2 src0_sel:BYTE_0 src1_sel:DWORD
	s_and_b64 vcc, exec, s[20:21]
	s_cbranch_vccnz .LBB175_140
; %bb.134:
	v_mov_b32_e32 v2, 25
	v_cmp_gt_i16_sdwa s[20:21], s81, v2 src0_sel:BYTE_0 src1_sel:DWORD
	s_and_b64 vcc, exec, s[20:21]
	s_cbranch_vccz .LBB175_143
; %bb.135:
	v_mov_b32_e32 v2, 28
	v_cmp_gt_i16_sdwa s[20:21], s81, v2 src0_sel:BYTE_0 src1_sel:DWORD
	s_and_b64 vcc, exec, s[20:21]
	s_cbranch_vccz .LBB175_144
	;; [unrolled: 5-line block ×4, first 2 shown]
; %bb.138:
	v_mov_b32_e32 v2, 46
	v_cmp_eq_u16_sdwa s[22:23], s81, v2 src0_sel:BYTE_0 src1_sel:DWORD
	s_mov_b64 s[24:25], 0
	s_mov_b64 s[20:21], -1
	s_and_b64 vcc, exec, s[22:23]
	s_mov_b64 s[22:23], 0
	s_cbranch_vccz .LBB175_147
; %bb.139:
	global_store_dword v[6:7], v11, off
	s_mov_b64 s[22:23], -1
	s_mov_b64 s[20:21], 0
	s_branch .LBB175_147
.LBB175_140:
	s_mov_b64 s[22:23], 0
	s_mov_b64 s[20:21], s[66:67]
	s_cbranch_execnz .LBB175_192
.LBB175_141:
	s_andn2_b64 vcc, exec, s[22:23]
	s_cbranch_vccnz .LBB175_230
.LBB175_142:
	v_add_u32_e32 v9, 0x80, v9
	s_mov_b64 s[22:23], -1
	s_branch .LBB175_231
.LBB175_143:
	s_mov_b64 s[24:25], -1
	s_mov_b64 s[22:23], 0
	s_mov_b64 s[20:21], s[66:67]
	s_branch .LBB175_169
.LBB175_144:
	s_mov_b64 s[24:25], -1
	s_mov_b64 s[22:23], 0
	s_mov_b64 s[20:21], s[66:67]
	s_branch .LBB175_155
.LBB175_145:
	s_mov_b64 s[24:25], -1
	s_mov_b64 s[22:23], 0
	s_mov_b64 s[20:21], s[66:67]
	s_branch .LBB175_151
.LBB175_146:
	s_mov_b64 s[24:25], -1
	s_mov_b64 s[22:23], 0
	s_mov_b64 s[20:21], s[66:67]
.LBB175_147:
	s_and_b64 vcc, exec, s[24:25]
	s_cbranch_vccz .LBB175_150
; %bb.148:
	v_mov_b32_e32 v2, 44
	v_cmp_eq_u16_sdwa s[24:25], s81, v2 src0_sel:BYTE_0 src1_sel:DWORD
	s_mov_b64 s[20:21], -1
	s_and_b64 vcc, exec, s[24:25]
	s_cbranch_vccz .LBB175_150
; %bb.149:
	v_mov_b32_e32 v2, 0xff
	v_cndmask_b32_e64 v2, v22, v2, s[18:19]
	s_mov_b64 s[22:23], -1
	s_mov_b64 s[20:21], 0
	global_store_byte v[6:7], v2, off
.LBB175_150:
	s_mov_b64 s[24:25], 0
.LBB175_151:
	s_and_b64 vcc, exec, s[24:25]
	s_cbranch_vccz .LBB175_154
; %bb.152:
	v_mov_b32_e32 v2, 29
	v_cmp_eq_u16_sdwa s[24:25], s81, v2 src0_sel:BYTE_0 src1_sel:DWORD
	s_mov_b64 s[20:21], -1
	s_and_b64 vcc, exec, s[24:25]
	s_cbranch_vccz .LBB175_154
; %bb.153:
	v_pk_mov_b32 v[2:3], s[30:31], s[30:31] op_sel:[0,1]
	global_store_dwordx2 v[6:7], v[2:3], off
	s_mov_b64 s[22:23], -1
	s_mov_b64 s[20:21], 0
.LBB175_154:
	s_mov_b64 s[24:25], 0
.LBB175_155:
	s_and_b64 vcc, exec, s[24:25]
	s_cbranch_vccz .LBB175_168
; %bb.156:
	v_mov_b32_e32 v2, 27
	v_cmp_lt_i16_sdwa s[24:25], s81, v2 src0_sel:BYTE_0 src1_sel:DWORD
	s_mov_b64 s[22:23], -1
	s_and_b64 vcc, exec, s[24:25]
	s_cbranch_vccnz .LBB175_162
; %bb.157:
	v_cmp_gt_i16_sdwa s[24:25], s81, v2 src0_sel:BYTE_0 src1_sel:DWORD
	s_and_b64 vcc, exec, s[24:25]
	s_cbranch_vccz .LBB175_159
; %bb.158:
	v_mov_b32_e32 v2, s30
	s_mov_b64 s[22:23], 0
	global_store_dword v[6:7], v2, off
.LBB175_159:
	s_andn2_b64 vcc, exec, s[22:23]
	s_cbranch_vccnz .LBB175_161
; %bb.160:
	v_mov_b32_e32 v2, s30
	global_store_short v[6:7], v2, off
.LBB175_161:
	s_mov_b64 s[22:23], 0
.LBB175_162:
	s_andn2_b64 vcc, exec, s[22:23]
	s_cbranch_vccnz .LBB175_167
; %bb.163:
	s_andn2_b64 vcc, exec, s[16:17]
	v_mov_b32_e32 v2, 0x80
	s_cbranch_vccnz .LBB175_166
; %bb.164:
	s_or_b64 s[22:23], s[14:15], s[54:55]
	s_andn2_b64 vcc, exec, s[22:23]
	v_mov_b32_e32 v2, 0
	s_cbranch_vccnz .LBB175_166
; %bb.165:
	v_cndmask_b32_e64 v2, v21, v20, s[14:15]
.LBB175_166:
	global_store_byte v[6:7], v2, off
.LBB175_167:
	s_mov_b64 s[22:23], -1
.LBB175_168:
	s_mov_b64 s[24:25], 0
.LBB175_169:
	s_and_b64 vcc, exec, s[24:25]
	s_cbranch_vccz .LBB175_191
; %bb.170:
	v_mov_b32_e32 v2, 22
	v_cmp_gt_i16_sdwa s[26:27], s81, v2 src0_sel:BYTE_0 src1_sel:DWORD
	s_mov_b64 s[24:25], -1
	s_and_b64 vcc, exec, s[26:27]
	s_cbranch_vccz .LBB175_183
; %bb.171:
	v_mov_b32_e32 v2, 24
	v_cmp_lt_i16_sdwa s[24:25], s81, v2 src0_sel:BYTE_0 src1_sel:DWORD
	s_mov_b64 s[22:23], -1
	s_and_b64 vcc, exec, s[24:25]
	s_cbranch_vccnz .LBB175_180
; %bb.172:
	v_cmp_gt_i16_sdwa s[24:25], s81, v2 src0_sel:BYTE_0 src1_sel:DWORD
	s_and_b64 vcc, exec, s[24:25]
	s_cbranch_vccz .LBB175_177
; %bb.173:
	s_andn2_b64 vcc, exec, s[12:13]
	v_mov_b32_e32 v2, 0x80
	s_cbranch_vccnz .LBB175_176
; %bb.174:
	s_or_b64 s[22:23], s[10:11], s[52:53]
	s_andn2_b64 vcc, exec, s[22:23]
	v_mov_b32_e32 v2, 0
	s_cbranch_vccnz .LBB175_176
; %bb.175:
	v_cndmask_b32_e64 v2, v18, v17, s[10:11]
.LBB175_176:
	s_mov_b64 s[22:23], 0
	global_store_byte v[6:7], v2, off
.LBB175_177:
	s_and_b64 vcc, exec, s[22:23]
	s_cbranch_vccz .LBB175_179
; %bb.178:
	v_cndmask_b32_e64 v2, v15, v16, s[8:9]
	v_cndmask_b32_e64 v2, v2, v19, s[6:7]
	global_store_byte v[6:7], v2, off
.LBB175_179:
	s_mov_b64 s[22:23], 0
.LBB175_180:
	s_andn2_b64 vcc, exec, s[22:23]
	s_cbranch_vccnz .LBB175_182
; %bb.181:
	v_cndmask_b32_e64 v2, v12, v13, s[2:3]
	v_cndmask_b32_e64 v2, v2, v14, s[0:1]
	global_store_byte v[6:7], v2, off
.LBB175_182:
	s_mov_b64 s[24:25], 0
	s_mov_b64 s[22:23], -1
.LBB175_183:
	s_andn2_b64 vcc, exec, s[24:25]
	s_cbranch_vccnz .LBB175_191
; %bb.184:
	v_mov_b32_e32 v2, 14
	v_cmp_gt_i16_sdwa s[26:27], s81, v2 src0_sel:BYTE_0 src1_sel:DWORD
	s_mov_b64 s[24:25], -1
	s_and_b64 vcc, exec, s[26:27]
	s_cbranch_vccz .LBB175_188
; %bb.185:
	v_mov_b32_e32 v2, 15
	v_cmp_eq_u16_sdwa s[24:25], s81, v2 src0_sel:BYTE_0 src1_sel:DWORD
	s_mov_b64 s[20:21], -1
	s_and_b64 vcc, exec, s[24:25]
	s_cbranch_vccz .LBB175_187
; %bb.186:
	global_store_short v[6:7], v11, off
	s_mov_b64 s[22:23], -1
	s_mov_b64 s[20:21], 0
.LBB175_187:
	s_mov_b64 s[24:25], 0
.LBB175_188:
	s_and_b64 vcc, exec, s[24:25]
	s_cbranch_vccz .LBB175_191
; %bb.189:
	v_mov_b32_e32 v2, 11
	v_cmp_eq_u16_sdwa s[24:25], s81, v2 src0_sel:BYTE_0 src1_sel:DWORD
	s_mov_b64 s[20:21], -1
	s_and_b64 vcc, exec, s[24:25]
	s_cbranch_vccz .LBB175_191
; %bb.190:
	s_mov_b64 s[22:23], -1
	s_mov_b64 s[20:21], 0
	global_store_byte v[6:7], v10, off
.LBB175_191:
	s_branch .LBB175_141
.LBB175_192:
	v_mov_b32_e32 v2, 5
	v_cmp_lt_i16_sdwa s[24:25], s81, v2 src0_sel:BYTE_0 src1_sel:DWORD
	s_mov_b64 s[22:23], -1
	s_and_b64 vcc, exec, s[24:25]
	s_cbranch_vccnz .LBB175_213
; %bb.193:
	v_mov_b32_e32 v2, 8
	v_cmp_lt_i16_sdwa s[24:25], s81, v2 src0_sel:BYTE_0 src1_sel:DWORD
	s_and_b64 vcc, exec, s[24:25]
	s_cbranch_vccnz .LBB175_203
; %bb.194:
	v_mov_b32_e32 v2, 9
	v_cmp_lt_i16_sdwa s[24:25], s81, v2 src0_sel:BYTE_0 src1_sel:DWORD
	s_and_b64 vcc, exec, s[24:25]
	s_cbranch_vccnz .LBB175_200
; %bb.195:
	v_cmp_gt_i16_sdwa s[24:25], s81, v2 src0_sel:BYTE_0 src1_sel:DWORD
	s_and_b64 vcc, exec, s[24:25]
	s_cbranch_vccz .LBB175_197
; %bb.196:
	v_mov_b32_e32 v2, 0
	v_mov_b32_e32 v3, v2
	s_mov_b64 s[22:23], 0
	global_store_dwordx4 v[6:7], v[0:3], off
.LBB175_197:
	s_andn2_b64 vcc, exec, s[22:23]
	s_cbranch_vccnz .LBB175_199
; %bb.198:
	v_mov_b32_e32 v5, 0
	global_store_dwordx2 v[6:7], v[4:5], off
.LBB175_199:
	s_mov_b64 s[22:23], 0
.LBB175_200:
	s_andn2_b64 vcc, exec, s[22:23]
	s_cbranch_vccnz .LBB175_202
; %bb.201:
	global_store_dword v[6:7], v8, off
.LBB175_202:
	s_mov_b64 s[22:23], 0
.LBB175_203:
	s_andn2_b64 vcc, exec, s[22:23]
	s_cbranch_vccnz .LBB175_212
; %bb.204:
	v_mov_b32_e32 v2, 6
	v_cmp_lt_i16_sdwa s[24:25], s81, v2 src0_sel:BYTE_0 src1_sel:DWORD
	s_mov_b64 s[22:23], -1
	s_and_b64 vcc, exec, s[24:25]
	s_cbranch_vccnz .LBB175_210
; %bb.205:
	v_cmp_gt_i16_sdwa s[24:25], s81, v2 src0_sel:BYTE_0 src1_sel:DWORD
	s_and_b64 vcc, exec, s[24:25]
	s_cbranch_vccz .LBB175_207
; %bb.206:
	s_mov_b64 s[22:23], 0
	global_store_dwordx2 v[6:7], v[0:1], off
.LBB175_207:
	s_andn2_b64 vcc, exec, s[22:23]
	s_cbranch_vccnz .LBB175_209
; %bb.208:
	global_store_dword v[6:7], v4, off
.LBB175_209:
	s_mov_b64 s[22:23], 0
.LBB175_210:
	s_andn2_b64 vcc, exec, s[22:23]
	s_cbranch_vccnz .LBB175_212
; %bb.211:
	global_store_short v[6:7], v8, off
.LBB175_212:
	s_mov_b64 s[22:23], 0
.LBB175_213:
	s_andn2_b64 vcc, exec, s[22:23]
	s_cbranch_vccnz .LBB175_229
; %bb.214:
	v_mov_b32_e32 v2, 2
	v_cmp_lt_i16_sdwa s[24:25], s81, v2 src0_sel:BYTE_0 src1_sel:DWORD
	s_mov_b64 s[22:23], -1
	s_and_b64 vcc, exec, s[24:25]
	s_cbranch_vccnz .LBB175_224
; %bb.215:
	v_mov_b32_e32 v2, 3
	v_cmp_lt_i16_sdwa s[24:25], s81, v2 src0_sel:BYTE_0 src1_sel:DWORD
	s_and_b64 vcc, exec, s[24:25]
	s_cbranch_vccnz .LBB175_221
; %bb.216:
	v_cmp_gt_i16_sdwa s[24:25], s81, v2 src0_sel:BYTE_0 src1_sel:DWORD
	s_and_b64 vcc, exec, s[24:25]
	s_cbranch_vccz .LBB175_218
; %bb.217:
	v_pk_mov_b32 v[2:3], s[30:31], s[30:31] op_sel:[0,1]
	s_mov_b64 s[22:23], 0
	global_store_dwordx2 v[6:7], v[2:3], off
.LBB175_218:
	s_andn2_b64 vcc, exec, s[22:23]
	s_cbranch_vccnz .LBB175_220
; %bb.219:
	v_mov_b32_e32 v2, s30
	global_store_dword v[6:7], v2, off
.LBB175_220:
	s_mov_b64 s[22:23], 0
.LBB175_221:
	s_andn2_b64 vcc, exec, s[22:23]
	s_cbranch_vccnz .LBB175_223
; %bb.222:
	v_mov_b32_e32 v2, s30
	global_store_short v[6:7], v2, off
.LBB175_223:
	s_mov_b64 s[22:23], 0
.LBB175_224:
	s_andn2_b64 vcc, exec, s[22:23]
	s_cbranch_vccnz .LBB175_229
; %bb.225:
	v_mov_b32_e32 v2, 0
	v_cmp_gt_i16_sdwa s[24:25], s81, v2 src0_sel:BYTE_0 src1_sel:DWORD
	s_mov_b64 s[22:23], -1
	s_and_b64 vcc, exec, s[24:25]
	s_cbranch_vccz .LBB175_227
; %bb.226:
	v_mov_b32_e32 v2, s30
	s_mov_b64 s[22:23], 0
	global_store_byte v[6:7], v2, off
.LBB175_227:
	s_andn2_b64 vcc, exec, s[22:23]
	s_cbranch_vccnz .LBB175_229
; %bb.228:
	v_mov_b32_e32 v2, s30
	global_store_byte v[6:7], v2, off
.LBB175_229:
	s_branch .LBB175_142
.LBB175_230:
	s_mov_b64 s[22:23], 0
                                        ; implicit-def: $vgpr9
.LBB175_231:
	s_andn2_b64 s[24:25], s[66:67], exec
	s_and_b64 s[20:21], s[20:21], exec
	s_or_b64 s[70:71], s[24:25], s[20:21]
	s_orn2_b64 s[20:21], s[22:23], exec
.LBB175_232:
	s_or_b64 exec, exec, s[72:73]
	s_mov_b64 s[22:23], 0
	s_mov_b64 s[24:25], 0
                                        ; implicit-def: $vgpr23
                                        ; implicit-def: $vgpr6_vgpr7
	s_and_saveexec_b64 s[72:73], s[20:21]
	s_cbranch_execz .LBB175_421
; %bb.233:
	v_cmp_gt_i32_e32 vcc, s82, v9
	s_mov_b64 s[22:23], -1
	s_mov_b64 s[76:77], s[70:71]
	s_and_saveexec_b64 s[74:75], vcc
	s_cbranch_execz .LBB175_349
; %bb.234:
	s_andn2_b64 vcc, exec, s[48:49]
	s_cbranch_vccnz .LBB175_239
; %bb.235:
	s_andn2_b64 vcc, exec, s[64:65]
	s_cbranch_vccnz .LBB175_240
; %bb.236:
	s_add_i32 s85, s83, 1
	s_mov_b32 s84, 0
	s_cmp_eq_u32 s80, 2
	v_mov_b32_e32 v2, 0
	s_cbranch_scc1 .LBB175_241
; %bb.237:
	s_and_b32 s84, s85, 28
	s_mov_b32 s86, 0
	v_mov_b32_e32 v2, 0
	s_mov_b64 s[76:77], s[4:5]
	s_mov_b64 s[78:79], s[62:63]
	v_mov_b32_e32 v5, v9
.LBB175_238:                            ; =>This Inner Loop Header: Depth=1
	s_load_dwordx8 s[20:27], s[76:77], 0x4
	s_load_dwordx4 s[40:43], s[76:77], 0x24
	s_load_dwordx4 s[44:47], s[78:79], 0x0
	s_add_u32 s76, s76, 48
	s_addc_u32 s77, s77, 0
	s_waitcnt lgkmcnt(0)
	v_mul_hi_u32 v3, s21, v5
	v_add_u32_e32 v3, v5, v3
	v_lshrrev_b32_e32 v3, s22, v3
	v_mul_lo_u32 v6, v3, s20
	v_mul_hi_u32 v7, s24, v3
	v_sub_u32_e32 v5, v5, v6
	v_add_u32_e32 v6, v3, v7
	v_lshrrev_b32_e32 v6, s25, v6
	v_mul_lo_u32 v7, v6, s23
	v_mul_hi_u32 v23, s27, v6
	v_sub_u32_e32 v3, v3, v7
	v_add_u32_e32 v7, v6, v23
	v_mul_lo_u32 v5, v5, s44
	v_mul_lo_u32 v3, v3, s45
	v_lshrrev_b32_e32 v7, s40, v7
	v_add3_u32 v2, v5, v2, v3
	v_mul_hi_u32 v5, s42, v7
	v_add_u32_e32 v5, v7, v5
	v_mul_lo_u32 v3, v7, s26
	v_lshrrev_b32_e32 v5, s43, v5
	s_add_i32 s86, s86, 4
	v_sub_u32_e32 v3, v6, v3
	v_mul_lo_u32 v6, v5, s41
	s_add_u32 s78, s78, 16
	v_sub_u32_e32 v6, v7, v6
	s_addc_u32 s79, s79, 0
	v_mul_lo_u32 v3, v3, s46
	v_mul_lo_u32 v6, v6, s47
	s_cmp_eq_u32 s84, s86
	v_add3_u32 v2, v3, v2, v6
	s_cbranch_scc0 .LBB175_238
	s_branch .LBB175_242
.LBB175_239:
	s_mov_b64 s[20:21], -1
                                        ; implicit-def: $vgpr2
	s_branch .LBB175_246
.LBB175_240:
	v_mov_b32_e32 v2, 0
	s_branch .LBB175_245
.LBB175_241:
	v_mov_b32_e32 v5, v9
.LBB175_242:
	s_and_b32 s24, s85, 3
	s_cmp_eq_u32 s24, 0
	s_cbranch_scc1 .LBB175_245
; %bb.243:
	s_lshl_b32 s20, s84, 2
	s_add_u32 s20, s20, s4
	s_addc_u32 s21, s5, 0
	s_add_u32 s20, s20, 0xc4
	s_addc_u32 s21, s21, 0
	s_mul_i32 s22, s84, 12
	s_add_u32 s22, s4, s22
	s_addc_u32 s23, s5, 0
.LBB175_244:                            ; =>This Inner Loop Header: Depth=1
	s_load_dwordx2 s[26:27], s[22:23], 0x4
	s_load_dword s25, s[22:23], 0xc
	s_load_dword s40, s[20:21], 0x0
	s_add_u32 s22, s22, 12
	s_addc_u32 s23, s23, 0
	s_waitcnt lgkmcnt(0)
	v_mul_hi_u32 v3, s27, v5
	v_add_u32_e32 v3, v5, v3
	v_lshrrev_b32_e32 v3, s25, v3
	s_add_u32 s20, s20, 4
	v_mul_lo_u32 v6, v3, s26
	s_addc_u32 s21, s21, 0
	s_add_i32 s24, s24, -1
	v_sub_u32_e32 v6, v5, v6
	s_cmp_lg_u32 s24, 0
	v_mov_b32_e32 v5, v3
	v_mad_u64_u32 v[2:3], s[26:27], v6, s40, v[2:3]
	s_cbranch_scc1 .LBB175_244
.LBB175_245:
	s_mov_b64 s[20:21], 0
.LBB175_246:
	s_andn2_b64 vcc, exec, s[20:21]
	s_cbranch_vccnz .LBB175_249
; %bb.247:
	s_waitcnt lgkmcnt(0)
	v_mul_hi_u32 v2, s37, v9
	v_add_u32_e32 v2, v9, v2
	v_lshrrev_b32_e32 v3, s38, v2
	v_mul_lo_u32 v2, v3, s36
	v_sub_u32_e32 v2, v9, v2
	s_andn2_b64 vcc, exec, s[58:59]
	v_mul_lo_u32 v2, v2, s56
	s_cbranch_vccnz .LBB175_249
; %bb.248:
	v_mul_hi_u32 v5, s60, v3
	v_add_u32_e32 v5, v3, v5
	v_lshrrev_b32_e32 v5, s61, v5
	v_mul_lo_u32 v5, v5, s39
	v_sub_u32_e32 v3, v3, v5
	v_mad_u64_u32 v[2:3], s[20:21], v3, s57, v[2:3]
.LBB175_249:
	v_mov_b32_e32 v3, s29
	v_add_co_u32_e32 v6, vcc, s28, v2
	v_mov_b32_e32 v2, 11
	v_addc_co_u32_e32 v7, vcc, 0, v3, vcc
	s_waitcnt lgkmcnt(0)
	v_cmp_lt_i16_sdwa s[20:21], s81, v2 src0_sel:BYTE_0 src1_sel:DWORD
	s_and_b64 vcc, exec, s[20:21]
	s_cbranch_vccnz .LBB175_256
; %bb.250:
	v_mov_b32_e32 v2, 25
	v_cmp_gt_i16_sdwa s[20:21], s81, v2 src0_sel:BYTE_0 src1_sel:DWORD
	s_and_b64 vcc, exec, s[20:21]
	s_cbranch_vccz .LBB175_257
; %bb.251:
	v_mov_b32_e32 v2, 28
	v_cmp_gt_i16_sdwa s[20:21], s81, v2 src0_sel:BYTE_0 src1_sel:DWORD
	s_and_b64 vcc, exec, s[20:21]
	s_cbranch_vccz .LBB175_258
	;; [unrolled: 5-line block ×4, first 2 shown]
; %bb.254:
	v_mov_b32_e32 v2, 46
	v_cmp_eq_u16_sdwa s[22:23], s81, v2 src0_sel:BYTE_0 src1_sel:DWORD
	s_mov_b64 s[24:25], 0
	s_mov_b64 s[20:21], -1
	s_and_b64 vcc, exec, s[22:23]
	s_mov_b64 s[22:23], 0
	s_cbranch_vccz .LBB175_261
; %bb.255:
	global_store_dword v[6:7], v11, off
	s_mov_b64 s[22:23], -1
	s_mov_b64 s[20:21], 0
	s_branch .LBB175_261
.LBB175_256:
	s_mov_b64 s[24:25], -1
	s_mov_b64 s[22:23], 0
	s_mov_b64 s[20:21], s[70:71]
	s_branch .LBB175_306
.LBB175_257:
	s_mov_b64 s[24:25], -1
	s_mov_b64 s[22:23], 0
	s_mov_b64 s[20:21], s[70:71]
	s_branch .LBB175_283
.LBB175_258:
	s_mov_b64 s[24:25], -1
	s_mov_b64 s[22:23], 0
	s_mov_b64 s[20:21], s[70:71]
	s_branch .LBB175_269
.LBB175_259:
	s_mov_b64 s[24:25], -1
	s_mov_b64 s[22:23], 0
	s_mov_b64 s[20:21], s[70:71]
	s_branch .LBB175_265
.LBB175_260:
	s_mov_b64 s[24:25], -1
	s_mov_b64 s[22:23], 0
	s_mov_b64 s[20:21], s[70:71]
.LBB175_261:
	s_and_b64 vcc, exec, s[24:25]
	s_cbranch_vccz .LBB175_264
; %bb.262:
	v_mov_b32_e32 v2, 44
	v_cmp_eq_u16_sdwa s[24:25], s81, v2 src0_sel:BYTE_0 src1_sel:DWORD
	s_mov_b64 s[20:21], -1
	s_and_b64 vcc, exec, s[24:25]
	s_cbranch_vccz .LBB175_264
; %bb.263:
	v_mov_b32_e32 v2, 0xff
	v_cndmask_b32_e64 v2, v22, v2, s[18:19]
	s_mov_b64 s[22:23], -1
	s_mov_b64 s[20:21], 0
	global_store_byte v[6:7], v2, off
.LBB175_264:
	s_mov_b64 s[24:25], 0
.LBB175_265:
	s_and_b64 vcc, exec, s[24:25]
	s_cbranch_vccz .LBB175_268
; %bb.266:
	v_mov_b32_e32 v2, 29
	v_cmp_eq_u16_sdwa s[24:25], s81, v2 src0_sel:BYTE_0 src1_sel:DWORD
	s_mov_b64 s[20:21], -1
	s_and_b64 vcc, exec, s[24:25]
	s_cbranch_vccz .LBB175_268
; %bb.267:
	v_pk_mov_b32 v[2:3], s[30:31], s[30:31] op_sel:[0,1]
	global_store_dwordx2 v[6:7], v[2:3], off
	s_mov_b64 s[22:23], -1
	s_mov_b64 s[20:21], 0
.LBB175_268:
	s_mov_b64 s[24:25], 0
.LBB175_269:
	s_and_b64 vcc, exec, s[24:25]
	s_cbranch_vccz .LBB175_282
; %bb.270:
	v_mov_b32_e32 v2, 27
	v_cmp_lt_i16_sdwa s[24:25], s81, v2 src0_sel:BYTE_0 src1_sel:DWORD
	s_mov_b64 s[22:23], -1
	s_and_b64 vcc, exec, s[24:25]
	s_cbranch_vccnz .LBB175_276
; %bb.271:
	v_cmp_gt_i16_sdwa s[24:25], s81, v2 src0_sel:BYTE_0 src1_sel:DWORD
	s_and_b64 vcc, exec, s[24:25]
	s_cbranch_vccz .LBB175_273
; %bb.272:
	v_mov_b32_e32 v2, s30
	s_mov_b64 s[22:23], 0
	global_store_dword v[6:7], v2, off
.LBB175_273:
	s_andn2_b64 vcc, exec, s[22:23]
	s_cbranch_vccnz .LBB175_275
; %bb.274:
	v_mov_b32_e32 v2, s30
	global_store_short v[6:7], v2, off
.LBB175_275:
	s_mov_b64 s[22:23], 0
.LBB175_276:
	s_andn2_b64 vcc, exec, s[22:23]
	s_cbranch_vccnz .LBB175_281
; %bb.277:
	s_andn2_b64 vcc, exec, s[16:17]
	v_mov_b32_e32 v2, 0x80
	s_cbranch_vccnz .LBB175_280
; %bb.278:
	s_or_b64 s[22:23], s[14:15], s[54:55]
	s_andn2_b64 vcc, exec, s[22:23]
	v_mov_b32_e32 v2, 0
	s_cbranch_vccnz .LBB175_280
; %bb.279:
	v_cndmask_b32_e64 v2, v21, v20, s[14:15]
.LBB175_280:
	global_store_byte v[6:7], v2, off
.LBB175_281:
	s_mov_b64 s[22:23], -1
.LBB175_282:
	s_mov_b64 s[24:25], 0
.LBB175_283:
	s_and_b64 vcc, exec, s[24:25]
	s_cbranch_vccz .LBB175_305
; %bb.284:
	v_mov_b32_e32 v2, 22
	v_cmp_gt_i16_sdwa s[26:27], s81, v2 src0_sel:BYTE_0 src1_sel:DWORD
	s_mov_b64 s[24:25], -1
	s_and_b64 vcc, exec, s[26:27]
	s_cbranch_vccz .LBB175_297
; %bb.285:
	v_mov_b32_e32 v2, 24
	v_cmp_lt_i16_sdwa s[24:25], s81, v2 src0_sel:BYTE_0 src1_sel:DWORD
	s_mov_b64 s[22:23], -1
	s_and_b64 vcc, exec, s[24:25]
	s_cbranch_vccnz .LBB175_294
; %bb.286:
	v_cmp_gt_i16_sdwa s[24:25], s81, v2 src0_sel:BYTE_0 src1_sel:DWORD
	s_and_b64 vcc, exec, s[24:25]
	s_cbranch_vccz .LBB175_291
; %bb.287:
	s_andn2_b64 vcc, exec, s[12:13]
	v_mov_b32_e32 v2, 0x80
	s_cbranch_vccnz .LBB175_290
; %bb.288:
	s_or_b64 s[22:23], s[10:11], s[52:53]
	s_andn2_b64 vcc, exec, s[22:23]
	v_mov_b32_e32 v2, 0
	s_cbranch_vccnz .LBB175_290
; %bb.289:
	v_cndmask_b32_e64 v2, v18, v17, s[10:11]
.LBB175_290:
	s_mov_b64 s[22:23], 0
	global_store_byte v[6:7], v2, off
.LBB175_291:
	s_and_b64 vcc, exec, s[22:23]
	s_cbranch_vccz .LBB175_293
; %bb.292:
	v_cndmask_b32_e64 v2, v15, v16, s[8:9]
	v_cndmask_b32_e64 v2, v2, v19, s[6:7]
	global_store_byte v[6:7], v2, off
.LBB175_293:
	s_mov_b64 s[22:23], 0
.LBB175_294:
	s_andn2_b64 vcc, exec, s[22:23]
	s_cbranch_vccnz .LBB175_296
; %bb.295:
	v_cndmask_b32_e64 v2, v12, v13, s[2:3]
	v_cndmask_b32_e64 v2, v2, v14, s[0:1]
	global_store_byte v[6:7], v2, off
.LBB175_296:
	s_mov_b64 s[24:25], 0
	s_mov_b64 s[22:23], -1
.LBB175_297:
	s_andn2_b64 vcc, exec, s[24:25]
	s_cbranch_vccnz .LBB175_305
; %bb.298:
	v_mov_b32_e32 v2, 14
	v_cmp_gt_i16_sdwa s[26:27], s81, v2 src0_sel:BYTE_0 src1_sel:DWORD
	s_mov_b64 s[24:25], -1
	s_and_b64 vcc, exec, s[26:27]
	s_cbranch_vccz .LBB175_302
; %bb.299:
	v_mov_b32_e32 v2, 15
	v_cmp_eq_u16_sdwa s[24:25], s81, v2 src0_sel:BYTE_0 src1_sel:DWORD
	s_mov_b64 s[20:21], -1
	s_and_b64 vcc, exec, s[24:25]
	s_cbranch_vccz .LBB175_301
; %bb.300:
	global_store_short v[6:7], v11, off
	s_mov_b64 s[22:23], -1
	s_mov_b64 s[20:21], 0
.LBB175_301:
	s_mov_b64 s[24:25], 0
.LBB175_302:
	s_and_b64 vcc, exec, s[24:25]
	s_cbranch_vccz .LBB175_305
; %bb.303:
	v_mov_b32_e32 v2, 11
	v_cmp_eq_u16_sdwa s[24:25], s81, v2 src0_sel:BYTE_0 src1_sel:DWORD
	s_mov_b64 s[20:21], -1
	s_and_b64 vcc, exec, s[24:25]
	s_cbranch_vccz .LBB175_305
; %bb.304:
	s_mov_b64 s[22:23], -1
	s_mov_b64 s[20:21], 0
	global_store_byte v[6:7], v10, off
.LBB175_305:
	s_mov_b64 s[24:25], 0
.LBB175_306:
	s_and_b64 vcc, exec, s[24:25]
	s_cbranch_vccz .LBB175_345
; %bb.307:
	v_mov_b32_e32 v2, 5
	v_cmp_lt_i16_sdwa s[24:25], s81, v2 src0_sel:BYTE_0 src1_sel:DWORD
	s_mov_b64 s[22:23], -1
	s_and_b64 vcc, exec, s[24:25]
	s_cbranch_vccnz .LBB175_328
; %bb.308:
	v_mov_b32_e32 v2, 8
	v_cmp_lt_i16_sdwa s[24:25], s81, v2 src0_sel:BYTE_0 src1_sel:DWORD
	s_and_b64 vcc, exec, s[24:25]
	s_cbranch_vccnz .LBB175_318
; %bb.309:
	v_mov_b32_e32 v2, 9
	v_cmp_lt_i16_sdwa s[24:25], s81, v2 src0_sel:BYTE_0 src1_sel:DWORD
	s_and_b64 vcc, exec, s[24:25]
	s_cbranch_vccnz .LBB175_315
; %bb.310:
	v_cmp_gt_i16_sdwa s[24:25], s81, v2 src0_sel:BYTE_0 src1_sel:DWORD
	s_and_b64 vcc, exec, s[24:25]
	s_cbranch_vccz .LBB175_312
; %bb.311:
	v_mov_b32_e32 v2, 0
	v_mov_b32_e32 v3, v2
	s_mov_b64 s[22:23], 0
	global_store_dwordx4 v[6:7], v[0:3], off
.LBB175_312:
	s_andn2_b64 vcc, exec, s[22:23]
	s_cbranch_vccnz .LBB175_314
; %bb.313:
	v_mov_b32_e32 v5, 0
	global_store_dwordx2 v[6:7], v[4:5], off
.LBB175_314:
	s_mov_b64 s[22:23], 0
.LBB175_315:
	s_andn2_b64 vcc, exec, s[22:23]
	s_cbranch_vccnz .LBB175_317
; %bb.316:
	global_store_dword v[6:7], v8, off
.LBB175_317:
	s_mov_b64 s[22:23], 0
.LBB175_318:
	s_andn2_b64 vcc, exec, s[22:23]
	s_cbranch_vccnz .LBB175_327
; %bb.319:
	v_mov_b32_e32 v2, 6
	v_cmp_lt_i16_sdwa s[24:25], s81, v2 src0_sel:BYTE_0 src1_sel:DWORD
	s_mov_b64 s[22:23], -1
	s_and_b64 vcc, exec, s[24:25]
	s_cbranch_vccnz .LBB175_325
; %bb.320:
	v_cmp_gt_i16_sdwa s[24:25], s81, v2 src0_sel:BYTE_0 src1_sel:DWORD
	s_and_b64 vcc, exec, s[24:25]
	s_cbranch_vccz .LBB175_322
; %bb.321:
	s_mov_b64 s[22:23], 0
	global_store_dwordx2 v[6:7], v[0:1], off
.LBB175_322:
	s_andn2_b64 vcc, exec, s[22:23]
	s_cbranch_vccnz .LBB175_324
; %bb.323:
	global_store_dword v[6:7], v4, off
.LBB175_324:
	s_mov_b64 s[22:23], 0
.LBB175_325:
	s_andn2_b64 vcc, exec, s[22:23]
	s_cbranch_vccnz .LBB175_327
; %bb.326:
	global_store_short v[6:7], v8, off
.LBB175_327:
	s_mov_b64 s[22:23], 0
.LBB175_328:
	s_andn2_b64 vcc, exec, s[22:23]
	s_cbranch_vccnz .LBB175_344
; %bb.329:
	v_mov_b32_e32 v2, 2
	v_cmp_lt_i16_sdwa s[24:25], s81, v2 src0_sel:BYTE_0 src1_sel:DWORD
	s_mov_b64 s[22:23], -1
	s_and_b64 vcc, exec, s[24:25]
	s_cbranch_vccnz .LBB175_339
; %bb.330:
	v_mov_b32_e32 v2, 3
	v_cmp_lt_i16_sdwa s[24:25], s81, v2 src0_sel:BYTE_0 src1_sel:DWORD
	s_and_b64 vcc, exec, s[24:25]
	s_cbranch_vccnz .LBB175_336
; %bb.331:
	v_cmp_gt_i16_sdwa s[24:25], s81, v2 src0_sel:BYTE_0 src1_sel:DWORD
	s_and_b64 vcc, exec, s[24:25]
	s_cbranch_vccz .LBB175_333
; %bb.332:
	v_pk_mov_b32 v[2:3], s[30:31], s[30:31] op_sel:[0,1]
	s_mov_b64 s[22:23], 0
	global_store_dwordx2 v[6:7], v[2:3], off
.LBB175_333:
	s_andn2_b64 vcc, exec, s[22:23]
	s_cbranch_vccnz .LBB175_335
; %bb.334:
	v_mov_b32_e32 v2, s30
	global_store_dword v[6:7], v2, off
.LBB175_335:
	s_mov_b64 s[22:23], 0
.LBB175_336:
	s_andn2_b64 vcc, exec, s[22:23]
	s_cbranch_vccnz .LBB175_338
; %bb.337:
	v_mov_b32_e32 v2, s30
	global_store_short v[6:7], v2, off
.LBB175_338:
	s_mov_b64 s[22:23], 0
.LBB175_339:
	s_andn2_b64 vcc, exec, s[22:23]
	s_cbranch_vccnz .LBB175_344
; %bb.340:
	v_mov_b32_e32 v2, 0
	v_cmp_gt_i16_sdwa s[24:25], s81, v2 src0_sel:BYTE_0 src1_sel:DWORD
	s_mov_b64 s[22:23], -1
	s_and_b64 vcc, exec, s[24:25]
	s_cbranch_vccz .LBB175_342
; %bb.341:
	v_mov_b32_e32 v2, s30
	s_mov_b64 s[22:23], 0
	global_store_byte v[6:7], v2, off
.LBB175_342:
	s_andn2_b64 vcc, exec, s[22:23]
	s_cbranch_vccnz .LBB175_344
; %bb.343:
	v_mov_b32_e32 v2, s30
	global_store_byte v[6:7], v2, off
.LBB175_344:
	s_mov_b64 s[22:23], -1
.LBB175_345:
	s_andn2_b64 vcc, exec, s[22:23]
	s_cbranch_vccnz .LBB175_347
; %bb.346:
	v_add_u32_e32 v9, 0x80, v9
	s_mov_b64 s[22:23], -1
	s_branch .LBB175_348
.LBB175_347:
	s_mov_b64 s[22:23], 0
                                        ; implicit-def: $vgpr9
.LBB175_348:
	s_andn2_b64 s[24:25], s[70:71], exec
	s_and_b64 s[20:21], s[20:21], exec
	s_or_b64 s[76:77], s[24:25], s[20:21]
	s_orn2_b64 s[22:23], s[22:23], exec
.LBB175_349:
	s_or_b64 exec, exec, s[74:75]
	s_mov_b64 s[20:21], 0
	s_mov_b64 s[26:27], 0
                                        ; implicit-def: $vgpr23
                                        ; implicit-def: $vgpr6_vgpr7
	s_and_saveexec_b64 s[74:75], s[22:23]
	s_cbranch_execz .LBB175_420
; %bb.350:
	v_cmp_gt_i32_e32 vcc, s82, v9
	s_mov_b64 s[22:23], 0
	s_mov_b64 s[24:25], s[76:77]
                                        ; implicit-def: $vgpr23
                                        ; implicit-def: $vgpr6_vgpr7
	s_and_saveexec_b64 s[78:79], vcc
	s_cbranch_execz .LBB175_419
; %bb.351:
	s_andn2_b64 vcc, exec, s[48:49]
	s_cbranch_vccnz .LBB175_356
; %bb.352:
	s_andn2_b64 vcc, exec, s[64:65]
	s_cbranch_vccnz .LBB175_357
; %bb.353:
	s_add_i32 s83, s83, 1
	s_mov_b32 s82, 0
	s_cmp_eq_u32 s80, 2
	v_mov_b32_e32 v2, 0
	s_cbranch_scc1 .LBB175_358
; %bb.354:
	s_and_b32 s82, s83, 28
	s_mov_b32 s84, 0
	v_mov_b32_e32 v2, 0
	s_mov_b64 s[64:65], s[4:5]
	v_mov_b32_e32 v5, v9
.LBB175_355:                            ; =>This Inner Loop Header: Depth=1
	s_load_dwordx8 s[20:27], s[64:65], 0x4
	s_load_dwordx4 s[40:43], s[64:65], 0x24
	s_load_dwordx4 s[44:47], s[62:63], 0x0
	s_add_u32 s64, s64, 48
	s_addc_u32 s65, s65, 0
	s_waitcnt lgkmcnt(0)
	v_mul_hi_u32 v3, s21, v5
	v_add_u32_e32 v3, v5, v3
	v_lshrrev_b32_e32 v3, s22, v3
	v_mul_lo_u32 v6, v3, s20
	v_mul_hi_u32 v7, s24, v3
	v_sub_u32_e32 v5, v5, v6
	v_add_u32_e32 v6, v3, v7
	v_lshrrev_b32_e32 v6, s25, v6
	v_mul_lo_u32 v7, v6, s23
	v_mul_hi_u32 v23, s27, v6
	v_sub_u32_e32 v3, v3, v7
	v_add_u32_e32 v7, v6, v23
	v_mul_lo_u32 v5, v5, s44
	v_mul_lo_u32 v3, v3, s45
	v_lshrrev_b32_e32 v7, s40, v7
	v_add3_u32 v2, v5, v2, v3
	v_mul_hi_u32 v5, s42, v7
	v_add_u32_e32 v5, v7, v5
	v_mul_lo_u32 v3, v7, s26
	v_lshrrev_b32_e32 v5, s43, v5
	s_add_i32 s84, s84, 4
	v_sub_u32_e32 v3, v6, v3
	v_mul_lo_u32 v6, v5, s41
	s_add_u32 s62, s62, 16
	v_sub_u32_e32 v6, v7, v6
	s_addc_u32 s63, s63, 0
	v_mul_lo_u32 v3, v3, s46
	v_mul_lo_u32 v6, v6, s47
	s_cmp_eq_u32 s82, s84
	v_add3_u32 v2, v3, v2, v6
	s_cbranch_scc0 .LBB175_355
	s_branch .LBB175_359
.LBB175_356:
	s_mov_b64 s[20:21], -1
                                        ; implicit-def: $vgpr2
	s_branch .LBB175_363
.LBB175_357:
	v_mov_b32_e32 v2, 0
	s_branch .LBB175_362
.LBB175_358:
	v_mov_b32_e32 v5, v9
.LBB175_359:
	s_and_b32 s24, s83, 3
	s_cmp_eq_u32 s24, 0
	s_cbranch_scc1 .LBB175_362
; %bb.360:
	s_lshl_b32 s20, s82, 2
	s_add_u32 s20, s20, s4
	s_addc_u32 s21, s5, 0
	s_add_u32 s20, s20, 0xc4
	s_addc_u32 s21, s21, 0
	s_mul_i32 s22, s82, 12
	s_add_u32 s22, s4, s22
	s_addc_u32 s23, s5, 0
.LBB175_361:                            ; =>This Inner Loop Header: Depth=1
	s_load_dwordx2 s[26:27], s[22:23], 0x4
	s_load_dword s25, s[22:23], 0xc
	s_load_dword s40, s[20:21], 0x0
	s_add_u32 s22, s22, 12
	s_addc_u32 s23, s23, 0
	s_waitcnt lgkmcnt(0)
	v_mul_hi_u32 v3, s27, v5
	v_add_u32_e32 v3, v5, v3
	v_lshrrev_b32_e32 v3, s25, v3
	s_add_u32 s20, s20, 4
	v_mul_lo_u32 v6, v3, s26
	s_addc_u32 s21, s21, 0
	s_add_i32 s24, s24, -1
	v_sub_u32_e32 v6, v5, v6
	s_cmp_lg_u32 s24, 0
	v_mov_b32_e32 v5, v3
	v_mad_u64_u32 v[2:3], s[26:27], v6, s40, v[2:3]
	s_cbranch_scc1 .LBB175_361
.LBB175_362:
	s_mov_b64 s[20:21], 0
.LBB175_363:
	s_andn2_b64 vcc, exec, s[20:21]
	s_cbranch_vccnz .LBB175_366
; %bb.364:
	s_waitcnt lgkmcnt(0)
	v_mul_hi_u32 v2, s37, v9
	v_add_u32_e32 v2, v9, v2
	v_lshrrev_b32_e32 v3, s38, v2
	v_mul_lo_u32 v2, v3, s36
	v_sub_u32_e32 v2, v9, v2
	s_andn2_b64 vcc, exec, s[58:59]
	v_mul_lo_u32 v2, v2, s56
	s_cbranch_vccnz .LBB175_366
; %bb.365:
	v_mul_hi_u32 v5, s60, v3
	v_add_u32_e32 v5, v3, v5
	v_lshrrev_b32_e32 v5, s61, v5
	v_mul_lo_u32 v5, v5, s39
	v_sub_u32_e32 v3, v3, v5
	v_mad_u64_u32 v[2:3], s[20:21], v3, s57, v[2:3]
.LBB175_366:
	v_mov_b32_e32 v3, s29
	v_add_co_u32_e32 v6, vcc, s28, v2
	v_mov_b32_e32 v2, 0xff
	v_addc_co_u32_e32 v7, vcc, 0, v3, vcc
	s_waitcnt lgkmcnt(0)
	v_and_b32_e32 v23, s81, v2
	v_cmp_gt_i16_e32 vcc, 11, v23
	s_cbranch_vccnz .LBB175_416
; %bb.367:
	v_cmp_lt_i16_e32 vcc, 25, v23
	s_mov_b64 s[22:23], -1
	s_mov_b64 s[20:21], s[76:77]
	s_cbranch_vccz .LBB175_395
; %bb.368:
	v_cmp_lt_i16_e32 vcc, 28, v23
	s_mov_b64 s[20:21], s[76:77]
	s_cbranch_vccz .LBB175_382
; %bb.369:
	v_cmp_lt_i16_e32 vcc, 43, v23
	;; [unrolled: 4-line block ×3, first 2 shown]
	s_mov_b64 s[20:21], s[76:77]
	s_cbranch_vccz .LBB175_374
; %bb.371:
	v_cmp_eq_u16_e32 vcc, 46, v23
	s_mov_b64 s[20:21], -1
	s_cbranch_vccz .LBB175_373
; %bb.372:
	global_store_dword v[6:7], v11, off
	s_mov_b64 s[20:21], 0
.LBB175_373:
	s_mov_b64 s[22:23], 0
.LBB175_374:
	s_and_b64 vcc, exec, s[22:23]
	s_cbranch_vccz .LBB175_377
; %bb.375:
	v_cmp_eq_u16_e32 vcc, 44, v23
	s_mov_b64 s[20:21], -1
	s_cbranch_vccz .LBB175_377
; %bb.376:
	v_mov_b32_e32 v2, 0xff
	v_cndmask_b32_e64 v2, v22, v2, s[18:19]
	global_store_byte v[6:7], v2, off
	s_mov_b64 s[20:21], 0
.LBB175_377:
	s_mov_b64 s[22:23], 0
.LBB175_378:
	s_and_b64 vcc, exec, s[22:23]
	s_cbranch_vccz .LBB175_381
; %bb.379:
	v_cmp_eq_u16_e32 vcc, 29, v23
	s_mov_b64 s[20:21], -1
	s_cbranch_vccz .LBB175_381
; %bb.380:
	v_pk_mov_b32 v[2:3], s[30:31], s[30:31] op_sel:[0,1]
	global_store_dwordx2 v[6:7], v[2:3], off
	s_mov_b64 s[20:21], 0
.LBB175_381:
	s_mov_b64 s[22:23], 0
.LBB175_382:
	s_and_b64 vcc, exec, s[22:23]
	s_cbranch_vccz .LBB175_394
; %bb.383:
	v_cmp_gt_i16_e32 vcc, 27, v23
	s_mov_b64 s[18:19], -1
	s_cbranch_vccnz .LBB175_389
; %bb.384:
	v_cmp_lt_i16_e32 vcc, 27, v23
	s_cbranch_vccz .LBB175_386
; %bb.385:
	v_mov_b32_e32 v2, s30
	s_mov_b64 s[18:19], 0
	global_store_dword v[6:7], v2, off
.LBB175_386:
	s_andn2_b64 vcc, exec, s[18:19]
	s_cbranch_vccnz .LBB175_388
; %bb.387:
	v_mov_b32_e32 v2, s30
	global_store_short v[6:7], v2, off
.LBB175_388:
	s_mov_b64 s[18:19], 0
.LBB175_389:
	s_andn2_b64 vcc, exec, s[18:19]
	s_cbranch_vccnz .LBB175_394
; %bb.390:
	s_andn2_b64 vcc, exec, s[16:17]
	v_mov_b32_e32 v2, 0x80
	s_cbranch_vccnz .LBB175_393
; %bb.391:
	s_or_b64 s[16:17], s[14:15], s[54:55]
	s_andn2_b64 vcc, exec, s[16:17]
	v_mov_b32_e32 v2, 0
	s_cbranch_vccnz .LBB175_393
; %bb.392:
	v_cndmask_b32_e64 v2, v21, v20, s[14:15]
.LBB175_393:
	global_store_byte v[6:7], v2, off
.LBB175_394:
	s_mov_b64 s[22:23], 0
.LBB175_395:
	s_mov_b64 s[14:15], 0
	s_and_b64 vcc, exec, s[22:23]
	s_cbranch_vccz .LBB175_417
; %bb.396:
	v_cmp_lt_i16_e32 vcc, 22, v23
	s_mov_b64 s[16:17], -1
	s_cbranch_vccz .LBB175_409
; %bb.397:
	v_cmp_gt_i16_e32 vcc, 24, v23
	s_cbranch_vccnz .LBB175_406
; %bb.398:
	v_cmp_lt_i16_e32 vcc, 24, v23
	s_cbranch_vccz .LBB175_403
; %bb.399:
	s_andn2_b64 vcc, exec, s[12:13]
	v_mov_b32_e32 v2, 0x80
	s_cbranch_vccnz .LBB175_402
; %bb.400:
	s_or_b64 s[12:13], s[10:11], s[52:53]
	s_andn2_b64 vcc, exec, s[12:13]
	v_mov_b32_e32 v2, 0
	s_cbranch_vccnz .LBB175_402
; %bb.401:
	v_cndmask_b32_e64 v2, v18, v17, s[10:11]
.LBB175_402:
	s_mov_b64 s[16:17], 0
	global_store_byte v[6:7], v2, off
.LBB175_403:
	s_and_b64 vcc, exec, s[16:17]
	s_cbranch_vccz .LBB175_405
; %bb.404:
	v_cndmask_b32_e64 v2, v15, v16, s[8:9]
	v_cndmask_b32_e64 v2, v2, v19, s[6:7]
	global_store_byte v[6:7], v2, off
.LBB175_405:
	s_mov_b64 s[16:17], 0
.LBB175_406:
	s_andn2_b64 vcc, exec, s[16:17]
	s_cbranch_vccnz .LBB175_408
; %bb.407:
	v_cndmask_b32_e64 v2, v12, v13, s[2:3]
	v_cndmask_b32_e64 v2, v2, v14, s[0:1]
	global_store_byte v[6:7], v2, off
.LBB175_408:
	s_mov_b64 s[16:17], 0
.LBB175_409:
	s_andn2_b64 vcc, exec, s[16:17]
	s_mov_b64 s[0:1], 0
	s_cbranch_vccnz .LBB175_418
; %bb.410:
	v_cmp_lt_i16_e32 vcc, 14, v23
	s_mov_b64 s[2:3], -1
	s_cbranch_vccz .LBB175_414
; %bb.411:
	v_cmp_eq_u16_e32 vcc, 15, v23
	s_mov_b64 s[20:21], -1
	s_cbranch_vccz .LBB175_413
; %bb.412:
	global_store_short v[6:7], v11, off
	s_mov_b64 s[20:21], 0
.LBB175_413:
	s_mov_b64 s[2:3], 0
.LBB175_414:
	s_and_b64 vcc, exec, s[2:3]
	s_cbranch_vccz .LBB175_418
; %bb.415:
	v_cmp_ne_u16_e32 vcc, 11, v23
	s_andn2_b64 s[2:3], s[20:21], exec
	s_and_b64 s[6:7], vcc, exec
	s_mov_b64 s[0:1], -1
	s_or_b64 s[20:21], s[2:3], s[6:7]
	s_branch .LBB175_418
.LBB175_416:
	s_mov_b64 s[0:1], 0
	s_mov_b64 s[14:15], -1
	s_mov_b64 s[20:21], s[76:77]
	s_branch .LBB175_418
.LBB175_417:
	s_mov_b64 s[0:1], 0
.LBB175_418:
	s_and_b64 s[22:23], s[0:1], exec
	s_andn2_b64 s[0:1], s[76:77], exec
	s_and_b64 s[2:3], s[20:21], exec
	s_and_b64 s[26:27], s[14:15], exec
	s_or_b64 s[24:25], s[0:1], s[2:3]
.LBB175_419:
	s_or_b64 exec, exec, s[78:79]
	s_andn2_b64 s[0:1], s[76:77], exec
	s_and_b64 s[2:3], s[24:25], exec
	s_and_b64 s[26:27], s[26:27], exec
	s_and_b64 s[20:21], s[22:23], exec
	s_or_b64 s[76:77], s[0:1], s[2:3]
.LBB175_420:
	s_or_b64 exec, exec, s[74:75]
	s_andn2_b64 s[0:1], s[70:71], exec
	s_and_b64 s[2:3], s[76:77], exec
	s_and_b64 s[24:25], s[26:27], exec
	;; [unrolled: 1-line block ×3, first 2 shown]
	s_or_b64 s[70:71], s[0:1], s[2:3]
.LBB175_421:
	s_or_b64 exec, exec, s[72:73]
	s_andn2_b64 s[0:1], s[66:67], exec
	s_and_b64 s[2:3], s[70:71], exec
	s_and_b64 s[20:21], s[24:25], exec
	s_and_b64 s[72:73], s[22:23], exec
	s_or_b64 s[66:67], s[0:1], s[2:3]
	s_or_b64 exec, exec, s[68:69]
	s_mov_b64 s[0:1], 0
	s_and_saveexec_b64 s[2:3], s[66:67]
	s_cbranch_execz .LBB175_122
.LBB175_422:
	s_mov_b64 s[0:1], exec
	s_andn2_b64 s[72:73], s[72:73], exec
	s_trap 2
	s_or_b64 exec, exec, s[2:3]
	s_and_saveexec_b64 s[2:3], s[72:73]
	s_xor_b64 s[2:3], exec, s[2:3]
	s_cbranch_execnz .LBB175_123
.LBB175_423:
	s_or_b64 exec, exec, s[2:3]
	s_and_saveexec_b64 s[2:3], s[20:21]
	s_xor_b64 s[2:3], exec, s[2:3]
	s_cbranch_execz .LBB175_461
.LBB175_424:
	v_cmp_gt_i16_e32 vcc, 5, v23
	s_mov_b64 s[6:7], -1
	s_cbranch_vccnz .LBB175_445
; %bb.425:
	v_cmp_gt_i16_e32 vcc, 8, v23
	s_cbranch_vccnz .LBB175_435
; %bb.426:
	v_cmp_gt_i16_e32 vcc, 9, v23
	s_cbranch_vccnz .LBB175_432
; %bb.427:
	v_cmp_lt_i16_e32 vcc, 9, v23
	s_cbranch_vccz .LBB175_429
; %bb.428:
	v_mov_b32_e32 v2, 0
	v_mov_b32_e32 v3, v2
	s_mov_b64 s[6:7], 0
	global_store_dwordx4 v[6:7], v[0:3], off
.LBB175_429:
	s_andn2_b64 vcc, exec, s[6:7]
	s_cbranch_vccnz .LBB175_431
; %bb.430:
	v_mov_b32_e32 v5, 0
	global_store_dwordx2 v[6:7], v[4:5], off
.LBB175_431:
	s_mov_b64 s[6:7], 0
.LBB175_432:
	s_andn2_b64 vcc, exec, s[6:7]
	s_cbranch_vccnz .LBB175_434
; %bb.433:
	global_store_dword v[6:7], v8, off
.LBB175_434:
	s_mov_b64 s[6:7], 0
.LBB175_435:
	s_andn2_b64 vcc, exec, s[6:7]
	s_cbranch_vccnz .LBB175_444
; %bb.436:
	v_cmp_gt_i16_e32 vcc, 6, v23
	s_mov_b64 s[6:7], -1
	s_cbranch_vccnz .LBB175_442
; %bb.437:
	v_cmp_lt_i16_e32 vcc, 6, v23
	s_cbranch_vccz .LBB175_439
; %bb.438:
	s_mov_b64 s[6:7], 0
	global_store_dwordx2 v[6:7], v[0:1], off
.LBB175_439:
	s_andn2_b64 vcc, exec, s[6:7]
	s_cbranch_vccnz .LBB175_441
; %bb.440:
	global_store_dword v[6:7], v4, off
.LBB175_441:
	s_mov_b64 s[6:7], 0
.LBB175_442:
	s_andn2_b64 vcc, exec, s[6:7]
	s_cbranch_vccnz .LBB175_444
; %bb.443:
	global_store_short v[6:7], v8, off
.LBB175_444:
	s_mov_b64 s[6:7], 0
.LBB175_445:
	s_andn2_b64 vcc, exec, s[6:7]
	s_cbranch_vccnz .LBB175_461
; %bb.446:
	v_cmp_gt_i16_e32 vcc, 2, v23
	s_mov_b64 s[6:7], -1
	s_cbranch_vccnz .LBB175_456
; %bb.447:
	v_cmp_gt_i16_e32 vcc, 3, v23
	s_cbranch_vccnz .LBB175_453
; %bb.448:
	v_cmp_lt_i16_e32 vcc, 3, v23
	s_cbranch_vccz .LBB175_450
; %bb.449:
	v_pk_mov_b32 v[0:1], s[30:31], s[30:31] op_sel:[0,1]
	s_mov_b64 s[6:7], 0
	global_store_dwordx2 v[6:7], v[0:1], off
.LBB175_450:
	s_andn2_b64 vcc, exec, s[6:7]
	s_cbranch_vccnz .LBB175_452
; %bb.451:
	v_mov_b32_e32 v0, s30
	global_store_dword v[6:7], v0, off
.LBB175_452:
	s_mov_b64 s[6:7], 0
.LBB175_453:
	s_andn2_b64 vcc, exec, s[6:7]
	s_cbranch_vccnz .LBB175_455
; %bb.454:
	v_mov_b32_e32 v0, s30
	global_store_short v[6:7], v0, off
.LBB175_455:
	s_mov_b64 s[6:7], 0
.LBB175_456:
	s_andn2_b64 vcc, exec, s[6:7]
	s_cbranch_vccnz .LBB175_461
; %bb.457:
	v_cmp_lt_i16_e32 vcc, 0, v23
	s_mov_b64 s[6:7], -1
	s_cbranch_vccz .LBB175_459
; %bb.458:
	v_mov_b32_e32 v0, s30
	s_mov_b64 s[6:7], 0
	global_store_byte v[6:7], v0, off
.LBB175_459:
	s_andn2_b64 vcc, exec, s[6:7]
	s_cbranch_vccnz .LBB175_461
; %bb.460:
	v_mov_b32_e32 v0, s30
	global_store_byte v[6:7], v0, off
.LBB175_461:
	s_or_b64 exec, exec, s[2:3]
	s_and_b64 s[6:7], s[0:1], exec
                                        ; implicit-def: $vgpr8
                                        ; implicit-def: $vgpr9
.LBB175_462:
	s_or_saveexec_b64 s[24:25], s[50:51]
	s_mov_b64 s[0:1], 0
                                        ; implicit-def: $sgpr18
                                        ; implicit-def: $vgpr0_vgpr1
                                        ; implicit-def: $sgpr2_sgpr3
	s_xor_b64 exec, exec, s[24:25]
	s_cbranch_execz .LBB175_951
; %bb.463:
	v_cndmask_b32_e64 v0, 0, 1, s[48:49]
	v_cmp_ne_u32_e64 s[0:1], 1, v0
	s_andn2_b64 vcc, exec, s[48:49]
	s_cbranch_vccnz .LBB175_469
; %bb.464:
	s_mov_b32 s28, 0
	s_cmp_eq_u32 s33, 0
	v_mov_b32_e32 v6, 0
	s_cbranch_scc1 .LBB175_473
; %bb.465:
	s_min_u32 s29, s80, 15
	s_add_i32 s29, s29, 1
	s_cmp_eq_u32 s80, 2
	v_mov_b32_e32 v6, 0
	s_cbranch_scc1 .LBB175_470
; %bb.466:
	s_add_u32 s2, s4, 0xc4
	s_addc_u32 s3, s5, 0
	s_and_b32 s28, s29, 28
	s_mov_b32 s30, 0
	v_mov_b32_e32 v6, 0
	s_mov_b64 s[26:27], s[4:5]
	v_mov_b32_e32 v0, v9
.LBB175_467:                            ; =>This Inner Loop Header: Depth=1
	s_load_dwordx8 s[8:15], s[26:27], 0x4
	s_load_dwordx4 s[16:19], s[26:27], 0x24
	s_load_dwordx4 s[20:23], s[2:3], 0x0
	s_add_u32 s26, s26, 48
	s_addc_u32 s27, s27, 0
	s_waitcnt lgkmcnt(0)
	v_mul_hi_u32 v1, s9, v0
	v_add_u32_e32 v1, v0, v1
	v_lshrrev_b32_e32 v1, s10, v1
	v_mul_lo_u32 v2, v1, s8
	v_mul_hi_u32 v3, s12, v1
	v_sub_u32_e32 v0, v0, v2
	v_add_u32_e32 v2, v1, v3
	v_lshrrev_b32_e32 v2, s13, v2
	v_mul_lo_u32 v3, v2, s11
	v_mul_hi_u32 v4, s15, v2
	v_sub_u32_e32 v1, v1, v3
	v_add_u32_e32 v3, v2, v4
	v_mul_lo_u32 v0, v0, s20
	v_mul_lo_u32 v1, v1, s21
	v_lshrrev_b32_e32 v3, s16, v3
	v_add3_u32 v1, v0, v6, v1
	v_mul_lo_u32 v0, v3, s14
	v_mul_hi_u32 v4, s18, v3
	v_sub_u32_e32 v0, v2, v0
	v_add_u32_e32 v2, v3, v4
	v_mul_lo_u32 v4, v0, s22
	v_lshrrev_b32_e32 v0, s19, v2
	s_add_i32 s30, s30, 4
	v_mul_lo_u32 v2, v0, s17
	s_add_u32 s2, s2, 16
	v_sub_u32_e32 v2, v3, v2
	s_addc_u32 s3, s3, 0
	v_mul_lo_u32 v2, v2, s23
	s_cmp_lg_u32 s28, s30
	v_add3_u32 v6, v4, v1, v2
	s_cbranch_scc1 .LBB175_467
; %bb.468:
	s_and_b32 s10, s29, 3
	s_cmp_eq_u32 s10, 0
	s_cbranch_scc0 .LBB175_471
	s_branch .LBB175_473
.LBB175_469:
                                        ; implicit-def: $vgpr6
	s_branch .LBB175_474
.LBB175_470:
	v_mov_b32_e32 v0, v9
	s_and_b32 s10, s29, 3
	s_cmp_eq_u32 s10, 0
	s_cbranch_scc1 .LBB175_473
.LBB175_471:
	s_lshl_b32 s2, s28, 2
	s_add_u32 s2, s2, s4
	s_addc_u32 s3, 0, s5
	s_add_u32 s2, s2, 0xc4
	s_addc_u32 s3, s3, 0
	s_mul_i32 s8, s28, 12
	s_add_u32 s8, s4, s8
	s_addc_u32 s9, 0, s5
.LBB175_472:                            ; =>This Inner Loop Header: Depth=1
	s_load_dwordx2 s[12:13], s[8:9], 0x4
	s_load_dword s11, s[8:9], 0xc
	s_load_dword s14, s[2:3], 0x0
	s_add_u32 s8, s8, 12
	s_addc_u32 s9, s9, 0
	s_waitcnt lgkmcnt(0)
	v_mul_hi_u32 v1, s13, v0
	v_add_u32_e32 v1, v0, v1
	v_lshrrev_b32_e32 v1, s11, v1
	s_add_u32 s2, s2, 4
	v_mul_lo_u32 v2, v1, s12
	s_addc_u32 s3, s3, 0
	s_add_i32 s10, s10, -1
	v_sub_u32_e32 v2, v0, v2
	s_cmp_lg_u32 s10, 0
	v_mov_b32_e32 v0, v1
	v_mad_u64_u32 v[6:7], s[12:13], v2, s14, v[6:7]
	s_cbranch_scc1 .LBB175_472
.LBB175_473:
	s_cbranch_execnz .LBB175_476
.LBB175_474:
	s_load_dwordx4 s[8:11], s[4:5], 0x4
	s_load_dword s2, s[4:5], 0xc4
	s_cmp_lt_u32 s33, 2
	s_waitcnt lgkmcnt(0)
	v_mul_hi_u32 v0, s9, v9
	v_add_u32_e32 v0, v9, v0
	v_lshrrev_b32_e32 v0, s10, v0
	v_mul_lo_u32 v1, v0, s8
	v_sub_u32_e32 v1, v9, v1
	v_mul_lo_u32 v6, v1, s2
	s_cbranch_scc1 .LBB175_476
; %bb.475:
	s_load_dwordx4 s[8:11], s[4:5], 0x10
	s_load_dword s2, s[4:5], 0xc8
	s_waitcnt lgkmcnt(0)
	v_mul_hi_u32 v1, s9, v0
	v_add_u32_e32 v1, v0, v1
	v_lshrrev_b32_e32 v1, s10, v1
	v_mul_lo_u32 v1, v1, s8
	v_sub_u32_e32 v0, v0, v1
	v_mad_u64_u32 v[6:7], s[2:3], v0, s2, v[6:7]
.LBB175_476:
	s_and_b64 vcc, exec, s[0:1]
	v_add_u32_e32 v0, 0x80, v9
	s_cbranch_vccnz .LBB175_482
; %bb.477:
	s_mov_b32 s28, 0
	s_cmp_eq_u32 s33, 0
	v_mov_b32_e32 v4, 0
	s_cbranch_scc1 .LBB175_486
; %bb.478:
	s_min_u32 s29, s80, 15
	s_add_i32 s29, s29, 1
	s_cmp_eq_u32 s80, 2
	v_mov_b32_e32 v4, 0
	s_cbranch_scc1 .LBB175_483
; %bb.479:
	s_add_u32 s2, s4, 0xc4
	s_addc_u32 s3, s5, 0
	s_and_b32 s28, s29, 28
	s_mov_b32 s30, 0
	v_mov_b32_e32 v4, 0
	s_mov_b64 s[26:27], s[4:5]
	v_mov_b32_e32 v1, v0
.LBB175_480:                            ; =>This Inner Loop Header: Depth=1
	s_load_dwordx8 s[8:15], s[26:27], 0x4
	s_load_dwordx4 s[16:19], s[26:27], 0x24
	s_load_dwordx4 s[20:23], s[2:3], 0x0
	s_add_u32 s26, s26, 48
	s_addc_u32 s27, s27, 0
	s_waitcnt lgkmcnt(0)
	v_mul_hi_u32 v2, s9, v1
	v_add_u32_e32 v2, v1, v2
	v_lshrrev_b32_e32 v2, s10, v2
	v_mul_lo_u32 v3, v2, s8
	v_mul_hi_u32 v5, s12, v2
	v_sub_u32_e32 v1, v1, v3
	v_add_u32_e32 v3, v2, v5
	v_lshrrev_b32_e32 v3, s13, v3
	v_mul_lo_u32 v5, v3, s11
	v_mul_hi_u32 v7, s15, v3
	v_sub_u32_e32 v2, v2, v5
	v_add_u32_e32 v5, v3, v7
	v_mul_lo_u32 v1, v1, s20
	v_mul_lo_u32 v2, v2, s21
	v_lshrrev_b32_e32 v5, s16, v5
	v_add3_u32 v2, v1, v4, v2
	v_mul_lo_u32 v1, v5, s14
	v_mul_hi_u32 v4, s18, v5
	v_sub_u32_e32 v1, v3, v1
	v_add_u32_e32 v3, v5, v4
	v_mul_lo_u32 v4, v1, s22
	v_lshrrev_b32_e32 v1, s19, v3
	s_add_i32 s30, s30, 4
	v_mul_lo_u32 v3, v1, s17
	s_add_u32 s2, s2, 16
	v_sub_u32_e32 v3, v5, v3
	s_addc_u32 s3, s3, 0
	v_mul_lo_u32 v3, v3, s23
	s_cmp_lg_u32 s28, s30
	v_add3_u32 v4, v4, v2, v3
	s_cbranch_scc1 .LBB175_480
; %bb.481:
	s_and_b32 s10, s29, 3
	s_cmp_eq_u32 s10, 0
	s_cbranch_scc0 .LBB175_484
	s_branch .LBB175_486
.LBB175_482:
                                        ; implicit-def: $vgpr4
	s_branch .LBB175_487
.LBB175_483:
	v_mov_b32_e32 v1, v0
	s_and_b32 s10, s29, 3
	s_cmp_eq_u32 s10, 0
	s_cbranch_scc1 .LBB175_486
.LBB175_484:
	s_lshl_b32 s2, s28, 2
	s_add_u32 s2, s2, s4
	s_addc_u32 s3, 0, s5
	s_add_u32 s2, s2, 0xc4
	s_addc_u32 s3, s3, 0
	s_mul_i32 s8, s28, 12
	s_add_u32 s8, s4, s8
	s_addc_u32 s9, 0, s5
.LBB175_485:                            ; =>This Inner Loop Header: Depth=1
	s_load_dwordx2 s[12:13], s[8:9], 0x4
	s_load_dword s11, s[8:9], 0xc
	s_load_dword s14, s[2:3], 0x0
	s_add_u32 s8, s8, 12
	s_addc_u32 s9, s9, 0
	s_waitcnt lgkmcnt(0)
	v_mul_hi_u32 v2, s13, v1
	v_add_u32_e32 v2, v1, v2
	v_lshrrev_b32_e32 v2, s11, v2
	s_add_u32 s2, s2, 4
	v_mul_lo_u32 v3, v2, s12
	s_addc_u32 s3, s3, 0
	s_add_i32 s10, s10, -1
	v_sub_u32_e32 v3, v1, v3
	s_cmp_lg_u32 s10, 0
	v_mov_b32_e32 v1, v2
	v_mad_u64_u32 v[4:5], s[12:13], v3, s14, v[4:5]
	s_cbranch_scc1 .LBB175_485
.LBB175_486:
	s_cbranch_execnz .LBB175_489
.LBB175_487:
	s_load_dwordx4 s[8:11], s[4:5], 0x4
	s_load_dword s2, s[4:5], 0xc4
	s_cmp_lt_u32 s33, 2
	s_waitcnt lgkmcnt(0)
	v_mul_hi_u32 v1, s9, v0
	v_add_u32_e32 v1, v0, v1
	v_lshrrev_b32_e32 v1, s10, v1
	v_mul_lo_u32 v2, v1, s8
	v_sub_u32_e32 v0, v0, v2
	v_mul_lo_u32 v4, v0, s2
	s_cbranch_scc1 .LBB175_489
; %bb.488:
	s_load_dwordx4 s[8:11], s[4:5], 0x10
	s_load_dword s2, s[4:5], 0xc8
	s_waitcnt lgkmcnt(0)
	v_mul_hi_u32 v0, s9, v1
	v_add_u32_e32 v0, v1, v0
	v_lshrrev_b32_e32 v0, s10, v0
	v_mul_lo_u32 v0, v0, s8
	v_sub_u32_e32 v0, v1, v0
	v_mad_u64_u32 v[4:5], s[2:3], v0, s2, v[4:5]
.LBB175_489:
	s_and_b64 vcc, exec, s[0:1]
	v_add_u32_e32 v0, 0x100, v9
	s_cbranch_vccnz .LBB175_495
; %bb.490:
	s_mov_b32 s28, 0
	s_cmp_eq_u32 s33, 0
	v_mov_b32_e32 v2, 0
	s_cbranch_scc1 .LBB175_499
; %bb.491:
	s_min_u32 s29, s80, 15
	s_add_i32 s29, s29, 1
	s_cmp_eq_u32 s80, 2
	v_mov_b32_e32 v2, 0
	s_cbranch_scc1 .LBB175_496
; %bb.492:
	s_add_u32 s2, s4, 0xc4
	s_addc_u32 s3, s5, 0
	s_and_b32 s28, s29, 28
	s_mov_b32 s30, 0
	v_mov_b32_e32 v2, 0
	s_mov_b64 s[26:27], s[4:5]
	v_mov_b32_e32 v1, v0
.LBB175_493:                            ; =>This Inner Loop Header: Depth=1
	s_load_dwordx8 s[8:15], s[26:27], 0x4
	s_load_dwordx4 s[16:19], s[26:27], 0x24
	s_load_dwordx4 s[20:23], s[2:3], 0x0
	s_add_u32 s26, s26, 48
	s_addc_u32 s27, s27, 0
	s_waitcnt lgkmcnt(0)
	v_mul_hi_u32 v3, s9, v1
	v_add_u32_e32 v3, v1, v3
	v_lshrrev_b32_e32 v3, s10, v3
	v_mul_lo_u32 v5, v3, s8
	v_mul_hi_u32 v7, s12, v3
	v_sub_u32_e32 v1, v1, v5
	v_add_u32_e32 v5, v3, v7
	v_lshrrev_b32_e32 v5, s13, v5
	v_mul_lo_u32 v7, v5, s11
	v_mul_hi_u32 v9, s15, v5
	v_sub_u32_e32 v3, v3, v7
	v_add_u32_e32 v7, v5, v9
	v_mul_lo_u32 v1, v1, s20
	v_mul_lo_u32 v3, v3, s21
	v_lshrrev_b32_e32 v7, s16, v7
	v_add3_u32 v2, v1, v2, v3
	v_mul_lo_u32 v1, v7, s14
	v_mul_hi_u32 v3, s18, v7
	v_sub_u32_e32 v1, v5, v1
	v_add_u32_e32 v3, v7, v3
	v_mul_lo_u32 v5, v1, s22
	v_lshrrev_b32_e32 v1, s19, v3
	s_add_i32 s30, s30, 4
	v_mul_lo_u32 v3, v1, s17
	s_add_u32 s2, s2, 16
	v_sub_u32_e32 v3, v7, v3
	s_addc_u32 s3, s3, 0
	v_mul_lo_u32 v3, v3, s23
	s_cmp_lg_u32 s28, s30
	v_add3_u32 v2, v5, v2, v3
	s_cbranch_scc1 .LBB175_493
; %bb.494:
	s_and_b32 s10, s29, 3
	s_cmp_eq_u32 s10, 0
	s_cbranch_scc0 .LBB175_497
	s_branch .LBB175_499
.LBB175_495:
                                        ; implicit-def: $vgpr2
	s_branch .LBB175_500
.LBB175_496:
	v_mov_b32_e32 v1, v0
	s_and_b32 s10, s29, 3
	s_cmp_eq_u32 s10, 0
	s_cbranch_scc1 .LBB175_499
.LBB175_497:
	s_lshl_b32 s2, s28, 2
	s_add_u32 s2, s2, s4
	s_addc_u32 s3, 0, s5
	s_add_u32 s2, s2, 0xc4
	s_addc_u32 s3, s3, 0
	s_mul_i32 s8, s28, 12
	s_add_u32 s8, s4, s8
	s_addc_u32 s9, 0, s5
.LBB175_498:                            ; =>This Inner Loop Header: Depth=1
	s_load_dwordx2 s[12:13], s[8:9], 0x4
	s_load_dword s11, s[8:9], 0xc
	s_load_dword s14, s[2:3], 0x0
	s_add_u32 s8, s8, 12
	s_addc_u32 s9, s9, 0
	s_waitcnt lgkmcnt(0)
	v_mul_hi_u32 v3, s13, v1
	v_add_u32_e32 v3, v1, v3
	v_lshrrev_b32_e32 v3, s11, v3
	s_add_u32 s2, s2, 4
	v_mul_lo_u32 v5, v3, s12
	s_addc_u32 s3, s3, 0
	s_add_i32 s10, s10, -1
	v_sub_u32_e32 v5, v1, v5
	s_cmp_lg_u32 s10, 0
	v_mov_b32_e32 v1, v3
	v_mad_u64_u32 v[2:3], s[12:13], v5, s14, v[2:3]
	s_cbranch_scc1 .LBB175_498
.LBB175_499:
	s_cbranch_execnz .LBB175_502
.LBB175_500:
	s_load_dwordx4 s[8:11], s[4:5], 0x4
	s_load_dword s2, s[4:5], 0xc4
	s_cmp_lt_u32 s33, 2
	s_waitcnt lgkmcnt(0)
	v_mul_hi_u32 v1, s9, v0
	v_add_u32_e32 v1, v0, v1
	v_lshrrev_b32_e32 v1, s10, v1
	v_mul_lo_u32 v2, v1, s8
	v_sub_u32_e32 v0, v0, v2
	v_mul_lo_u32 v2, v0, s2
	s_cbranch_scc1 .LBB175_502
; %bb.501:
	s_load_dwordx4 s[8:11], s[4:5], 0x10
	s_load_dword s2, s[4:5], 0xc8
	s_waitcnt lgkmcnt(0)
	v_mul_hi_u32 v0, s9, v1
	v_add_u32_e32 v0, v1, v0
	v_lshrrev_b32_e32 v0, s10, v0
	v_mul_lo_u32 v0, v0, s8
	v_sub_u32_e32 v0, v1, v0
	v_mad_u64_u32 v[2:3], s[2:3], v0, s2, v[2:3]
.LBB175_502:
	s_and_b64 vcc, exec, s[0:1]
	s_cbranch_vccnz .LBB175_508
; %bb.503:
	s_mov_b32 s26, 0
	s_cmp_eq_u32 s33, 0
	v_mov_b32_e32 v0, 0
	s_cbranch_scc1 .LBB175_512
; %bb.504:
	s_min_u32 s27, s80, 15
	s_add_i32 s27, s27, 1
	s_cmp_eq_u32 s80, 2
	v_mov_b32_e32 v0, 0
	s_cbranch_scc1 .LBB175_509
; %bb.505:
	s_add_u32 s20, s4, 0xc4
	s_addc_u32 s21, s5, 0
	s_and_b32 s26, s27, 28
	s_mov_b32 s28, 0
	v_mov_b32_e32 v0, 0
	s_mov_b64 s[22:23], s[4:5]
	v_mov_b32_e32 v3, v8
.LBB175_506:                            ; =>This Inner Loop Header: Depth=1
	s_load_dwordx8 s[8:15], s[22:23], 0x4
	s_load_dwordx4 s[0:3], s[22:23], 0x24
	s_load_dwordx4 s[16:19], s[20:21], 0x0
	s_add_u32 s22, s22, 48
	s_addc_u32 s23, s23, 0
	s_waitcnt lgkmcnt(0)
	v_mul_hi_u32 v1, s9, v3
	v_add_u32_e32 v1, v3, v1
	v_lshrrev_b32_e32 v1, s10, v1
	v_mul_lo_u32 v5, v1, s8
	v_mul_hi_u32 v7, s12, v1
	v_sub_u32_e32 v3, v3, v5
	v_add_u32_e32 v5, v1, v7
	v_lshrrev_b32_e32 v5, s13, v5
	v_mul_lo_u32 v7, v5, s11
	v_mul_hi_u32 v9, s15, v5
	v_sub_u32_e32 v1, v1, v7
	v_add_u32_e32 v7, v5, v9
	v_mul_lo_u32 v3, v3, s16
	v_mul_lo_u32 v1, v1, s17
	v_lshrrev_b32_e32 v7, s0, v7
	v_add3_u32 v0, v3, v0, v1
	v_mul_hi_u32 v3, s2, v7
	v_add_u32_e32 v3, v7, v3
	v_mul_lo_u32 v1, v7, s14
	v_lshrrev_b32_e32 v3, s3, v3
	s_add_i32 s28, s28, 4
	v_sub_u32_e32 v1, v5, v1
	v_mul_lo_u32 v5, v3, s1
	s_add_u32 s20, s20, 16
	v_sub_u32_e32 v5, v7, v5
	s_addc_u32 s21, s21, 0
	v_mul_lo_u32 v1, v1, s18
	v_mul_lo_u32 v5, v5, s19
	s_cmp_lg_u32 s26, s28
	v_add3_u32 v0, v1, v0, v5
	s_cbranch_scc1 .LBB175_506
; %bb.507:
	s_and_b32 s8, s27, 3
	s_cmp_eq_u32 s8, 0
	s_cbranch_scc0 .LBB175_510
	s_branch .LBB175_512
.LBB175_508:
                                        ; implicit-def: $vgpr0
	s_branch .LBB175_513
.LBB175_509:
	v_mov_b32_e32 v3, v8
	s_and_b32 s8, s27, 3
	s_cmp_eq_u32 s8, 0
	s_cbranch_scc1 .LBB175_512
.LBB175_510:
	s_lshl_b32 s0, s26, 2
	s_add_u32 s0, s0, s4
	s_addc_u32 s1, 0, s5
	s_add_u32 s0, s0, 0xc4
	s_addc_u32 s1, s1, 0
	s_mul_i32 s2, s26, 12
	s_add_u32 s2, s4, s2
	s_addc_u32 s3, 0, s5
.LBB175_511:                            ; =>This Inner Loop Header: Depth=1
	s_load_dwordx2 s[10:11], s[2:3], 0x4
	s_load_dword s9, s[2:3], 0xc
	s_load_dword s12, s[0:1], 0x0
	s_add_u32 s2, s2, 12
	s_addc_u32 s3, s3, 0
	s_waitcnt lgkmcnt(0)
	v_mul_hi_u32 v1, s11, v3
	v_add_u32_e32 v1, v3, v1
	v_lshrrev_b32_e32 v1, s9, v1
	s_add_u32 s0, s0, 4
	v_mul_lo_u32 v5, v1, s10
	s_addc_u32 s1, s1, 0
	s_add_i32 s8, s8, -1
	v_sub_u32_e32 v5, v3, v5
	s_cmp_lg_u32 s8, 0
	v_mov_b32_e32 v3, v1
	v_mad_u64_u32 v[0:1], s[10:11], v5, s12, v[0:1]
	s_cbranch_scc1 .LBB175_511
.LBB175_512:
	s_cbranch_execnz .LBB175_515
.LBB175_513:
	s_load_dwordx4 s[0:3], s[4:5], 0x4
	s_waitcnt lgkmcnt(0)
	s_load_dword s3, s[4:5], 0xc4
	s_cmp_lt_u32 s33, 2
	v_mul_hi_u32 v0, s1, v8
	v_add_u32_e32 v0, v8, v0
	v_lshrrev_b32_e32 v1, s2, v0
	v_mul_lo_u32 v0, v1, s0
	v_sub_u32_e32 v0, v8, v0
	s_waitcnt lgkmcnt(0)
	v_mul_lo_u32 v0, v0, s3
	s_cbranch_scc1 .LBB175_515
; %bb.514:
	s_load_dwordx4 s[0:3], s[4:5], 0x10
	s_waitcnt lgkmcnt(0)
	s_load_dword s3, s[4:5], 0xc8
	v_mul_hi_u32 v3, s1, v1
	v_add_u32_e32 v3, v1, v3
	v_lshrrev_b32_e32 v3, s2, v3
	v_mul_lo_u32 v3, v3, s0
	v_sub_u32_e32 v1, v1, v3
	s_waitcnt lgkmcnt(0)
	v_mad_u64_u32 v[0:1], s[0:1], v1, s3, v[0:1]
.LBB175_515:
	s_load_dwordx4 s[0:3], s[4:5], 0x108
	s_load_dword s8, s[4:5], 0x118
	s_waitcnt lgkmcnt(0)
	v_mov_b32_e32 v1, s1
	v_add_co_u32_e32 v6, vcc, s0, v6
	s_and_b32 s18, s8, 0xff
	v_addc_co_u32_e32 v7, vcc, 0, v1, vcc
	v_cmp_lt_i16_e64 s[8:9], s18, 11
	s_and_b64 vcc, exec, s[8:9]
	s_cbranch_vccnz .LBB175_522
; %bb.516:
	v_cmp_gt_i16_e64 s[4:5], s18, 25
	s_mov_b64 s[14:15], -1
	s_mov_b64 s[10:11], 0
	s_and_b64 vcc, exec, s[4:5]
	s_mov_b64 s[12:13], 0
	s_mov_b64 s[4:5], 0
	s_cbranch_vccz .LBB175_554
; %bb.517:
	v_cmp_gt_i16_e64 s[4:5], s18, 28
	s_and_b64 vcc, exec, s[4:5]
	s_cbranch_vccz .LBB175_524
; %bb.518:
	v_cmp_gt_i16_e64 s[4:5], s18, 43
	s_and_b64 vcc, exec, s[4:5]
	;; [unrolled: 4-line block ×3, first 2 shown]
	s_cbranch_vccz .LBB175_526
; %bb.520:
	v_cmp_eq_u16_e64 s[12:13], s18, 46
	s_mov_b64 s[4:5], -1
	s_mov_b64 s[14:15], 0
	s_and_b64 vcc, exec, s[12:13]
	s_mov_b64 s[12:13], 0
	s_cbranch_vccz .LBB175_527
; %bb.521:
	s_flbit_i32_b32 s4, s3
	s_min_u32 s12, s4, 32
	s_lshl_b64 s[4:5], s[2:3], s12
	s_min_u32 s4, s4, 1
	s_or_b32 s4, s5, s4
	v_cvt_f32_u32_e32 v1, s4
	s_sub_i32 s12, 32, s12
	s_mov_b64 s[4:5], 0
	v_ldexp_f32 v1, v1, s12
	v_bfe_u32 v3, v1, 16, 1
	v_add_u32_e32 v1, v1, v3
	v_add_u32_e32 v1, 0x7fff, v1
	v_lshrrev_b32_e32 v1, 16, v1
	global_store_dword v[6:7], v1, off
	s_mov_b64 s[12:13], -1
	s_branch .LBB175_527
.LBB175_522:
	s_mov_b64 s[12:13], 0
	s_mov_b64 s[4:5], s[6:7]
	s_cbranch_execnz .LBB175_604
.LBB175_523:
	s_andn2_b64 vcc, exec, s[12:13]
	s_cbranch_vccz .LBB175_642
	s_branch .LBB175_949
.LBB175_524:
	s_mov_b64 s[4:5], 0
	s_and_b64 vcc, exec, s[14:15]
	s_cbranch_vccz .LBB175_553
	s_branch .LBB175_536
.LBB175_525:
	s_mov_b64 s[4:5], 0
	s_and_b64 vcc, exec, s[14:15]
	s_cbranch_vccnz .LBB175_533
	s_branch .LBB175_535
.LBB175_526:
	s_mov_b64 s[4:5], 0
.LBB175_527:
	s_and_b64 vcc, exec, s[14:15]
	s_cbranch_vccz .LBB175_532
; %bb.528:
	v_cmp_eq_u16_e64 s[14:15], s18, 44
	s_mov_b64 s[4:5], -1
	s_and_b64 vcc, exec, s[14:15]
	s_cbranch_vccz .LBB175_532
; %bb.529:
	s_flbit_i32_b32 s4, s3
	s_min_u32 s12, s4, 32
	s_lshl_b64 s[4:5], s[2:3], s12
	s_min_u32 s4, s4, 1
	s_or_b32 s4, s5, s4
	v_cvt_f32_u32_e32 v1, s4
	s_sub_i32 s4, 32, s12
	v_ldexp_f32 v1, v1, s4
	v_readfirstlane_b32 s5, v1
	s_lshr_b32 s4, s5, 23
	s_cmpk_eq_i32 s4, 0xff
	v_mov_b32_e32 v1, 0xff
	s_cbranch_scc1 .LBB175_531
; %bb.530:
	s_bitcmp1_b32 s5, 22
	s_cselect_b64 s[12:13], -1, 0
	s_and_b32 s5, s5, 0x3fffff
	s_or_b32 s5, s4, s5
	s_cmp_lg_u32 s5, 0
	s_cselect_b64 s[14:15], -1, 0
	s_and_b64 s[12:13], s[12:13], s[14:15]
	v_cndmask_b32_e64 v1, 0, 1, s[12:13]
	v_add_u32_e32 v1, s4, v1
.LBB175_531:
	s_mov_b64 s[4:5], 0
	s_mov_b64 s[12:13], -1
	global_store_byte v[6:7], v1, off
.LBB175_532:
	s_branch .LBB175_535
.LBB175_533:
	v_cmp_eq_u16_e64 s[14:15], s18, 29
	s_mov_b64 s[4:5], -1
	s_and_b64 vcc, exec, s[14:15]
	s_cbranch_vccz .LBB175_535
; %bb.534:
	v_pk_mov_b32 v[8:9], s[2:3], s[2:3] op_sel:[0,1]
	global_store_dwordx2 v[6:7], v[8:9], off
	s_mov_b64 s[4:5], 0
	s_mov_b64 s[12:13], -1
.LBB175_535:
	s_branch .LBB175_553
.LBB175_536:
	v_cmp_lt_i16_e64 s[14:15], s18, 27
	s_mov_b64 s[12:13], -1
	s_and_b64 vcc, exec, s[14:15]
	s_cbranch_vccnz .LBB175_542
; %bb.537:
	v_cmp_gt_i16_e64 s[14:15], s18, 27
	s_and_b64 vcc, exec, s[14:15]
	s_cbranch_vccz .LBB175_539
; %bb.538:
	v_mov_b32_e32 v1, s2
	s_mov_b64 s[12:13], 0
	global_store_dword v[6:7], v1, off
.LBB175_539:
	s_andn2_b64 vcc, exec, s[12:13]
	s_cbranch_vccnz .LBB175_541
; %bb.540:
	v_mov_b32_e32 v1, s2
	global_store_short v[6:7], v1, off
.LBB175_541:
	s_mov_b64 s[12:13], 0
.LBB175_542:
	s_andn2_b64 vcc, exec, s[12:13]
	s_cbranch_vccnz .LBB175_552
; %bb.543:
	s_flbit_i32_b32 s12, s3
	s_min_u32 s14, s12, 32
	s_lshl_b64 s[12:13], s[2:3], s14
	s_min_u32 s12, s12, 1
	s_or_b32 s12, s13, s12
	v_cvt_f32_u32_e32 v1, s12
	s_sub_i32 s12, 32, s14
	s_mov_b32 s13, 0x437fffff
	v_mov_b32_e32 v5, 0x80
	v_ldexp_f32 v1, v1, s12
	v_cmp_lt_u32_e32 vcc, s13, v1
	v_readfirstlane_b32 s12, v1
	s_cbranch_vccnz .LBB175_551
; %bb.544:
	s_cmp_gt_u32 s12, 0x3bffffff
	s_cbranch_scc0 .LBB175_546
; %bb.545:
	s_bfe_u32 s13, s12, 0x10014
	s_add_i32 s12, s12, s13
	s_add_i32 s12, s12, 0x487ffff
	s_lshr_b32 s16, s12, 20
	s_mov_b64 s[14:15], 0
	s_mov_b64 s[12:13], -1
	s_branch .LBB175_547
.LBB175_546:
	s_mov_b64 s[14:15], -1
	s_mov_b64 s[12:13], 0
                                        ; implicit-def: $sgpr16
.LBB175_547:
	s_andn2_b64 vcc, exec, s[14:15]
	v_mov_b32_e32 v3, s16
                                        ; implicit-def: $sgpr14
	s_cbranch_vccnz .LBB175_549
; %bb.548:
	v_add_f32_e32 v1, 0x46000000, v1
	v_and_b32_e32 v3, 0xff, v1
	s_mov_b32 s14, 0
	v_cmp_ne_u32_e64 s[12:13], 0, v3
.LBB175_549:
	s_andn2_b64 vcc, exec, s[12:13]
	v_mov_b32_e32 v5, s14
	s_cbranch_vccnz .LBB175_551
; %bb.550:
	v_mov_b32_e32 v5, v3
.LBB175_551:
	global_store_byte v[6:7], v5, off
.LBB175_552:
	s_mov_b64 s[12:13], -1
.LBB175_553:
	s_mov_b64 s[14:15], 0
.LBB175_554:
	s_and_b64 vcc, exec, s[14:15]
	s_cbranch_vccz .LBB175_600
; %bb.555:
	v_cmp_gt_i16_e64 s[14:15], s18, 22
	s_mov_b64 s[10:11], -1
	s_and_b64 vcc, exec, s[14:15]
	s_cbranch_vccz .LBB175_593
; %bb.556:
	v_cmp_lt_i16_e64 s[12:13], s18, 24
	s_and_b64 vcc, exec, s[12:13]
	s_cbranch_vccnz .LBB175_580
; %bb.557:
	v_cmp_gt_i16_e64 s[12:13], s18, 24
	s_and_b64 vcc, exec, s[12:13]
	s_cbranch_vccz .LBB175_567
; %bb.558:
	s_flbit_i32_b32 s10, s3
	s_min_u32 s12, s10, 32
	s_lshl_b64 s[10:11], s[2:3], s12
	s_min_u32 s10, s10, 1
	s_or_b32 s10, s11, s10
	v_cvt_f32_u32_e32 v1, s10
	s_sub_i32 s10, 32, s12
	s_mov_b32 s11, 0x477fffff
	v_mov_b32_e32 v5, 0x80
	v_ldexp_f32 v1, v1, s10
	v_cmp_lt_u32_e32 vcc, s11, v1
	v_readfirstlane_b32 s10, v1
	s_cbranch_vccnz .LBB175_566
; %bb.559:
	s_cmp_gt_u32 s10, 0x37ffffff
	s_cbranch_scc0 .LBB175_561
; %bb.560:
	s_bfe_u32 s11, s10, 0x10015
	s_add_i32 s10, s10, s11
	s_add_i32 s10, s10, 0x88fffff
	s_lshr_b32 s14, s10, 21
	s_mov_b64 s[12:13], 0
	s_mov_b64 s[10:11], -1
	s_branch .LBB175_562
.LBB175_561:
	s_mov_b64 s[12:13], -1
	s_mov_b64 s[10:11], 0
                                        ; implicit-def: $sgpr14
.LBB175_562:
	s_andn2_b64 vcc, exec, s[12:13]
	v_mov_b32_e32 v3, s14
                                        ; implicit-def: $sgpr12
	s_cbranch_vccnz .LBB175_564
; %bb.563:
	v_add_f32_e32 v1, 0x42800000, v1
	v_and_b32_e32 v3, 0xff, v1
	s_mov_b32 s12, 0
	v_cmp_ne_u32_e64 s[10:11], 0, v3
.LBB175_564:
	s_andn2_b64 vcc, exec, s[10:11]
	v_mov_b32_e32 v5, s12
	s_cbranch_vccnz .LBB175_566
; %bb.565:
	v_mov_b32_e32 v5, v3
.LBB175_566:
	s_mov_b64 s[10:11], 0
	global_store_byte v[6:7], v5, off
.LBB175_567:
	s_and_b64 vcc, exec, s[10:11]
	s_cbranch_vccz .LBB175_579
; %bb.568:
	s_flbit_i32_b32 s10, s3
	s_min_u32 s12, s10, 32
	s_lshl_b64 s[10:11], s[2:3], s12
	s_min_u32 s10, s10, 1
	s_or_b32 s10, s11, s10
	v_cvt_f32_u32_e32 v1, s10
	s_sub_i32 s10, 32, s12
	v_ldexp_f32 v1, v1, s10
	s_mov_b32 s10, 0x43f00000
	v_cmp_gt_u32_e32 vcc, s10, v1
	v_readfirstlane_b32 s12, v1
	s_cbranch_vccz .LBB175_571
; %bb.569:
	s_cmp_gt_u32 s12, 0x3c7fffff
	s_cbranch_scc0 .LBB175_572
; %bb.570:
	s_bfe_u32 s10, s12, 0x10014
	s_add_i32 s10, s12, s10
	s_add_i32 s10, s10, 0x407ffff
	s_lshr_b32 s11, s10, 20
	s_and_b32 s10, s10, 0xff00000
	s_cmp_lg_u32 s10, 0x7f00000
	s_cselect_b32 s13, s11, 0x7e
	s_mov_b64 s[10:11], 0
	s_branch .LBB175_573
.LBB175_571:
	s_mov_b64 s[10:11], -1
                                        ; implicit-def: $vgpr3
	s_branch .LBB175_576
.LBB175_572:
	s_mov_b64 s[10:11], -1
                                        ; implicit-def: $sgpr13
.LBB175_573:
	s_andn2_b64 vcc, exec, s[10:11]
	v_mov_b32_e32 v3, s13
	s_cbranch_vccnz .LBB175_575
; %bb.574:
	v_add_f32_e32 v3, 0x46800000, v1
.LBB175_575:
	s_mov_b64 s[10:11], 0
.LBB175_576:
	s_andn2_b64 vcc, exec, s[10:11]
	s_cbranch_vccnz .LBB175_578
; %bb.577:
	s_cmp_gt_u32 s12, 0x7f800000
	s_movk_i32 s10, 0x7f
	s_cselect_b32 s10, s10, 0x7e
	v_mov_b32_e32 v3, s10
.LBB175_578:
	global_store_byte v[6:7], v3, off
.LBB175_579:
	s_mov_b64 s[10:11], 0
.LBB175_580:
	s_andn2_b64 vcc, exec, s[10:11]
	s_cbranch_vccnz .LBB175_592
; %bb.581:
	s_flbit_i32_b32 s10, s3
	s_min_u32 s12, s10, 32
	s_lshl_b64 s[10:11], s[2:3], s12
	s_min_u32 s10, s10, 1
	s_or_b32 s10, s11, s10
	v_cvt_f32_u32_e32 v1, s10
	s_sub_i32 s10, 32, s12
	v_ldexp_f32 v1, v1, s10
	s_mov_b32 s10, 0x47800000
	v_cmp_gt_u32_e32 vcc, s10, v1
	v_readfirstlane_b32 s12, v1
	s_cbranch_vccz .LBB175_584
; %bb.582:
	s_cmp_gt_u32 s12, 0x387fffff
	s_cbranch_scc0 .LBB175_585
; %bb.583:
	s_bfe_u32 s10, s12, 0x10015
	s_add_i32 s10, s12, s10
	s_add_i32 s10, s10, 0x80fffff
	s_lshr_b32 s13, s10, 21
	s_mov_b64 s[10:11], 0
	s_branch .LBB175_586
.LBB175_584:
	s_mov_b64 s[10:11], -1
                                        ; implicit-def: $vgpr3
	s_branch .LBB175_589
.LBB175_585:
	s_mov_b64 s[10:11], -1
                                        ; implicit-def: $sgpr13
.LBB175_586:
	s_andn2_b64 vcc, exec, s[10:11]
	v_mov_b32_e32 v3, s13
	s_cbranch_vccnz .LBB175_588
; %bb.587:
	v_add_f32_e32 v3, 0x43000000, v1
.LBB175_588:
	s_mov_b64 s[10:11], 0
.LBB175_589:
	s_andn2_b64 vcc, exec, s[10:11]
	s_cbranch_vccnz .LBB175_591
; %bb.590:
	s_cmp_gt_u32 s12, 0x7f800000
	s_movk_i32 s10, 0x7f
	s_cselect_b32 s10, s10, 0x7c
	v_mov_b32_e32 v3, s10
.LBB175_591:
	global_store_byte v[6:7], v3, off
.LBB175_592:
	s_mov_b64 s[10:11], 0
	s_mov_b64 s[12:13], -1
.LBB175_593:
	s_andn2_b64 vcc, exec, s[10:11]
	s_mov_b64 s[10:11], 0
	s_cbranch_vccnz .LBB175_600
; %bb.594:
	v_cmp_gt_i16_e64 s[10:11], s18, 14
	s_mov_b64 s[14:15], -1
	s_and_b64 vcc, exec, s[10:11]
	s_cbranch_vccz .LBB175_598
; %bb.595:
	v_cmp_eq_u16_e64 s[10:11], s18, 15
	s_mov_b64 s[4:5], -1
	s_and_b64 vcc, exec, s[10:11]
	s_cbranch_vccz .LBB175_597
; %bb.596:
	s_flbit_i32_b32 s4, s3
	s_min_u32 s10, s4, 32
	s_lshl_b64 s[4:5], s[2:3], s10
	s_min_u32 s4, s4, 1
	s_or_b32 s4, s5, s4
	v_cvt_f32_u32_e32 v1, s4
	s_sub_i32 s10, 32, s10
	s_mov_b64 s[4:5], 0
	s_mov_b64 s[12:13], -1
	v_ldexp_f32 v1, v1, s10
	v_bfe_u32 v3, v1, 16, 1
	v_add_u32_e32 v1, v1, v3
	v_add_u32_e32 v1, 0x7fff, v1
	global_store_short_d16_hi v[6:7], v1, off
.LBB175_597:
	s_mov_b64 s[14:15], 0
.LBB175_598:
	s_mov_b64 s[10:11], 0
	s_and_b64 vcc, exec, s[14:15]
	s_cbranch_vccz .LBB175_600
; %bb.599:
	v_cmp_ne_u16_e64 s[4:5], s18, 11
	s_mov_b64 s[10:11], -1
.LBB175_600:
	s_and_b64 vcc, exec, s[4:5]
	s_mov_b64 s[4:5], s[6:7]
	s_cbranch_vccnz .LBB175_653
; %bb.601:
	s_andn2_b64 vcc, exec, s[10:11]
	s_cbranch_vccnz .LBB175_603
.LBB175_602:
	s_cmp_lg_u64 s[2:3], 0
	s_cselect_b64 s[10:11], -1, 0
	v_cndmask_b32_e64 v1, 0, 1, s[10:11]
	global_store_byte v[6:7], v1, off
	s_mov_b64 s[12:13], -1
.LBB175_603:
	s_branch .LBB175_523
.LBB175_604:
	v_cmp_lt_i16_e64 s[12:13], s18, 5
	s_mov_b64 s[10:11], -1
	s_and_b64 vcc, exec, s[12:13]
	s_cbranch_vccnz .LBB175_625
; %bb.605:
	v_cmp_lt_i16_e64 s[12:13], s18, 8
	s_and_b64 vcc, exec, s[12:13]
	s_cbranch_vccnz .LBB175_615
; %bb.606:
	v_cmp_lt_i16_e64 s[12:13], s18, 9
	s_and_b64 vcc, exec, s[12:13]
	s_cbranch_vccnz .LBB175_612
; %bb.607:
	v_cmp_gt_i16_e64 s[12:13], s18, 9
	s_and_b64 vcc, exec, s[12:13]
	s_cbranch_vccz .LBB175_609
; %bb.608:
	v_cvt_f64_u32_e32 v[8:9], s3
	v_ldexp_f64 v[8:9], v[8:9], 32
	v_cvt_f64_u32_e32 v[10:11], s2
	v_add_f64 v[8:9], v[8:9], v[10:11]
	v_mov_b32_e32 v10, 0
	v_mov_b32_e32 v11, v10
	global_store_dwordx4 v[6:7], v[8:11], off
	s_mov_b64 s[10:11], 0
.LBB175_609:
	s_andn2_b64 vcc, exec, s[10:11]
	s_cbranch_vccnz .LBB175_611
; %bb.610:
	s_flbit_i32_b32 s10, s3
	s_min_u32 s12, s10, 32
	s_lshl_b64 s[10:11], s[2:3], s12
	s_min_u32 s10, s10, 1
	s_or_b32 s10, s11, s10
	v_cvt_f32_u32_e32 v1, s10
	s_sub_i32 s10, 32, s12
	v_mov_b32_e32 v9, 0
	v_ldexp_f32 v8, v1, s10
	global_store_dwordx2 v[6:7], v[8:9], off
.LBB175_611:
	s_mov_b64 s[10:11], 0
.LBB175_612:
	s_andn2_b64 vcc, exec, s[10:11]
	s_cbranch_vccnz .LBB175_614
; %bb.613:
	s_flbit_i32_b32 s10, s3
	s_min_u32 s12, s10, 32
	s_lshl_b64 s[10:11], s[2:3], s12
	s_min_u32 s10, s10, 1
	s_or_b32 s10, s11, s10
	v_cvt_f32_u32_e32 v1, s10
	s_sub_i32 s10, 32, s12
	v_ldexp_f32 v1, v1, s10
	v_cvt_f16_f32_e32 v1, v1
	global_store_dword v[6:7], v1, off
.LBB175_614:
	s_mov_b64 s[10:11], 0
.LBB175_615:
	s_andn2_b64 vcc, exec, s[10:11]
	s_cbranch_vccnz .LBB175_624
; %bb.616:
	v_cmp_lt_i16_e64 s[12:13], s18, 6
	s_mov_b64 s[10:11], -1
	s_and_b64 vcc, exec, s[12:13]
	s_cbranch_vccnz .LBB175_622
; %bb.617:
	v_cmp_gt_i16_e64 s[12:13], s18, 6
	s_and_b64 vcc, exec, s[12:13]
	s_cbranch_vccz .LBB175_619
; %bb.618:
	v_cvt_f64_u32_e32 v[8:9], s3
	v_ldexp_f64 v[8:9], v[8:9], 32
	v_cvt_f64_u32_e32 v[10:11], s2
	v_add_f64 v[8:9], v[8:9], v[10:11]
	global_store_dwordx2 v[6:7], v[8:9], off
	s_mov_b64 s[10:11], 0
.LBB175_619:
	s_andn2_b64 vcc, exec, s[10:11]
	s_cbranch_vccnz .LBB175_621
; %bb.620:
	s_flbit_i32_b32 s10, s3
	s_min_u32 s12, s10, 32
	s_lshl_b64 s[10:11], s[2:3], s12
	s_min_u32 s10, s10, 1
	s_or_b32 s10, s11, s10
	v_cvt_f32_u32_e32 v1, s10
	s_sub_i32 s10, 32, s12
	v_ldexp_f32 v1, v1, s10
	global_store_dword v[6:7], v1, off
.LBB175_621:
	s_mov_b64 s[10:11], 0
.LBB175_622:
	s_andn2_b64 vcc, exec, s[10:11]
	s_cbranch_vccnz .LBB175_624
; %bb.623:
	s_flbit_i32_b32 s10, s3
	s_min_u32 s12, s10, 32
	s_lshl_b64 s[10:11], s[2:3], s12
	s_min_u32 s10, s10, 1
	s_or_b32 s10, s11, s10
	v_cvt_f32_u32_e32 v1, s10
	s_sub_i32 s10, 32, s12
	v_ldexp_f32 v1, v1, s10
	v_cvt_f16_f32_e32 v1, v1
	global_store_short v[6:7], v1, off
.LBB175_624:
	s_mov_b64 s[10:11], 0
.LBB175_625:
	s_andn2_b64 vcc, exec, s[10:11]
	s_cbranch_vccnz .LBB175_641
; %bb.626:
	v_cmp_lt_i16_e64 s[12:13], s18, 2
	s_mov_b64 s[10:11], -1
	s_and_b64 vcc, exec, s[12:13]
	s_cbranch_vccnz .LBB175_636
; %bb.627:
	v_cmp_lt_i16_e64 s[12:13], s18, 3
	s_and_b64 vcc, exec, s[12:13]
	s_cbranch_vccnz .LBB175_633
; %bb.628:
	v_cmp_gt_i16_e64 s[12:13], s18, 3
	s_and_b64 vcc, exec, s[12:13]
	s_cbranch_vccz .LBB175_630
; %bb.629:
	v_pk_mov_b32 v[8:9], s[2:3], s[2:3] op_sel:[0,1]
	global_store_dwordx2 v[6:7], v[8:9], off
	s_mov_b64 s[10:11], 0
.LBB175_630:
	s_andn2_b64 vcc, exec, s[10:11]
	s_cbranch_vccnz .LBB175_632
; %bb.631:
	v_mov_b32_e32 v1, s2
	global_store_dword v[6:7], v1, off
.LBB175_632:
	s_mov_b64 s[10:11], 0
.LBB175_633:
	s_andn2_b64 vcc, exec, s[10:11]
	s_cbranch_vccnz .LBB175_635
; %bb.634:
	v_mov_b32_e32 v1, s2
	global_store_short v[6:7], v1, off
.LBB175_635:
	s_mov_b64 s[10:11], 0
.LBB175_636:
	s_andn2_b64 vcc, exec, s[10:11]
	s_cbranch_vccnz .LBB175_641
; %bb.637:
	v_cmp_gt_i16_e64 s[12:13], s18, 0
	s_mov_b64 s[10:11], -1
	s_and_b64 vcc, exec, s[12:13]
	s_cbranch_vccz .LBB175_639
; %bb.638:
	v_mov_b32_e32 v1, s2
	global_store_byte v[6:7], v1, off
	s_mov_b64 s[10:11], 0
.LBB175_639:
	s_andn2_b64 vcc, exec, s[10:11]
	s_cbranch_vccnz .LBB175_641
; %bb.640:
	v_mov_b32_e32 v1, s2
	global_store_byte v[6:7], v1, off
.LBB175_641:
.LBB175_642:
	v_mov_b32_e32 v1, s1
	v_add_co_u32_e32 v4, vcc, s0, v4
	v_addc_co_u32_e32 v5, vcc, 0, v1, vcc
	s_and_b64 vcc, exec, s[8:9]
	s_cbranch_vccnz .LBB175_649
; %bb.643:
	v_cmp_gt_i16_e64 s[10:11], s18, 25
	s_mov_b64 s[16:17], -1
	s_mov_b64 s[12:13], 0
	s_and_b64 vcc, exec, s[10:11]
	s_mov_b64 s[14:15], 0
	s_mov_b64 s[10:11], 0
	s_cbranch_vccz .LBB175_684
; %bb.644:
	v_cmp_gt_i16_e64 s[10:11], s18, 28
	s_and_b64 vcc, exec, s[10:11]
	s_cbranch_vccz .LBB175_651
; %bb.645:
	v_cmp_gt_i16_e64 s[10:11], s18, 43
	s_and_b64 vcc, exec, s[10:11]
	;; [unrolled: 4-line block ×3, first 2 shown]
	s_cbranch_vccz .LBB175_654
; %bb.647:
	v_cmp_eq_u16_e64 s[14:15], s18, 46
	s_mov_b64 s[10:11], -1
	s_mov_b64 s[16:17], 0
	s_and_b64 vcc, exec, s[14:15]
	s_mov_b64 s[14:15], 0
	s_cbranch_vccz .LBB175_655
; %bb.648:
	s_flbit_i32_b32 s10, s3
	s_min_u32 s14, s10, 32
	s_lshl_b64 s[10:11], s[2:3], s14
	s_min_u32 s10, s10, 1
	s_or_b32 s10, s11, s10
	v_cvt_f32_u32_e32 v1, s10
	s_sub_i32 s14, 32, s14
	s_mov_b64 s[10:11], 0
	v_ldexp_f32 v1, v1, s14
	v_bfe_u32 v3, v1, 16, 1
	v_add_u32_e32 v1, v1, v3
	v_add_u32_e32 v1, 0x7fff, v1
	v_lshrrev_b32_e32 v1, 16, v1
	global_store_dword v[4:5], v1, off
	s_mov_b64 s[14:15], -1
	s_branch .LBB175_655
.LBB175_649:
	s_mov_b64 s[14:15], 0
	s_cbranch_execnz .LBB175_734
.LBB175_650:
	s_andn2_b64 vcc, exec, s[14:15]
	s_cbranch_vccz .LBB175_772
	s_branch .LBB175_949
.LBB175_651:
	s_mov_b64 s[10:11], 0
	s_branch .LBB175_665
.LBB175_652:
	s_mov_b64 s[10:11], 0
	s_branch .LBB175_661
.LBB175_653:
	s_or_b64 s[4:5], s[6:7], exec
	s_trap 2
	s_cbranch_execz .LBB175_602
	s_branch .LBB175_603
.LBB175_654:
	s_mov_b64 s[10:11], 0
.LBB175_655:
	s_and_b64 vcc, exec, s[16:17]
	s_cbranch_vccz .LBB175_660
; %bb.656:
	v_cmp_eq_u16_e64 s[16:17], s18, 44
	s_mov_b64 s[10:11], -1
	s_and_b64 vcc, exec, s[16:17]
	s_cbranch_vccz .LBB175_660
; %bb.657:
	s_flbit_i32_b32 s10, s3
	s_min_u32 s14, s10, 32
	s_lshl_b64 s[10:11], s[2:3], s14
	s_min_u32 s10, s10, 1
	s_or_b32 s10, s11, s10
	v_cvt_f32_u32_e32 v1, s10
	s_sub_i32 s10, 32, s14
	v_ldexp_f32 v1, v1, s10
	v_readfirstlane_b32 s11, v1
	s_lshr_b32 s10, s11, 23
	s_cmpk_eq_i32 s10, 0xff
	v_mov_b32_e32 v1, 0xff
	s_cbranch_scc1 .LBB175_659
; %bb.658:
	s_bitcmp1_b32 s11, 22
	s_cselect_b64 s[14:15], -1, 0
	s_and_b32 s11, s11, 0x3fffff
	s_or_b32 s11, s10, s11
	s_cmp_lg_u32 s11, 0
	s_cselect_b64 s[16:17], -1, 0
	s_and_b64 s[14:15], s[14:15], s[16:17]
	v_cndmask_b32_e64 v1, 0, 1, s[14:15]
	v_add_u32_e32 v1, s10, v1
.LBB175_659:
	s_mov_b64 s[10:11], 0
	s_mov_b64 s[14:15], -1
	global_store_byte v[4:5], v1, off
.LBB175_660:
	s_mov_b64 s[16:17], 0
.LBB175_661:
	s_and_b64 vcc, exec, s[16:17]
	s_cbranch_vccz .LBB175_664
; %bb.662:
	v_cmp_eq_u16_e64 s[16:17], s18, 29
	s_mov_b64 s[10:11], -1
	s_and_b64 vcc, exec, s[16:17]
	s_cbranch_vccz .LBB175_664
; %bb.663:
	v_pk_mov_b32 v[6:7], s[2:3], s[2:3] op_sel:[0,1]
	global_store_dwordx2 v[4:5], v[6:7], off
	s_mov_b64 s[10:11], 0
	s_mov_b64 s[14:15], -1
.LBB175_664:
	s_mov_b64 s[16:17], 0
.LBB175_665:
	s_and_b64 vcc, exec, s[16:17]
	s_cbranch_vccz .LBB175_683
; %bb.666:
	v_cmp_lt_i16_e64 s[16:17], s18, 27
	s_mov_b64 s[14:15], -1
	s_and_b64 vcc, exec, s[16:17]
	s_cbranch_vccnz .LBB175_672
; %bb.667:
	v_cmp_gt_i16_e64 s[16:17], s18, 27
	s_and_b64 vcc, exec, s[16:17]
	s_cbranch_vccz .LBB175_669
; %bb.668:
	v_mov_b32_e32 v1, s2
	s_mov_b64 s[14:15], 0
	global_store_dword v[4:5], v1, off
.LBB175_669:
	s_andn2_b64 vcc, exec, s[14:15]
	s_cbranch_vccnz .LBB175_671
; %bb.670:
	v_mov_b32_e32 v1, s2
	global_store_short v[4:5], v1, off
.LBB175_671:
	s_mov_b64 s[14:15], 0
.LBB175_672:
	s_andn2_b64 vcc, exec, s[14:15]
	s_cbranch_vccnz .LBB175_682
; %bb.673:
	s_flbit_i32_b32 s14, s3
	s_min_u32 s16, s14, 32
	s_lshl_b64 s[14:15], s[2:3], s16
	s_min_u32 s14, s14, 1
	s_or_b32 s14, s15, s14
	v_cvt_f32_u32_e32 v1, s14
	s_sub_i32 s14, 32, s16
	s_mov_b32 s15, 0x437fffff
	v_mov_b32_e32 v6, 0x80
	v_ldexp_f32 v1, v1, s14
	v_cmp_lt_u32_e32 vcc, s15, v1
	v_readfirstlane_b32 s14, v1
	s_cbranch_vccnz .LBB175_681
; %bb.674:
	s_cmp_gt_u32 s14, 0x3bffffff
	s_cbranch_scc0 .LBB175_676
; %bb.675:
	s_bfe_u32 s15, s14, 0x10014
	s_add_i32 s14, s14, s15
	s_add_i32 s14, s14, 0x487ffff
	s_lshr_b32 s19, s14, 20
	s_mov_b64 s[16:17], 0
	s_mov_b64 s[14:15], -1
	s_branch .LBB175_677
.LBB175_676:
	s_mov_b64 s[16:17], -1
	s_mov_b64 s[14:15], 0
                                        ; implicit-def: $sgpr19
.LBB175_677:
	s_andn2_b64 vcc, exec, s[16:17]
	v_mov_b32_e32 v3, s19
                                        ; implicit-def: $sgpr16
	s_cbranch_vccnz .LBB175_679
; %bb.678:
	v_add_f32_e32 v1, 0x46000000, v1
	v_and_b32_e32 v3, 0xff, v1
	s_mov_b32 s16, 0
	v_cmp_ne_u32_e64 s[14:15], 0, v3
.LBB175_679:
	s_andn2_b64 vcc, exec, s[14:15]
	v_mov_b32_e32 v6, s16
	s_cbranch_vccnz .LBB175_681
; %bb.680:
	v_mov_b32_e32 v6, v3
.LBB175_681:
	global_store_byte v[4:5], v6, off
.LBB175_682:
	s_mov_b64 s[14:15], -1
.LBB175_683:
	s_mov_b64 s[16:17], 0
.LBB175_684:
	s_and_b64 vcc, exec, s[16:17]
	s_cbranch_vccz .LBB175_730
; %bb.685:
	v_cmp_gt_i16_e64 s[16:17], s18, 22
	s_mov_b64 s[12:13], -1
	s_and_b64 vcc, exec, s[16:17]
	s_cbranch_vccz .LBB175_723
; %bb.686:
	v_cmp_lt_i16_e64 s[14:15], s18, 24
	s_and_b64 vcc, exec, s[14:15]
	s_cbranch_vccnz .LBB175_710
; %bb.687:
	v_cmp_gt_i16_e64 s[14:15], s18, 24
	s_and_b64 vcc, exec, s[14:15]
	s_cbranch_vccz .LBB175_697
; %bb.688:
	s_flbit_i32_b32 s12, s3
	s_min_u32 s14, s12, 32
	s_lshl_b64 s[12:13], s[2:3], s14
	s_min_u32 s12, s12, 1
	s_or_b32 s12, s13, s12
	v_cvt_f32_u32_e32 v1, s12
	s_sub_i32 s12, 32, s14
	s_mov_b32 s13, 0x477fffff
	v_mov_b32_e32 v6, 0x80
	v_ldexp_f32 v1, v1, s12
	v_cmp_lt_u32_e32 vcc, s13, v1
	v_readfirstlane_b32 s12, v1
	s_cbranch_vccnz .LBB175_696
; %bb.689:
	s_cmp_gt_u32 s12, 0x37ffffff
	s_cbranch_scc0 .LBB175_691
; %bb.690:
	s_bfe_u32 s13, s12, 0x10015
	s_add_i32 s12, s12, s13
	s_add_i32 s12, s12, 0x88fffff
	s_lshr_b32 s16, s12, 21
	s_mov_b64 s[14:15], 0
	s_mov_b64 s[12:13], -1
	s_branch .LBB175_692
.LBB175_691:
	s_mov_b64 s[14:15], -1
	s_mov_b64 s[12:13], 0
                                        ; implicit-def: $sgpr16
.LBB175_692:
	s_andn2_b64 vcc, exec, s[14:15]
	v_mov_b32_e32 v3, s16
                                        ; implicit-def: $sgpr14
	s_cbranch_vccnz .LBB175_694
; %bb.693:
	v_add_f32_e32 v1, 0x42800000, v1
	v_and_b32_e32 v3, 0xff, v1
	s_mov_b32 s14, 0
	v_cmp_ne_u32_e64 s[12:13], 0, v3
.LBB175_694:
	s_andn2_b64 vcc, exec, s[12:13]
	v_mov_b32_e32 v6, s14
	s_cbranch_vccnz .LBB175_696
; %bb.695:
	v_mov_b32_e32 v6, v3
.LBB175_696:
	s_mov_b64 s[12:13], 0
	global_store_byte v[4:5], v6, off
.LBB175_697:
	s_and_b64 vcc, exec, s[12:13]
	s_cbranch_vccz .LBB175_709
; %bb.698:
	s_flbit_i32_b32 s12, s3
	s_min_u32 s14, s12, 32
	s_lshl_b64 s[12:13], s[2:3], s14
	s_min_u32 s12, s12, 1
	s_or_b32 s12, s13, s12
	v_cvt_f32_u32_e32 v1, s12
	s_sub_i32 s12, 32, s14
	v_ldexp_f32 v1, v1, s12
	s_mov_b32 s12, 0x43f00000
	v_cmp_gt_u32_e32 vcc, s12, v1
	v_readfirstlane_b32 s14, v1
	s_cbranch_vccz .LBB175_701
; %bb.699:
	s_cmp_gt_u32 s14, 0x3c7fffff
	s_cbranch_scc0 .LBB175_702
; %bb.700:
	s_bfe_u32 s12, s14, 0x10014
	s_add_i32 s12, s14, s12
	s_add_i32 s12, s12, 0x407ffff
	s_lshr_b32 s13, s12, 20
	s_and_b32 s12, s12, 0xff00000
	s_cmp_lg_u32 s12, 0x7f00000
	s_cselect_b32 s15, s13, 0x7e
	s_mov_b64 s[12:13], 0
	s_branch .LBB175_703
.LBB175_701:
	s_mov_b64 s[12:13], -1
                                        ; implicit-def: $vgpr3
	s_branch .LBB175_706
.LBB175_702:
	s_mov_b64 s[12:13], -1
                                        ; implicit-def: $sgpr15
.LBB175_703:
	s_andn2_b64 vcc, exec, s[12:13]
	v_mov_b32_e32 v3, s15
	s_cbranch_vccnz .LBB175_705
; %bb.704:
	v_add_f32_e32 v3, 0x46800000, v1
.LBB175_705:
	s_mov_b64 s[12:13], 0
.LBB175_706:
	s_andn2_b64 vcc, exec, s[12:13]
	s_cbranch_vccnz .LBB175_708
; %bb.707:
	s_cmp_gt_u32 s14, 0x7f800000
	s_movk_i32 s12, 0x7f
	s_cselect_b32 s12, s12, 0x7e
	v_mov_b32_e32 v3, s12
.LBB175_708:
	global_store_byte v[4:5], v3, off
.LBB175_709:
	s_mov_b64 s[12:13], 0
.LBB175_710:
	s_andn2_b64 vcc, exec, s[12:13]
	s_cbranch_vccnz .LBB175_722
; %bb.711:
	s_flbit_i32_b32 s12, s3
	s_min_u32 s14, s12, 32
	s_lshl_b64 s[12:13], s[2:3], s14
	s_min_u32 s12, s12, 1
	s_or_b32 s12, s13, s12
	v_cvt_f32_u32_e32 v1, s12
	s_sub_i32 s12, 32, s14
	v_ldexp_f32 v1, v1, s12
	s_mov_b32 s12, 0x47800000
	v_cmp_gt_u32_e32 vcc, s12, v1
	v_readfirstlane_b32 s14, v1
	s_cbranch_vccz .LBB175_714
; %bb.712:
	s_cmp_gt_u32 s14, 0x387fffff
	s_cbranch_scc0 .LBB175_715
; %bb.713:
	s_bfe_u32 s12, s14, 0x10015
	s_add_i32 s12, s14, s12
	s_add_i32 s12, s12, 0x80fffff
	s_lshr_b32 s15, s12, 21
	s_mov_b64 s[12:13], 0
	s_branch .LBB175_716
.LBB175_714:
	s_mov_b64 s[12:13], -1
                                        ; implicit-def: $vgpr3
	s_branch .LBB175_719
.LBB175_715:
	s_mov_b64 s[12:13], -1
                                        ; implicit-def: $sgpr15
.LBB175_716:
	s_andn2_b64 vcc, exec, s[12:13]
	v_mov_b32_e32 v3, s15
	s_cbranch_vccnz .LBB175_718
; %bb.717:
	v_add_f32_e32 v3, 0x43000000, v1
.LBB175_718:
	s_mov_b64 s[12:13], 0
.LBB175_719:
	s_andn2_b64 vcc, exec, s[12:13]
	s_cbranch_vccnz .LBB175_721
; %bb.720:
	s_cmp_gt_u32 s14, 0x7f800000
	s_movk_i32 s12, 0x7f
	s_cselect_b32 s12, s12, 0x7c
	v_mov_b32_e32 v3, s12
.LBB175_721:
	global_store_byte v[4:5], v3, off
.LBB175_722:
	s_mov_b64 s[12:13], 0
	s_mov_b64 s[14:15], -1
.LBB175_723:
	s_andn2_b64 vcc, exec, s[12:13]
	s_mov_b64 s[12:13], 0
	s_cbranch_vccnz .LBB175_730
; %bb.724:
	v_cmp_gt_i16_e64 s[12:13], s18, 14
	s_mov_b64 s[16:17], -1
	s_and_b64 vcc, exec, s[12:13]
	s_cbranch_vccz .LBB175_728
; %bb.725:
	v_cmp_eq_u16_e64 s[12:13], s18, 15
	s_mov_b64 s[10:11], -1
	s_and_b64 vcc, exec, s[12:13]
	s_cbranch_vccz .LBB175_727
; %bb.726:
	s_flbit_i32_b32 s10, s3
	s_min_u32 s12, s10, 32
	s_lshl_b64 s[10:11], s[2:3], s12
	s_min_u32 s10, s10, 1
	s_or_b32 s10, s11, s10
	v_cvt_f32_u32_e32 v1, s10
	s_sub_i32 s12, 32, s12
	s_mov_b64 s[10:11], 0
	s_mov_b64 s[14:15], -1
	v_ldexp_f32 v1, v1, s12
	v_bfe_u32 v3, v1, 16, 1
	v_add_u32_e32 v1, v1, v3
	v_add_u32_e32 v1, 0x7fff, v1
	global_store_short_d16_hi v[4:5], v1, off
.LBB175_727:
	s_mov_b64 s[16:17], 0
.LBB175_728:
	s_mov_b64 s[12:13], 0
	s_and_b64 vcc, exec, s[16:17]
	s_cbranch_vccz .LBB175_730
; %bb.729:
	v_cmp_ne_u16_e64 s[10:11], s18, 11
	s_mov_b64 s[12:13], -1
.LBB175_730:
	s_and_b64 vcc, exec, s[10:11]
	s_cbranch_vccnz .LBB175_793
; %bb.731:
	s_andn2_b64 vcc, exec, s[12:13]
	s_cbranch_vccnz .LBB175_733
.LBB175_732:
	s_cmp_lg_u64 s[2:3], 0
	s_cselect_b64 s[10:11], -1, 0
	v_cndmask_b32_e64 v1, 0, 1, s[10:11]
	s_mov_b64 s[14:15], -1
	global_store_byte v[4:5], v1, off
.LBB175_733:
	s_branch .LBB175_650
.LBB175_734:
	v_cmp_lt_i16_e64 s[12:13], s18, 5
	s_mov_b64 s[10:11], -1
	s_and_b64 vcc, exec, s[12:13]
	s_cbranch_vccnz .LBB175_755
; %bb.735:
	v_cmp_lt_i16_e64 s[12:13], s18, 8
	s_and_b64 vcc, exec, s[12:13]
	s_cbranch_vccnz .LBB175_745
; %bb.736:
	v_cmp_lt_i16_e64 s[12:13], s18, 9
	s_and_b64 vcc, exec, s[12:13]
	s_cbranch_vccnz .LBB175_742
; %bb.737:
	v_cmp_gt_i16_e64 s[12:13], s18, 9
	s_and_b64 vcc, exec, s[12:13]
	s_cbranch_vccz .LBB175_739
; %bb.738:
	v_cvt_f64_u32_e32 v[6:7], s3
	v_ldexp_f64 v[6:7], v[6:7], 32
	v_cvt_f64_u32_e32 v[8:9], s2
	v_add_f64 v[6:7], v[6:7], v[8:9]
	v_mov_b32_e32 v8, 0
	v_mov_b32_e32 v9, v8
	global_store_dwordx4 v[4:5], v[6:9], off
	s_mov_b64 s[10:11], 0
.LBB175_739:
	s_andn2_b64 vcc, exec, s[10:11]
	s_cbranch_vccnz .LBB175_741
; %bb.740:
	s_flbit_i32_b32 s10, s3
	s_min_u32 s12, s10, 32
	s_lshl_b64 s[10:11], s[2:3], s12
	s_min_u32 s10, s10, 1
	s_or_b32 s10, s11, s10
	v_cvt_f32_u32_e32 v1, s10
	s_sub_i32 s10, 32, s12
	v_mov_b32_e32 v7, 0
	v_ldexp_f32 v6, v1, s10
	global_store_dwordx2 v[4:5], v[6:7], off
.LBB175_741:
	s_mov_b64 s[10:11], 0
.LBB175_742:
	s_andn2_b64 vcc, exec, s[10:11]
	s_cbranch_vccnz .LBB175_744
; %bb.743:
	s_flbit_i32_b32 s10, s3
	s_min_u32 s12, s10, 32
	s_lshl_b64 s[10:11], s[2:3], s12
	s_min_u32 s10, s10, 1
	s_or_b32 s10, s11, s10
	v_cvt_f32_u32_e32 v1, s10
	s_sub_i32 s10, 32, s12
	v_ldexp_f32 v1, v1, s10
	v_cvt_f16_f32_e32 v1, v1
	global_store_dword v[4:5], v1, off
.LBB175_744:
	s_mov_b64 s[10:11], 0
.LBB175_745:
	s_andn2_b64 vcc, exec, s[10:11]
	s_cbranch_vccnz .LBB175_754
; %bb.746:
	v_cmp_lt_i16_e64 s[12:13], s18, 6
	s_mov_b64 s[10:11], -1
	s_and_b64 vcc, exec, s[12:13]
	s_cbranch_vccnz .LBB175_752
; %bb.747:
	v_cmp_gt_i16_e64 s[12:13], s18, 6
	s_and_b64 vcc, exec, s[12:13]
	s_cbranch_vccz .LBB175_749
; %bb.748:
	v_cvt_f64_u32_e32 v[6:7], s3
	v_ldexp_f64 v[6:7], v[6:7], 32
	v_cvt_f64_u32_e32 v[8:9], s2
	v_add_f64 v[6:7], v[6:7], v[8:9]
	global_store_dwordx2 v[4:5], v[6:7], off
	s_mov_b64 s[10:11], 0
.LBB175_749:
	s_andn2_b64 vcc, exec, s[10:11]
	s_cbranch_vccnz .LBB175_751
; %bb.750:
	s_flbit_i32_b32 s10, s3
	s_min_u32 s12, s10, 32
	s_lshl_b64 s[10:11], s[2:3], s12
	s_min_u32 s10, s10, 1
	s_or_b32 s10, s11, s10
	v_cvt_f32_u32_e32 v1, s10
	s_sub_i32 s10, 32, s12
	v_ldexp_f32 v1, v1, s10
	global_store_dword v[4:5], v1, off
.LBB175_751:
	s_mov_b64 s[10:11], 0
.LBB175_752:
	s_andn2_b64 vcc, exec, s[10:11]
	s_cbranch_vccnz .LBB175_754
; %bb.753:
	s_flbit_i32_b32 s10, s3
	s_min_u32 s12, s10, 32
	s_lshl_b64 s[10:11], s[2:3], s12
	s_min_u32 s10, s10, 1
	s_or_b32 s10, s11, s10
	v_cvt_f32_u32_e32 v1, s10
	s_sub_i32 s10, 32, s12
	v_ldexp_f32 v1, v1, s10
	v_cvt_f16_f32_e32 v1, v1
	global_store_short v[4:5], v1, off
.LBB175_754:
	s_mov_b64 s[10:11], 0
.LBB175_755:
	s_andn2_b64 vcc, exec, s[10:11]
	s_cbranch_vccnz .LBB175_771
; %bb.756:
	v_cmp_lt_i16_e64 s[12:13], s18, 2
	s_mov_b64 s[10:11], -1
	s_and_b64 vcc, exec, s[12:13]
	s_cbranch_vccnz .LBB175_766
; %bb.757:
	v_cmp_lt_i16_e64 s[12:13], s18, 3
	s_and_b64 vcc, exec, s[12:13]
	s_cbranch_vccnz .LBB175_763
; %bb.758:
	v_cmp_gt_i16_e64 s[12:13], s18, 3
	s_and_b64 vcc, exec, s[12:13]
	s_cbranch_vccz .LBB175_760
; %bb.759:
	v_pk_mov_b32 v[6:7], s[2:3], s[2:3] op_sel:[0,1]
	global_store_dwordx2 v[4:5], v[6:7], off
	s_mov_b64 s[10:11], 0
.LBB175_760:
	s_andn2_b64 vcc, exec, s[10:11]
	s_cbranch_vccnz .LBB175_762
; %bb.761:
	v_mov_b32_e32 v1, s2
	global_store_dword v[4:5], v1, off
.LBB175_762:
	s_mov_b64 s[10:11], 0
.LBB175_763:
	s_andn2_b64 vcc, exec, s[10:11]
	s_cbranch_vccnz .LBB175_765
; %bb.764:
	v_mov_b32_e32 v1, s2
	global_store_short v[4:5], v1, off
.LBB175_765:
	s_mov_b64 s[10:11], 0
.LBB175_766:
	s_andn2_b64 vcc, exec, s[10:11]
	s_cbranch_vccnz .LBB175_771
; %bb.767:
	v_cmp_gt_i16_e64 s[12:13], s18, 0
	s_mov_b64 s[10:11], -1
	s_and_b64 vcc, exec, s[12:13]
	s_cbranch_vccz .LBB175_769
; %bb.768:
	v_mov_b32_e32 v1, s2
	global_store_byte v[4:5], v1, off
	s_mov_b64 s[10:11], 0
.LBB175_769:
	s_andn2_b64 vcc, exec, s[10:11]
	s_cbranch_vccnz .LBB175_771
; %bb.770:
	v_mov_b32_e32 v1, s2
	global_store_byte v[4:5], v1, off
.LBB175_771:
.LBB175_772:
	v_mov_b32_e32 v1, s1
	v_add_co_u32_e32 v2, vcc, s0, v2
	v_addc_co_u32_e32 v3, vcc, 0, v1, vcc
	s_and_b64 vcc, exec, s[8:9]
	s_cbranch_vccnz .LBB175_779
; %bb.773:
	v_cmp_gt_i16_e64 s[10:11], s18, 25
	s_mov_b64 s[16:17], -1
	s_mov_b64 s[12:13], 0
	s_and_b64 vcc, exec, s[10:11]
	s_mov_b64 s[14:15], 0
	s_mov_b64 s[10:11], 0
	s_cbranch_vccz .LBB175_847
; %bb.774:
	v_cmp_gt_i16_e64 s[10:11], s18, 28
	s_and_b64 vcc, exec, s[10:11]
	s_cbranch_vccz .LBB175_790
; %bb.775:
	v_cmp_gt_i16_e64 s[10:11], s18, 43
	s_and_b64 vcc, exec, s[10:11]
	;; [unrolled: 4-line block ×3, first 2 shown]
	s_cbranch_vccz .LBB175_794
; %bb.777:
	v_cmp_eq_u16_e64 s[14:15], s18, 46
	s_mov_b64 s[10:11], -1
	s_mov_b64 s[16:17], 0
	s_and_b64 vcc, exec, s[14:15]
	s_mov_b64 s[14:15], 0
	s_cbranch_vccz .LBB175_795
; %bb.778:
	s_flbit_i32_b32 s10, s3
	s_min_u32 s14, s10, 32
	s_lshl_b64 s[10:11], s[2:3], s14
	s_min_u32 s10, s10, 1
	s_or_b32 s10, s11, s10
	v_cvt_f32_u32_e32 v1, s10
	s_sub_i32 s14, 32, s14
	s_mov_b64 s[10:11], 0
	v_ldexp_f32 v1, v1, s14
	v_bfe_u32 v4, v1, 16, 1
	v_add_u32_e32 v1, v1, v4
	v_add_u32_e32 v1, 0x7fff, v1
	v_lshrrev_b32_e32 v1, 16, v1
	global_store_dword v[2:3], v1, off
	s_mov_b64 s[14:15], -1
	s_branch .LBB175_795
.LBB175_779:
	s_mov_b64 s[14:15], 0
	s_cbranch_execnz .LBB175_911
.LBB175_780:
	s_andn2_b64 vcc, exec, s[14:15]
	s_cbranch_vccnz .LBB175_949
.LBB175_781:
	v_mov_b32_e32 v1, s1
	v_add_co_u32_e32 v0, vcc, s0, v0
	v_addc_co_u32_e32 v1, vcc, 0, v1, vcc
	s_and_b64 vcc, exec, s[8:9]
	s_cbranch_vccnz .LBB175_789
; %bb.782:
	v_cmp_gt_i16_e64 s[0:1], s18, 25
	s_mov_b64 s[10:11], -1
	s_mov_b64 s[8:9], 0
	s_and_b64 vcc, exec, s[0:1]
	s_mov_b64 s[0:1], 0
	s_cbranch_vccz .LBB175_861
; %bb.783:
	v_cmp_gt_i16_e64 s[0:1], s18, 28
	s_and_b64 vcc, exec, s[0:1]
	s_cbranch_vccz .LBB175_792
; %bb.784:
	v_cmp_gt_i16_e64 s[0:1], s18, 43
	s_and_b64 vcc, exec, s[0:1]
	;; [unrolled: 4-line block ×3, first 2 shown]
	s_cbranch_vccz .LBB175_817
; %bb.786:
	v_cmp_eq_u16_e64 s[10:11], s18, 46
	s_mov_b64 s[0:1], -1
	s_and_b64 vcc, exec, s[10:11]
	s_cbranch_vccz .LBB175_788
; %bb.787:
	s_flbit_i32_b32 s0, s3
	s_min_u32 s10, s0, 32
	s_lshl_b64 s[0:1], s[2:3], s10
	s_min_u32 s0, s0, 1
	s_or_b32 s0, s1, s0
	v_cvt_f32_u32_e32 v2, s0
	s_sub_i32 s0, 32, s10
	v_ldexp_f32 v2, v2, s0
	v_bfe_u32 v3, v2, 16, 1
	v_add_u32_e32 v2, v2, v3
	v_add_u32_e32 v2, 0x7fff, v2
	v_lshrrev_b32_e32 v2, 16, v2
	global_store_dword v[0:1], v2, off
	s_mov_b64 s[0:1], 0
.LBB175_788:
	s_mov_b64 s[10:11], 0
	s_branch .LBB175_818
.LBB175_789:
	s_mov_b64 s[8:9], 0
	s_mov_b64 s[0:1], -1
	s_branch .LBB175_950
.LBB175_790:
	s_mov_b64 s[10:11], 0
	s_branch .LBB175_805
.LBB175_791:
	s_mov_b64 s[10:11], 0
	s_branch .LBB175_801
.LBB175_792:
	s_mov_b64 s[0:1], 0
	s_branch .LBB175_828
.LBB175_793:
	s_trap 2
	s_or_b64 s[4:5], s[4:5], exec
	s_cbranch_execz .LBB175_732
	s_branch .LBB175_733
.LBB175_794:
	s_mov_b64 s[10:11], 0
.LBB175_795:
	s_and_b64 vcc, exec, s[16:17]
	s_cbranch_vccz .LBB175_800
; %bb.796:
	v_cmp_eq_u16_e64 s[16:17], s18, 44
	s_mov_b64 s[10:11], -1
	s_and_b64 vcc, exec, s[16:17]
	s_cbranch_vccz .LBB175_800
; %bb.797:
	s_flbit_i32_b32 s10, s3
	s_min_u32 s14, s10, 32
	s_lshl_b64 s[10:11], s[2:3], s14
	s_min_u32 s10, s10, 1
	s_or_b32 s10, s11, s10
	v_cvt_f32_u32_e32 v1, s10
	s_sub_i32 s10, 32, s14
	v_ldexp_f32 v1, v1, s10
	v_readfirstlane_b32 s11, v1
	s_lshr_b32 s10, s11, 23
	s_cmpk_eq_i32 s10, 0xff
	v_mov_b32_e32 v1, 0xff
	s_cbranch_scc1 .LBB175_799
; %bb.798:
	s_bitcmp1_b32 s11, 22
	s_cselect_b64 s[14:15], -1, 0
	s_and_b32 s11, s11, 0x3fffff
	s_or_b32 s11, s10, s11
	s_cmp_lg_u32 s11, 0
	s_cselect_b64 s[16:17], -1, 0
	s_and_b64 s[14:15], s[14:15], s[16:17]
	v_cndmask_b32_e64 v1, 0, 1, s[14:15]
	v_add_u32_e32 v1, s10, v1
.LBB175_799:
	s_mov_b64 s[10:11], 0
	s_mov_b64 s[14:15], -1
	global_store_byte v[2:3], v1, off
.LBB175_800:
	s_mov_b64 s[16:17], 0
.LBB175_801:
	s_and_b64 vcc, exec, s[16:17]
	s_cbranch_vccz .LBB175_804
; %bb.802:
	v_cmp_eq_u16_e64 s[16:17], s18, 29
	s_mov_b64 s[10:11], -1
	s_and_b64 vcc, exec, s[16:17]
	s_cbranch_vccz .LBB175_804
; %bb.803:
	v_pk_mov_b32 v[4:5], s[2:3], s[2:3] op_sel:[0,1]
	global_store_dwordx2 v[2:3], v[4:5], off
	s_mov_b64 s[10:11], 0
	s_mov_b64 s[14:15], -1
.LBB175_804:
	s_mov_b64 s[16:17], 0
.LBB175_805:
	s_and_b64 vcc, exec, s[16:17]
	s_cbranch_vccz .LBB175_846
; %bb.806:
	v_cmp_lt_i16_e64 s[16:17], s18, 27
	s_mov_b64 s[14:15], -1
	s_and_b64 vcc, exec, s[16:17]
	s_cbranch_vccnz .LBB175_812
; %bb.807:
	v_cmp_gt_i16_e64 s[16:17], s18, 27
	s_and_b64 vcc, exec, s[16:17]
	s_cbranch_vccz .LBB175_809
; %bb.808:
	v_mov_b32_e32 v1, s2
	s_mov_b64 s[14:15], 0
	global_store_dword v[2:3], v1, off
.LBB175_809:
	s_andn2_b64 vcc, exec, s[14:15]
	s_cbranch_vccnz .LBB175_811
; %bb.810:
	v_mov_b32_e32 v1, s2
	global_store_short v[2:3], v1, off
.LBB175_811:
	s_mov_b64 s[14:15], 0
.LBB175_812:
	s_andn2_b64 vcc, exec, s[14:15]
	s_cbranch_vccnz .LBB175_845
; %bb.813:
	s_flbit_i32_b32 s14, s3
	s_min_u32 s16, s14, 32
	s_lshl_b64 s[14:15], s[2:3], s16
	s_min_u32 s14, s14, 1
	s_or_b32 s14, s15, s14
	v_cvt_f32_u32_e32 v1, s14
	s_sub_i32 s14, 32, s16
	s_mov_b32 s15, 0x437fffff
	v_mov_b32_e32 v5, 0x80
	v_ldexp_f32 v1, v1, s14
	v_cmp_lt_u32_e32 vcc, s15, v1
	v_readfirstlane_b32 s14, v1
	s_cbranch_vccnz .LBB175_844
; %bb.814:
	s_cmp_gt_u32 s14, 0x3bffffff
	s_cbranch_scc0 .LBB175_839
; %bb.815:
	s_bfe_u32 s15, s14, 0x10014
	s_add_i32 s14, s14, s15
	s_add_i32 s14, s14, 0x487ffff
	s_lshr_b32 s19, s14, 20
	s_mov_b64 s[16:17], 0
	s_mov_b64 s[14:15], -1
	s_branch .LBB175_840
.LBB175_816:
	s_mov_b64 s[0:1], 0
	s_branch .LBB175_824
.LBB175_817:
	s_mov_b64 s[0:1], 0
.LBB175_818:
	s_and_b64 vcc, exec, s[10:11]
	s_cbranch_vccz .LBB175_823
; %bb.819:
	v_cmp_eq_u16_e64 s[10:11], s18, 44
	s_mov_b64 s[0:1], -1
	s_and_b64 vcc, exec, s[10:11]
	s_cbranch_vccz .LBB175_823
; %bb.820:
	s_flbit_i32_b32 s0, s3
	s_min_u32 s10, s0, 32
	s_lshl_b64 s[0:1], s[2:3], s10
	s_min_u32 s0, s0, 1
	s_or_b32 s0, s1, s0
	v_cvt_f32_u32_e32 v2, s0
	s_sub_i32 s0, 32, s10
	v_ldexp_f32 v2, v2, s0
	v_readfirstlane_b32 s1, v2
	s_lshr_b32 s0, s1, 23
	s_cmpk_eq_i32 s0, 0xff
	v_mov_b32_e32 v2, 0xff
	s_cbranch_scc1 .LBB175_822
; %bb.821:
	s_bitcmp1_b32 s1, 22
	s_cselect_b64 s[10:11], -1, 0
	s_and_b32 s1, s1, 0x3fffff
	s_or_b32 s1, s0, s1
	s_cmp_lg_u32 s1, 0
	s_cselect_b64 s[12:13], -1, 0
	s_and_b64 s[10:11], s[10:11], s[12:13]
	v_cndmask_b32_e64 v2, 0, 1, s[10:11]
	v_add_u32_e32 v2, s0, v2
.LBB175_822:
	s_mov_b64 s[0:1], 0
	global_store_byte v[0:1], v2, off
.LBB175_823:
	s_mov_b64 s[10:11], 0
.LBB175_824:
	s_and_b64 vcc, exec, s[10:11]
	s_cbranch_vccz .LBB175_827
; %bb.825:
	v_cmp_eq_u16_e64 s[10:11], s18, 29
	s_mov_b64 s[0:1], -1
	s_and_b64 vcc, exec, s[10:11]
	s_cbranch_vccz .LBB175_827
; %bb.826:
	v_pk_mov_b32 v[2:3], s[2:3], s[2:3] op_sel:[0,1]
	global_store_dwordx2 v[0:1], v[2:3], off
	s_mov_b64 s[0:1], 0
.LBB175_827:
	s_mov_b64 s[10:11], 0
.LBB175_828:
	s_and_b64 vcc, exec, s[10:11]
	s_cbranch_vccz .LBB175_860
; %bb.829:
	v_cmp_lt_i16_e64 s[12:13], s18, 27
	s_mov_b64 s[10:11], -1
	s_and_b64 vcc, exec, s[12:13]
	s_cbranch_vccnz .LBB175_835
; %bb.830:
	v_cmp_gt_i16_e64 s[12:13], s18, 27
	s_and_b64 vcc, exec, s[12:13]
	s_cbranch_vccz .LBB175_832
; %bb.831:
	v_mov_b32_e32 v2, s2
	global_store_dword v[0:1], v2, off
	s_mov_b64 s[10:11], 0
.LBB175_832:
	s_andn2_b64 vcc, exec, s[10:11]
	s_cbranch_vccnz .LBB175_834
; %bb.833:
	v_mov_b32_e32 v2, s2
	global_store_short v[0:1], v2, off
.LBB175_834:
	s_mov_b64 s[10:11], 0
.LBB175_835:
	s_andn2_b64 vcc, exec, s[10:11]
	s_cbranch_vccnz .LBB175_860
; %bb.836:
	s_flbit_i32_b32 s10, s3
	s_min_u32 s12, s10, 32
	s_lshl_b64 s[10:11], s[2:3], s12
	s_min_u32 s10, s10, 1
	s_or_b32 s10, s11, s10
	v_cvt_f32_u32_e32 v2, s10
	s_sub_i32 s10, 32, s12
	s_mov_b32 s11, 0x437fffff
	v_mov_b32_e32 v4, 0x80
	v_ldexp_f32 v2, v2, s10
	v_cmp_lt_u32_e32 vcc, s11, v2
	v_readfirstlane_b32 s10, v2
	s_cbranch_vccnz .LBB175_859
; %bb.837:
	s_cmp_gt_u32 s10, 0x3bffffff
	s_cbranch_scc0 .LBB175_854
; %bb.838:
	s_bfe_u32 s11, s10, 0x10014
	s_add_i32 s10, s10, s11
	s_add_i32 s10, s10, 0x487ffff
	s_lshr_b32 s14, s10, 20
	s_mov_b64 s[12:13], 0
	s_mov_b64 s[10:11], -1
	s_branch .LBB175_855
.LBB175_839:
	s_mov_b64 s[16:17], -1
	s_mov_b64 s[14:15], 0
                                        ; implicit-def: $sgpr19
.LBB175_840:
	s_andn2_b64 vcc, exec, s[16:17]
	v_mov_b32_e32 v4, s19
                                        ; implicit-def: $sgpr16
	s_cbranch_vccnz .LBB175_842
; %bb.841:
	v_add_f32_e32 v1, 0x46000000, v1
	v_and_b32_e32 v4, 0xff, v1
	s_mov_b32 s16, 0
	v_cmp_ne_u32_e64 s[14:15], 0, v4
.LBB175_842:
	s_andn2_b64 vcc, exec, s[14:15]
	v_mov_b32_e32 v5, s16
	s_cbranch_vccnz .LBB175_844
; %bb.843:
	v_mov_b32_e32 v5, v4
.LBB175_844:
	global_store_byte v[2:3], v5, off
.LBB175_845:
	s_mov_b64 s[14:15], -1
.LBB175_846:
	s_mov_b64 s[16:17], 0
.LBB175_847:
	s_and_b64 vcc, exec, s[16:17]
	s_cbranch_vccz .LBB175_907
; %bb.848:
	v_cmp_gt_i16_e64 s[16:17], s18, 22
	s_mov_b64 s[12:13], -1
	s_and_b64 vcc, exec, s[16:17]
	s_cbranch_vccz .LBB175_900
; %bb.849:
	v_cmp_lt_i16_e64 s[14:15], s18, 24
	s_and_b64 vcc, exec, s[14:15]
	s_cbranch_vccnz .LBB175_887
; %bb.850:
	v_cmp_gt_i16_e64 s[14:15], s18, 24
	s_and_b64 vcc, exec, s[14:15]
	s_cbranch_vccz .LBB175_874
; %bb.851:
	s_flbit_i32_b32 s12, s3
	s_min_u32 s14, s12, 32
	s_lshl_b64 s[12:13], s[2:3], s14
	s_min_u32 s12, s12, 1
	s_or_b32 s12, s13, s12
	v_cvt_f32_u32_e32 v1, s12
	s_sub_i32 s12, 32, s14
	s_mov_b32 s13, 0x477fffff
	v_mov_b32_e32 v5, 0x80
	v_ldexp_f32 v1, v1, s12
	v_cmp_lt_u32_e32 vcc, s13, v1
	v_readfirstlane_b32 s12, v1
	s_cbranch_vccnz .LBB175_873
; %bb.852:
	s_cmp_gt_u32 s12, 0x37ffffff
	s_cbranch_scc0 .LBB175_868
; %bb.853:
	s_bfe_u32 s13, s12, 0x10015
	s_add_i32 s12, s12, s13
	s_add_i32 s12, s12, 0x88fffff
	s_lshr_b32 s16, s12, 21
	s_mov_b64 s[14:15], 0
	s_mov_b64 s[12:13], -1
	s_branch .LBB175_869
.LBB175_854:
	s_mov_b64 s[12:13], -1
	s_mov_b64 s[10:11], 0
                                        ; implicit-def: $sgpr14
.LBB175_855:
	s_andn2_b64 vcc, exec, s[12:13]
	v_mov_b32_e32 v3, s14
                                        ; implicit-def: $sgpr12
	s_cbranch_vccnz .LBB175_857
; %bb.856:
	v_add_f32_e32 v2, 0x46000000, v2
	v_and_b32_e32 v3, 0xff, v2
	s_mov_b32 s12, 0
	v_cmp_ne_u32_e64 s[10:11], 0, v3
.LBB175_857:
	s_andn2_b64 vcc, exec, s[10:11]
	v_mov_b32_e32 v4, s12
	s_cbranch_vccnz .LBB175_859
; %bb.858:
	v_mov_b32_e32 v4, v3
.LBB175_859:
	global_store_byte v[0:1], v4, off
.LBB175_860:
	s_mov_b64 s[10:11], 0
.LBB175_861:
	s_and_b64 vcc, exec, s[10:11]
	s_cbranch_vccz .LBB175_1034
; %bb.862:
	v_cmp_gt_i16_e64 s[10:11], s18, 22
	s_mov_b64 s[8:9], -1
	s_and_b64 vcc, exec, s[10:11]
	s_cbranch_vccz .LBB175_1027
; %bb.863:
	v_cmp_lt_i16_e64 s[10:11], s18, 24
	s_and_b64 vcc, exec, s[10:11]
	s_cbranch_vccnz .LBB175_1014
; %bb.864:
	v_cmp_gt_i16_e64 s[10:11], s18, 24
	s_and_b64 vcc, exec, s[10:11]
	s_cbranch_vccz .LBB175_1001
; %bb.865:
	s_flbit_i32_b32 s8, s3
	s_min_u32 s10, s8, 32
	s_lshl_b64 s[8:9], s[2:3], s10
	s_min_u32 s8, s8, 1
	s_or_b32 s8, s9, s8
	v_cvt_f32_u32_e32 v2, s8
	s_sub_i32 s8, 32, s10
	s_mov_b32 s9, 0x477fffff
	v_mov_b32_e32 v4, 0x80
	v_ldexp_f32 v2, v2, s8
	v_cmp_lt_u32_e32 vcc, s9, v2
	v_readfirstlane_b32 s8, v2
	s_cbranch_vccnz .LBB175_1000
; %bb.866:
	s_cmp_gt_u32 s8, 0x37ffffff
	s_cbranch_scc0 .LBB175_995
; %bb.867:
	s_bfe_u32 s9, s8, 0x10015
	s_add_i32 s8, s8, s9
	s_add_i32 s8, s8, 0x88fffff
	s_lshr_b32 s12, s8, 21
	s_mov_b64 s[10:11], 0
	s_mov_b64 s[8:9], -1
	s_branch .LBB175_996
.LBB175_868:
	s_mov_b64 s[14:15], -1
	s_mov_b64 s[12:13], 0
                                        ; implicit-def: $sgpr16
.LBB175_869:
	s_andn2_b64 vcc, exec, s[14:15]
	v_mov_b32_e32 v4, s16
                                        ; implicit-def: $sgpr14
	s_cbranch_vccnz .LBB175_871
; %bb.870:
	v_add_f32_e32 v1, 0x42800000, v1
	v_and_b32_e32 v4, 0xff, v1
	s_mov_b32 s14, 0
	v_cmp_ne_u32_e64 s[12:13], 0, v4
.LBB175_871:
	s_andn2_b64 vcc, exec, s[12:13]
	v_mov_b32_e32 v5, s14
	s_cbranch_vccnz .LBB175_873
; %bb.872:
	v_mov_b32_e32 v5, v4
.LBB175_873:
	s_mov_b64 s[12:13], 0
	global_store_byte v[2:3], v5, off
.LBB175_874:
	s_and_b64 vcc, exec, s[12:13]
	s_cbranch_vccz .LBB175_886
; %bb.875:
	s_flbit_i32_b32 s12, s3
	s_min_u32 s14, s12, 32
	s_lshl_b64 s[12:13], s[2:3], s14
	s_min_u32 s12, s12, 1
	s_or_b32 s12, s13, s12
	v_cvt_f32_u32_e32 v1, s12
	s_sub_i32 s12, 32, s14
	v_ldexp_f32 v1, v1, s12
	s_mov_b32 s12, 0x43f00000
	v_cmp_gt_u32_e32 vcc, s12, v1
	v_readfirstlane_b32 s14, v1
	s_cbranch_vccz .LBB175_878
; %bb.876:
	s_cmp_gt_u32 s14, 0x3c7fffff
	s_cbranch_scc0 .LBB175_879
; %bb.877:
	s_bfe_u32 s12, s14, 0x10014
	s_add_i32 s12, s14, s12
	s_add_i32 s12, s12, 0x407ffff
	s_lshr_b32 s13, s12, 20
	s_and_b32 s12, s12, 0xff00000
	s_cmp_lg_u32 s12, 0x7f00000
	s_cselect_b32 s15, s13, 0x7e
	s_mov_b64 s[12:13], 0
	s_branch .LBB175_880
.LBB175_878:
	s_mov_b64 s[12:13], -1
                                        ; implicit-def: $vgpr4
	s_branch .LBB175_883
.LBB175_879:
	s_mov_b64 s[12:13], -1
                                        ; implicit-def: $sgpr15
.LBB175_880:
	s_andn2_b64 vcc, exec, s[12:13]
	v_mov_b32_e32 v4, s15
	s_cbranch_vccnz .LBB175_882
; %bb.881:
	v_add_f32_e32 v4, 0x46800000, v1
.LBB175_882:
	s_mov_b64 s[12:13], 0
.LBB175_883:
	s_andn2_b64 vcc, exec, s[12:13]
	s_cbranch_vccnz .LBB175_885
; %bb.884:
	s_cmp_gt_u32 s14, 0x7f800000
	s_movk_i32 s12, 0x7f
	s_cselect_b32 s12, s12, 0x7e
	v_mov_b32_e32 v4, s12
.LBB175_885:
	global_store_byte v[2:3], v4, off
.LBB175_886:
	s_mov_b64 s[12:13], 0
.LBB175_887:
	s_andn2_b64 vcc, exec, s[12:13]
	s_cbranch_vccnz .LBB175_899
; %bb.888:
	s_flbit_i32_b32 s12, s3
	s_min_u32 s14, s12, 32
	s_lshl_b64 s[12:13], s[2:3], s14
	s_min_u32 s12, s12, 1
	s_or_b32 s12, s13, s12
	v_cvt_f32_u32_e32 v1, s12
	s_sub_i32 s12, 32, s14
	v_ldexp_f32 v1, v1, s12
	s_mov_b32 s12, 0x47800000
	v_cmp_gt_u32_e32 vcc, s12, v1
	v_readfirstlane_b32 s14, v1
	s_cbranch_vccz .LBB175_891
; %bb.889:
	s_cmp_gt_u32 s14, 0x387fffff
	s_cbranch_scc0 .LBB175_892
; %bb.890:
	s_bfe_u32 s12, s14, 0x10015
	s_add_i32 s12, s14, s12
	s_add_i32 s12, s12, 0x80fffff
	s_lshr_b32 s15, s12, 21
	s_mov_b64 s[12:13], 0
	s_branch .LBB175_893
.LBB175_891:
	s_mov_b64 s[12:13], -1
                                        ; implicit-def: $vgpr4
	s_branch .LBB175_896
.LBB175_892:
	s_mov_b64 s[12:13], -1
                                        ; implicit-def: $sgpr15
.LBB175_893:
	s_andn2_b64 vcc, exec, s[12:13]
	v_mov_b32_e32 v4, s15
	s_cbranch_vccnz .LBB175_895
; %bb.894:
	v_add_f32_e32 v4, 0x43000000, v1
.LBB175_895:
	s_mov_b64 s[12:13], 0
.LBB175_896:
	s_andn2_b64 vcc, exec, s[12:13]
	s_cbranch_vccnz .LBB175_898
; %bb.897:
	s_cmp_gt_u32 s14, 0x7f800000
	s_movk_i32 s12, 0x7f
	s_cselect_b32 s12, s12, 0x7c
	v_mov_b32_e32 v4, s12
.LBB175_898:
	global_store_byte v[2:3], v4, off
.LBB175_899:
	s_mov_b64 s[12:13], 0
	s_mov_b64 s[14:15], -1
.LBB175_900:
	s_andn2_b64 vcc, exec, s[12:13]
	s_mov_b64 s[12:13], 0
	s_cbranch_vccnz .LBB175_907
; %bb.901:
	v_cmp_gt_i16_e64 s[12:13], s18, 14
	s_mov_b64 s[16:17], -1
	s_and_b64 vcc, exec, s[12:13]
	s_cbranch_vccz .LBB175_905
; %bb.902:
	v_cmp_eq_u16_e64 s[12:13], s18, 15
	s_mov_b64 s[10:11], -1
	s_and_b64 vcc, exec, s[12:13]
	s_cbranch_vccz .LBB175_904
; %bb.903:
	s_flbit_i32_b32 s10, s3
	s_min_u32 s12, s10, 32
	s_lshl_b64 s[10:11], s[2:3], s12
	s_min_u32 s10, s10, 1
	s_or_b32 s10, s11, s10
	v_cvt_f32_u32_e32 v1, s10
	s_sub_i32 s12, 32, s12
	s_mov_b64 s[10:11], 0
	s_mov_b64 s[14:15], -1
	v_ldexp_f32 v1, v1, s12
	v_bfe_u32 v4, v1, 16, 1
	v_add_u32_e32 v1, v1, v4
	v_add_u32_e32 v1, 0x7fff, v1
	global_store_short_d16_hi v[2:3], v1, off
.LBB175_904:
	s_mov_b64 s[16:17], 0
.LBB175_905:
	s_mov_b64 s[12:13], 0
	s_and_b64 vcc, exec, s[16:17]
	s_cbranch_vccz .LBB175_907
; %bb.906:
	v_cmp_ne_u16_e64 s[10:11], s18, 11
	s_mov_b64 s[12:13], -1
.LBB175_907:
	s_and_b64 vcc, exec, s[10:11]
	s_cbranch_vccnz .LBB175_994
; %bb.908:
	s_andn2_b64 vcc, exec, s[12:13]
	s_cbranch_vccnz .LBB175_910
.LBB175_909:
	s_cmp_lg_u64 s[2:3], 0
	s_cselect_b64 s[10:11], -1, 0
	v_cndmask_b32_e64 v1, 0, 1, s[10:11]
	s_mov_b64 s[14:15], -1
	global_store_byte v[2:3], v1, off
.LBB175_910:
	s_branch .LBB175_780
.LBB175_911:
	v_cmp_lt_i16_e64 s[12:13], s18, 5
	s_mov_b64 s[10:11], -1
	s_and_b64 vcc, exec, s[12:13]
	s_cbranch_vccnz .LBB175_932
; %bb.912:
	v_cmp_lt_i16_e64 s[12:13], s18, 8
	s_and_b64 vcc, exec, s[12:13]
	s_cbranch_vccnz .LBB175_922
; %bb.913:
	v_cmp_lt_i16_e64 s[12:13], s18, 9
	s_and_b64 vcc, exec, s[12:13]
	s_cbranch_vccnz .LBB175_919
; %bb.914:
	v_cmp_gt_i16_e64 s[12:13], s18, 9
	s_and_b64 vcc, exec, s[12:13]
	s_cbranch_vccz .LBB175_916
; %bb.915:
	v_cvt_f64_u32_e32 v[4:5], s3
	v_ldexp_f64 v[4:5], v[4:5], 32
	v_cvt_f64_u32_e32 v[6:7], s2
	v_add_f64 v[4:5], v[4:5], v[6:7]
	v_mov_b32_e32 v6, 0
	v_mov_b32_e32 v7, v6
	global_store_dwordx4 v[2:3], v[4:7], off
	s_mov_b64 s[10:11], 0
.LBB175_916:
	s_andn2_b64 vcc, exec, s[10:11]
	s_cbranch_vccnz .LBB175_918
; %bb.917:
	s_flbit_i32_b32 s10, s3
	s_min_u32 s12, s10, 32
	s_lshl_b64 s[10:11], s[2:3], s12
	s_min_u32 s10, s10, 1
	s_or_b32 s10, s11, s10
	v_cvt_f32_u32_e32 v1, s10
	s_sub_i32 s10, 32, s12
	v_mov_b32_e32 v5, 0
	v_ldexp_f32 v4, v1, s10
	global_store_dwordx2 v[2:3], v[4:5], off
.LBB175_918:
	s_mov_b64 s[10:11], 0
.LBB175_919:
	s_andn2_b64 vcc, exec, s[10:11]
	s_cbranch_vccnz .LBB175_921
; %bb.920:
	s_flbit_i32_b32 s10, s3
	s_min_u32 s12, s10, 32
	s_lshl_b64 s[10:11], s[2:3], s12
	s_min_u32 s10, s10, 1
	s_or_b32 s10, s11, s10
	v_cvt_f32_u32_e32 v1, s10
	s_sub_i32 s10, 32, s12
	v_ldexp_f32 v1, v1, s10
	v_cvt_f16_f32_e32 v1, v1
	global_store_dword v[2:3], v1, off
.LBB175_921:
	s_mov_b64 s[10:11], 0
.LBB175_922:
	s_andn2_b64 vcc, exec, s[10:11]
	s_cbranch_vccnz .LBB175_931
; %bb.923:
	v_cmp_lt_i16_e64 s[12:13], s18, 6
	s_mov_b64 s[10:11], -1
	s_and_b64 vcc, exec, s[12:13]
	s_cbranch_vccnz .LBB175_929
; %bb.924:
	v_cmp_gt_i16_e64 s[12:13], s18, 6
	s_and_b64 vcc, exec, s[12:13]
	s_cbranch_vccz .LBB175_926
; %bb.925:
	v_cvt_f64_u32_e32 v[4:5], s3
	v_ldexp_f64 v[4:5], v[4:5], 32
	v_cvt_f64_u32_e32 v[6:7], s2
	v_add_f64 v[4:5], v[4:5], v[6:7]
	global_store_dwordx2 v[2:3], v[4:5], off
	s_mov_b64 s[10:11], 0
.LBB175_926:
	s_andn2_b64 vcc, exec, s[10:11]
	s_cbranch_vccnz .LBB175_928
; %bb.927:
	s_flbit_i32_b32 s10, s3
	s_min_u32 s12, s10, 32
	s_lshl_b64 s[10:11], s[2:3], s12
	s_min_u32 s10, s10, 1
	s_or_b32 s10, s11, s10
	v_cvt_f32_u32_e32 v1, s10
	s_sub_i32 s10, 32, s12
	v_ldexp_f32 v1, v1, s10
	global_store_dword v[2:3], v1, off
.LBB175_928:
	s_mov_b64 s[10:11], 0
.LBB175_929:
	s_andn2_b64 vcc, exec, s[10:11]
	s_cbranch_vccnz .LBB175_931
; %bb.930:
	s_flbit_i32_b32 s10, s3
	s_min_u32 s12, s10, 32
	s_lshl_b64 s[10:11], s[2:3], s12
	s_min_u32 s10, s10, 1
	s_or_b32 s10, s11, s10
	v_cvt_f32_u32_e32 v1, s10
	s_sub_i32 s10, 32, s12
	v_ldexp_f32 v1, v1, s10
	v_cvt_f16_f32_e32 v1, v1
	global_store_short v[2:3], v1, off
.LBB175_931:
	s_mov_b64 s[10:11], 0
.LBB175_932:
	s_andn2_b64 vcc, exec, s[10:11]
	s_cbranch_vccnz .LBB175_948
; %bb.933:
	v_cmp_lt_i16_e64 s[12:13], s18, 2
	s_mov_b64 s[10:11], -1
	s_and_b64 vcc, exec, s[12:13]
	s_cbranch_vccnz .LBB175_943
; %bb.934:
	v_cmp_lt_i16_e64 s[12:13], s18, 3
	s_and_b64 vcc, exec, s[12:13]
	s_cbranch_vccnz .LBB175_940
; %bb.935:
	v_cmp_gt_i16_e64 s[12:13], s18, 3
	s_and_b64 vcc, exec, s[12:13]
	s_cbranch_vccz .LBB175_937
; %bb.936:
	v_pk_mov_b32 v[4:5], s[2:3], s[2:3] op_sel:[0,1]
	global_store_dwordx2 v[2:3], v[4:5], off
	s_mov_b64 s[10:11], 0
.LBB175_937:
	s_andn2_b64 vcc, exec, s[10:11]
	s_cbranch_vccnz .LBB175_939
; %bb.938:
	v_mov_b32_e32 v1, s2
	global_store_dword v[2:3], v1, off
.LBB175_939:
	s_mov_b64 s[10:11], 0
.LBB175_940:
	s_andn2_b64 vcc, exec, s[10:11]
	s_cbranch_vccnz .LBB175_942
; %bb.941:
	v_mov_b32_e32 v1, s2
	global_store_short v[2:3], v1, off
.LBB175_942:
	s_mov_b64 s[10:11], 0
.LBB175_943:
	s_andn2_b64 vcc, exec, s[10:11]
	s_cbranch_vccnz .LBB175_948
; %bb.944:
	v_cmp_gt_i16_e64 s[12:13], s18, 0
	s_mov_b64 s[10:11], -1
	s_and_b64 vcc, exec, s[12:13]
	s_cbranch_vccz .LBB175_946
; %bb.945:
	v_mov_b32_e32 v1, s2
	global_store_byte v[2:3], v1, off
	s_mov_b64 s[10:11], 0
.LBB175_946:
	s_andn2_b64 vcc, exec, s[10:11]
	s_cbranch_vccnz .LBB175_948
; %bb.947:
	v_mov_b32_e32 v1, s2
	global_store_byte v[2:3], v1, off
.LBB175_948:
	s_branch .LBB175_781
.LBB175_949:
	s_mov_b64 s[0:1], 0
	s_mov_b64 s[8:9], 0
                                        ; implicit-def: $sgpr18
                                        ; implicit-def: $vgpr0_vgpr1
.LBB175_950:
	s_andn2_b64 s[6:7], s[6:7], exec
	s_and_b64 s[4:5], s[4:5], exec
	s_and_b64 s[0:1], s[0:1], exec
	;; [unrolled: 1-line block ×3, first 2 shown]
	s_or_b64 s[6:7], s[6:7], s[4:5]
.LBB175_951:
	s_or_b64 exec, exec, s[24:25]
	s_and_saveexec_b64 s[4:5], s[6:7]
	s_cbranch_execz .LBB175_954
; %bb.952:
	; divergent unreachable
	s_or_b64 exec, exec, s[4:5]
	s_and_saveexec_b64 s[4:5], s[34:35]
	s_xor_b64 s[4:5], exec, s[4:5]
	s_cbranch_execnz .LBB175_955
.LBB175_953:
	s_or_b64 exec, exec, s[4:5]
	s_and_saveexec_b64 s[4:5], s[0:1]
	s_cbranch_execnz .LBB175_956
	s_branch .LBB175_993
.LBB175_954:
	s_or_b64 exec, exec, s[4:5]
	s_and_saveexec_b64 s[4:5], s[34:35]
	s_xor_b64 s[4:5], exec, s[4:5]
	s_cbranch_execz .LBB175_953
.LBB175_955:
	s_cmp_lg_u64 s[2:3], 0
	s_cselect_b64 s[6:7], -1, 0
	v_cndmask_b32_e64 v2, 0, 1, s[6:7]
	global_store_byte v[0:1], v2, off
	s_or_b64 exec, exec, s[4:5]
	s_and_saveexec_b64 s[4:5], s[0:1]
	s_cbranch_execz .LBB175_993
.LBB175_956:
	v_cmp_lt_i16_e64 s[4:5], s18, 5
	s_mov_b64 s[0:1], -1
	s_and_b64 vcc, exec, s[4:5]
	s_cbranch_vccnz .LBB175_977
; %bb.957:
	v_cmp_lt_i16_e64 s[4:5], s18, 8
	s_and_b64 vcc, exec, s[4:5]
	s_cbranch_vccnz .LBB175_967
; %bb.958:
	v_cmp_lt_i16_e64 s[4:5], s18, 9
	s_and_b64 vcc, exec, s[4:5]
	s_cbranch_vccnz .LBB175_964
; %bb.959:
	v_cmp_gt_i16_e64 s[4:5], s18, 9
	s_and_b64 vcc, exec, s[4:5]
	s_cbranch_vccz .LBB175_961
; %bb.960:
	v_cvt_f64_u32_e32 v[2:3], s3
	v_ldexp_f64 v[2:3], v[2:3], 32
	v_cvt_f64_u32_e32 v[4:5], s2
	v_add_f64 v[2:3], v[2:3], v[4:5]
	v_mov_b32_e32 v4, 0
	v_mov_b32_e32 v5, v4
	global_store_dwordx4 v[0:1], v[2:5], off
	s_mov_b64 s[0:1], 0
.LBB175_961:
	s_andn2_b64 vcc, exec, s[0:1]
	s_cbranch_vccnz .LBB175_963
; %bb.962:
	s_flbit_i32_b32 s0, s3
	s_min_u32 s4, s0, 32
	s_lshl_b64 s[0:1], s[2:3], s4
	s_min_u32 s0, s0, 1
	s_or_b32 s0, s1, s0
	v_cvt_f32_u32_e32 v2, s0
	s_sub_i32 s0, 32, s4
	v_mov_b32_e32 v3, 0
	v_ldexp_f32 v2, v2, s0
	global_store_dwordx2 v[0:1], v[2:3], off
.LBB175_963:
	s_mov_b64 s[0:1], 0
.LBB175_964:
	s_andn2_b64 vcc, exec, s[0:1]
	s_cbranch_vccnz .LBB175_966
; %bb.965:
	s_flbit_i32_b32 s0, s3
	s_min_u32 s4, s0, 32
	s_lshl_b64 s[0:1], s[2:3], s4
	s_min_u32 s0, s0, 1
	s_or_b32 s0, s1, s0
	v_cvt_f32_u32_e32 v2, s0
	s_sub_i32 s0, 32, s4
	v_ldexp_f32 v2, v2, s0
	v_cvt_f16_f32_e32 v2, v2
	global_store_dword v[0:1], v2, off
.LBB175_966:
	s_mov_b64 s[0:1], 0
.LBB175_967:
	s_andn2_b64 vcc, exec, s[0:1]
	s_cbranch_vccnz .LBB175_976
; %bb.968:
	v_cmp_lt_i16_e64 s[4:5], s18, 6
	s_mov_b64 s[0:1], -1
	s_and_b64 vcc, exec, s[4:5]
	s_cbranch_vccnz .LBB175_974
; %bb.969:
	v_cmp_gt_i16_e64 s[4:5], s18, 6
	s_and_b64 vcc, exec, s[4:5]
	s_cbranch_vccz .LBB175_971
; %bb.970:
	v_cvt_f64_u32_e32 v[2:3], s3
	v_ldexp_f64 v[2:3], v[2:3], 32
	v_cvt_f64_u32_e32 v[4:5], s2
	v_add_f64 v[2:3], v[2:3], v[4:5]
	global_store_dwordx2 v[0:1], v[2:3], off
	s_mov_b64 s[0:1], 0
.LBB175_971:
	s_andn2_b64 vcc, exec, s[0:1]
	s_cbranch_vccnz .LBB175_973
; %bb.972:
	s_flbit_i32_b32 s0, s3
	s_min_u32 s4, s0, 32
	s_lshl_b64 s[0:1], s[2:3], s4
	s_min_u32 s0, s0, 1
	s_or_b32 s0, s1, s0
	v_cvt_f32_u32_e32 v2, s0
	s_sub_i32 s0, 32, s4
	v_ldexp_f32 v2, v2, s0
	global_store_dword v[0:1], v2, off
.LBB175_973:
	s_mov_b64 s[0:1], 0
.LBB175_974:
	s_andn2_b64 vcc, exec, s[0:1]
	s_cbranch_vccnz .LBB175_976
; %bb.975:
	s_flbit_i32_b32 s0, s3
	s_min_u32 s4, s0, 32
	s_lshl_b64 s[0:1], s[2:3], s4
	s_min_u32 s0, s0, 1
	s_or_b32 s0, s1, s0
	v_cvt_f32_u32_e32 v2, s0
	s_sub_i32 s0, 32, s4
	v_ldexp_f32 v2, v2, s0
	v_cvt_f16_f32_e32 v2, v2
	global_store_short v[0:1], v2, off
.LBB175_976:
	s_mov_b64 s[0:1], 0
.LBB175_977:
	s_andn2_b64 vcc, exec, s[0:1]
	s_cbranch_vccnz .LBB175_993
; %bb.978:
	v_cmp_lt_i16_e64 s[4:5], s18, 2
	s_mov_b64 s[0:1], -1
	s_and_b64 vcc, exec, s[4:5]
	s_cbranch_vccnz .LBB175_988
; %bb.979:
	v_cmp_lt_i16_e64 s[4:5], s18, 3
	s_and_b64 vcc, exec, s[4:5]
	s_cbranch_vccnz .LBB175_985
; %bb.980:
	v_cmp_gt_i16_e64 s[4:5], s18, 3
	s_and_b64 vcc, exec, s[4:5]
	s_cbranch_vccz .LBB175_982
; %bb.981:
	v_pk_mov_b32 v[2:3], s[2:3], s[2:3] op_sel:[0,1]
	global_store_dwordx2 v[0:1], v[2:3], off
	s_mov_b64 s[0:1], 0
.LBB175_982:
	s_andn2_b64 vcc, exec, s[0:1]
	s_cbranch_vccnz .LBB175_984
; %bb.983:
	v_mov_b32_e32 v2, s2
	global_store_dword v[0:1], v2, off
.LBB175_984:
	s_mov_b64 s[0:1], 0
.LBB175_985:
	s_andn2_b64 vcc, exec, s[0:1]
	s_cbranch_vccnz .LBB175_987
; %bb.986:
	v_mov_b32_e32 v2, s2
	global_store_short v[0:1], v2, off
.LBB175_987:
	s_mov_b64 s[0:1], 0
.LBB175_988:
	s_andn2_b64 vcc, exec, s[0:1]
	s_cbranch_vccnz .LBB175_993
; %bb.989:
	v_cmp_gt_i16_e64 s[4:5], s18, 0
	s_mov_b64 s[0:1], -1
	s_and_b64 vcc, exec, s[4:5]
	s_cbranch_vccz .LBB175_991
; %bb.990:
	v_mov_b32_e32 v2, s2
	global_store_byte v[0:1], v2, off
	s_mov_b64 s[0:1], 0
.LBB175_991:
	s_andn2_b64 vcc, exec, s[0:1]
	s_cbranch_vccnz .LBB175_993
; %bb.992:
	v_mov_b32_e32 v2, s2
	global_store_byte v[0:1], v2, off
	s_endpgm
.LBB175_993:
	s_endpgm
.LBB175_994:
	s_trap 2
	s_or_b64 s[4:5], s[4:5], exec
	s_cbranch_execz .LBB175_909
	s_branch .LBB175_910
.LBB175_995:
	s_mov_b64 s[10:11], -1
	s_mov_b64 s[8:9], 0
                                        ; implicit-def: $sgpr12
.LBB175_996:
	s_andn2_b64 vcc, exec, s[10:11]
	v_mov_b32_e32 v3, s12
                                        ; implicit-def: $sgpr10
	s_cbranch_vccnz .LBB175_998
; %bb.997:
	v_add_f32_e32 v2, 0x42800000, v2
	v_and_b32_e32 v3, 0xff, v2
	s_mov_b32 s10, 0
	v_cmp_ne_u32_e64 s[8:9], 0, v3
.LBB175_998:
	s_andn2_b64 vcc, exec, s[8:9]
	v_mov_b32_e32 v4, s10
	s_cbranch_vccnz .LBB175_1000
; %bb.999:
	v_mov_b32_e32 v4, v3
.LBB175_1000:
	s_mov_b64 s[8:9], 0
	global_store_byte v[0:1], v4, off
.LBB175_1001:
	s_and_b64 vcc, exec, s[8:9]
	s_cbranch_vccz .LBB175_1013
; %bb.1002:
	s_flbit_i32_b32 s8, s3
	s_min_u32 s10, s8, 32
	s_lshl_b64 s[8:9], s[2:3], s10
	s_min_u32 s8, s8, 1
	s_or_b32 s8, s9, s8
	v_cvt_f32_u32_e32 v2, s8
	s_sub_i32 s8, 32, s10
	v_ldexp_f32 v2, v2, s8
	s_mov_b32 s8, 0x43f00000
	v_cmp_gt_u32_e32 vcc, s8, v2
	v_readfirstlane_b32 s10, v2
	s_cbranch_vccz .LBB175_1005
; %bb.1003:
	s_cmp_gt_u32 s10, 0x3c7fffff
	s_cbranch_scc0 .LBB175_1006
; %bb.1004:
	s_bfe_u32 s8, s10, 0x10014
	s_add_i32 s8, s10, s8
	s_add_i32 s8, s8, 0x407ffff
	s_lshr_b32 s9, s8, 20
	s_and_b32 s8, s8, 0xff00000
	s_cmp_lg_u32 s8, 0x7f00000
	s_cselect_b32 s11, s9, 0x7e
	s_mov_b64 s[8:9], 0
	s_branch .LBB175_1007
.LBB175_1005:
	s_mov_b64 s[8:9], -1
                                        ; implicit-def: $vgpr3
	s_branch .LBB175_1010
.LBB175_1006:
	s_mov_b64 s[8:9], -1
                                        ; implicit-def: $sgpr11
.LBB175_1007:
	s_andn2_b64 vcc, exec, s[8:9]
	v_mov_b32_e32 v3, s11
	s_cbranch_vccnz .LBB175_1009
; %bb.1008:
	v_add_f32_e32 v3, 0x46800000, v2
.LBB175_1009:
	s_mov_b64 s[8:9], 0
.LBB175_1010:
	s_andn2_b64 vcc, exec, s[8:9]
	s_cbranch_vccnz .LBB175_1012
; %bb.1011:
	s_cmp_gt_u32 s10, 0x7f800000
	s_movk_i32 s8, 0x7f
	s_cselect_b32 s8, s8, 0x7e
	v_mov_b32_e32 v3, s8
.LBB175_1012:
	global_store_byte v[0:1], v3, off
.LBB175_1013:
	s_mov_b64 s[8:9], 0
.LBB175_1014:
	s_andn2_b64 vcc, exec, s[8:9]
	s_cbranch_vccnz .LBB175_1026
; %bb.1015:
	s_flbit_i32_b32 s8, s3
	s_min_u32 s10, s8, 32
	s_lshl_b64 s[8:9], s[2:3], s10
	s_min_u32 s8, s8, 1
	s_or_b32 s8, s9, s8
	v_cvt_f32_u32_e32 v2, s8
	s_sub_i32 s8, 32, s10
	v_ldexp_f32 v2, v2, s8
	s_mov_b32 s8, 0x47800000
	v_cmp_gt_u32_e32 vcc, s8, v2
	v_readfirstlane_b32 s10, v2
	s_cbranch_vccz .LBB175_1018
; %bb.1016:
	s_cmp_gt_u32 s10, 0x387fffff
	s_cbranch_scc0 .LBB175_1019
; %bb.1017:
	s_bfe_u32 s8, s10, 0x10015
	s_add_i32 s8, s10, s8
	s_add_i32 s8, s8, 0x80fffff
	s_lshr_b32 s11, s8, 21
	s_mov_b64 s[8:9], 0
	s_branch .LBB175_1020
.LBB175_1018:
	s_mov_b64 s[8:9], -1
                                        ; implicit-def: $vgpr3
	s_branch .LBB175_1023
.LBB175_1019:
	s_mov_b64 s[8:9], -1
                                        ; implicit-def: $sgpr11
.LBB175_1020:
	s_andn2_b64 vcc, exec, s[8:9]
	v_mov_b32_e32 v3, s11
	s_cbranch_vccnz .LBB175_1022
; %bb.1021:
	v_add_f32_e32 v3, 0x43000000, v2
.LBB175_1022:
	s_mov_b64 s[8:9], 0
.LBB175_1023:
	s_andn2_b64 vcc, exec, s[8:9]
	s_cbranch_vccnz .LBB175_1025
; %bb.1024:
	s_cmp_gt_u32 s10, 0x7f800000
	s_movk_i32 s8, 0x7f
	s_cselect_b32 s8, s8, 0x7c
	v_mov_b32_e32 v3, s8
.LBB175_1025:
	global_store_byte v[0:1], v3, off
.LBB175_1026:
	s_mov_b64 s[8:9], 0
.LBB175_1027:
	s_andn2_b64 vcc, exec, s[8:9]
	s_mov_b64 s[8:9], 0
	s_cbranch_vccnz .LBB175_1034
; %bb.1028:
	v_cmp_gt_i16_e64 s[8:9], s18, 14
	s_mov_b64 s[10:11], -1
	s_and_b64 vcc, exec, s[8:9]
	s_cbranch_vccz .LBB175_1032
; %bb.1029:
	v_cmp_eq_u16_e64 s[8:9], s18, 15
	s_mov_b64 s[0:1], -1
	s_and_b64 vcc, exec, s[8:9]
	s_cbranch_vccz .LBB175_1031
; %bb.1030:
	s_flbit_i32_b32 s0, s3
	s_min_u32 s8, s0, 32
	s_lshl_b64 s[0:1], s[2:3], s8
	s_min_u32 s0, s0, 1
	s_or_b32 s0, s1, s0
	v_cvt_f32_u32_e32 v2, s0
	s_sub_i32 s0, 32, s8
	v_ldexp_f32 v2, v2, s0
	v_bfe_u32 v3, v2, 16, 1
	v_add_u32_e32 v2, v2, v3
	v_add_u32_e32 v2, 0x7fff, v2
	global_store_short_d16_hi v[0:1], v2, off
	s_mov_b64 s[0:1], 0
.LBB175_1031:
	s_mov_b64 s[10:11], 0
.LBB175_1032:
	s_mov_b64 s[8:9], 0
	s_and_b64 vcc, exec, s[10:11]
	s_cbranch_vccz .LBB175_1034
; %bb.1033:
	v_cmp_ne_u16_e64 s[0:1], s18, 11
	s_mov_b64 s[8:9], -1
.LBB175_1034:
	s_and_b64 vcc, exec, s[0:1]
	s_cbranch_vccnz .LBB175_1036
.LBB175_1035:
	s_mov_b64 s[0:1], 0
	s_branch .LBB175_950
.LBB175_1036:
	s_mov_b64 s[8:9], 0
	s_or_b64 s[4:5], s[4:5], exec
	s_trap 2
	s_branch .LBB175_1035
	.section	.rodata,"a",@progbits
	.p2align	6, 0x0
	.amdhsa_kernel _ZN2at6native32elementwise_kernel_manual_unrollILi128ELi4EZNS0_15gpu_kernel_implINS0_11FillFunctorImEEEEvRNS_18TensorIteratorBaseERKT_EUlibE0_EEviT1_
		.amdhsa_group_segment_fixed_size 0
		.amdhsa_private_segment_fixed_size 0
		.amdhsa_kernarg_size 296
		.amdhsa_user_sgpr_count 6
		.amdhsa_user_sgpr_private_segment_buffer 1
		.amdhsa_user_sgpr_dispatch_ptr 0
		.amdhsa_user_sgpr_queue_ptr 0
		.amdhsa_user_sgpr_kernarg_segment_ptr 1
		.amdhsa_user_sgpr_dispatch_id 0
		.amdhsa_user_sgpr_flat_scratch_init 0
		.amdhsa_user_sgpr_kernarg_preload_length 0
		.amdhsa_user_sgpr_kernarg_preload_offset 0
		.amdhsa_user_sgpr_private_segment_size 0
		.amdhsa_uses_dynamic_stack 0
		.amdhsa_system_sgpr_private_segment_wavefront_offset 0
		.amdhsa_system_sgpr_workgroup_id_x 1
		.amdhsa_system_sgpr_workgroup_id_y 0
		.amdhsa_system_sgpr_workgroup_id_z 0
		.amdhsa_system_sgpr_workgroup_info 0
		.amdhsa_system_vgpr_workitem_id 0
		.amdhsa_next_free_vgpr 24
		.amdhsa_next_free_sgpr 87
		.amdhsa_accum_offset 24
		.amdhsa_reserve_vcc 1
		.amdhsa_reserve_flat_scratch 0
		.amdhsa_float_round_mode_32 0
		.amdhsa_float_round_mode_16_64 0
		.amdhsa_float_denorm_mode_32 3
		.amdhsa_float_denorm_mode_16_64 3
		.amdhsa_dx10_clamp 1
		.amdhsa_ieee_mode 1
		.amdhsa_fp16_overflow 0
		.amdhsa_tg_split 0
		.amdhsa_exception_fp_ieee_invalid_op 0
		.amdhsa_exception_fp_denorm_src 0
		.amdhsa_exception_fp_ieee_div_zero 0
		.amdhsa_exception_fp_ieee_overflow 0
		.amdhsa_exception_fp_ieee_underflow 0
		.amdhsa_exception_fp_ieee_inexact 0
		.amdhsa_exception_int_div_zero 0
	.end_amdhsa_kernel
	.section	.text._ZN2at6native32elementwise_kernel_manual_unrollILi128ELi4EZNS0_15gpu_kernel_implINS0_11FillFunctorImEEEEvRNS_18TensorIteratorBaseERKT_EUlibE0_EEviT1_,"axG",@progbits,_ZN2at6native32elementwise_kernel_manual_unrollILi128ELi4EZNS0_15gpu_kernel_implINS0_11FillFunctorImEEEEvRNS_18TensorIteratorBaseERKT_EUlibE0_EEviT1_,comdat
.Lfunc_end175:
	.size	_ZN2at6native32elementwise_kernel_manual_unrollILi128ELi4EZNS0_15gpu_kernel_implINS0_11FillFunctorImEEEEvRNS_18TensorIteratorBaseERKT_EUlibE0_EEviT1_, .Lfunc_end175-_ZN2at6native32elementwise_kernel_manual_unrollILi128ELi4EZNS0_15gpu_kernel_implINS0_11FillFunctorImEEEEvRNS_18TensorIteratorBaseERKT_EUlibE0_EEviT1_
                                        ; -- End function
	.section	.AMDGPU.csdata,"",@progbits
; Kernel info:
; codeLenInByte = 19544
; NumSgprs: 91
; NumVgprs: 24
; NumAgprs: 0
; TotalNumVgprs: 24
; ScratchSize: 0
; MemoryBound: 0
; FloatMode: 240
; IeeeMode: 1
; LDSByteSize: 0 bytes/workgroup (compile time only)
; SGPRBlocks: 11
; VGPRBlocks: 2
; NumSGPRsForWavesPerEU: 91
; NumVGPRsForWavesPerEU: 24
; AccumOffset: 24
; Occupancy: 8
; WaveLimiterHint : 1
; COMPUTE_PGM_RSRC2:SCRATCH_EN: 0
; COMPUTE_PGM_RSRC2:USER_SGPR: 6
; COMPUTE_PGM_RSRC2:TRAP_HANDLER: 0
; COMPUTE_PGM_RSRC2:TGID_X_EN: 1
; COMPUTE_PGM_RSRC2:TGID_Y_EN: 0
; COMPUTE_PGM_RSRC2:TGID_Z_EN: 0
; COMPUTE_PGM_RSRC2:TIDIG_COMP_CNT: 0
; COMPUTE_PGM_RSRC3_GFX90A:ACCUM_OFFSET: 5
; COMPUTE_PGM_RSRC3_GFX90A:TG_SPLIT: 0
	.text
	.p2alignl 6, 3212836864
	.fill 256, 4, 3212836864
	.type	__hip_cuid_8bc99d3c56d0e93f,@object ; @__hip_cuid_8bc99d3c56d0e93f
	.section	.bss,"aw",@nobits
	.globl	__hip_cuid_8bc99d3c56d0e93f
__hip_cuid_8bc99d3c56d0e93f:
	.byte	0                               ; 0x0
	.size	__hip_cuid_8bc99d3c56d0e93f, 1

	.ident	"AMD clang version 19.0.0git (https://github.com/RadeonOpenCompute/llvm-project roc-6.4.0 25133 c7fe45cf4b819c5991fe208aaa96edf142730f1d)"
	.section	".note.GNU-stack","",@progbits
	.addrsig
	.addrsig_sym __hip_cuid_8bc99d3c56d0e93f
	.amdgpu_metadata
---
amdhsa.kernels:
  - .agpr_count:     0
    .args:
      - .offset:         0
        .size:           4
        .value_kind:     by_value
      - .offset:         4
        .size:           1
        .value_kind:     by_value
      - .address_space:  global
        .offset:         8
        .size:           8
        .value_kind:     global_buffer
    .group_segment_fixed_size: 0
    .kernarg_segment_align: 8
    .kernarg_segment_size: 16
    .language:       OpenCL C
    .language_version:
      - 2
      - 0
    .max_flat_workgroup_size: 256
    .name:           _ZN2at6native29vectorized_elementwise_kernelILi16ENS0_11FillFunctorIhEESt5arrayIPcLm1EEEEviT0_T1_
    .private_segment_fixed_size: 0
    .sgpr_count:     16
    .sgpr_spill_count: 0
    .symbol:         _ZN2at6native29vectorized_elementwise_kernelILi16ENS0_11FillFunctorIhEESt5arrayIPcLm1EEEEviT0_T1_.kd
    .uniform_work_group_size: 1
    .uses_dynamic_stack: false
    .vgpr_count:     14
    .vgpr_spill_count: 0
    .wavefront_size: 64
  - .agpr_count:     0
    .args:
      - .offset:         0
        .size:           4
        .value_kind:     by_value
      - .offset:         4
        .size:           1
        .value_kind:     by_value
      - .address_space:  global
        .offset:         8
        .size:           8
        .value_kind:     global_buffer
    .group_segment_fixed_size: 0
    .kernarg_segment_align: 8
    .kernarg_segment_size: 16
    .language:       OpenCL C
    .language_version:
      - 2
      - 0
    .max_flat_workgroup_size: 256
    .name:           _ZN2at6native29vectorized_elementwise_kernelILi8ENS0_11FillFunctorIhEESt5arrayIPcLm1EEEEviT0_T1_
    .private_segment_fixed_size: 0
    .sgpr_count:     16
    .sgpr_spill_count: 0
    .symbol:         _ZN2at6native29vectorized_elementwise_kernelILi8ENS0_11FillFunctorIhEESt5arrayIPcLm1EEEEviT0_T1_.kd
    .uniform_work_group_size: 1
    .uses_dynamic_stack: false
    .vgpr_count:     14
    .vgpr_spill_count: 0
    .wavefront_size: 64
  - .agpr_count:     0
    .args:
      - .offset:         0
        .size:           4
        .value_kind:     by_value
      - .offset:         4
        .size:           1
        .value_kind:     by_value
      - .address_space:  global
        .offset:         8
        .size:           8
        .value_kind:     global_buffer
    .group_segment_fixed_size: 0
    .kernarg_segment_align: 8
    .kernarg_segment_size: 16
    .language:       OpenCL C
    .language_version:
      - 2
      - 0
    .max_flat_workgroup_size: 256
    .name:           _ZN2at6native29vectorized_elementwise_kernelILi4ENS0_11FillFunctorIhEESt5arrayIPcLm1EEEEviT0_T1_
    .private_segment_fixed_size: 0
    .sgpr_count:     16
    .sgpr_spill_count: 0
    .symbol:         _ZN2at6native29vectorized_elementwise_kernelILi4ENS0_11FillFunctorIhEESt5arrayIPcLm1EEEEviT0_T1_.kd
    .uniform_work_group_size: 1
    .uses_dynamic_stack: false
    .vgpr_count:     14
    .vgpr_spill_count: 0
    .wavefront_size: 64
  - .agpr_count:     0
    .args:
      - .offset:         0
        .size:           4
        .value_kind:     by_value
      - .offset:         4
        .size:           1
        .value_kind:     by_value
      - .address_space:  global
        .offset:         8
        .size:           8
        .value_kind:     global_buffer
    .group_segment_fixed_size: 0
    .kernarg_segment_align: 8
    .kernarg_segment_size: 16
    .language:       OpenCL C
    .language_version:
      - 2
      - 0
    .max_flat_workgroup_size: 256
    .name:           _ZN2at6native29vectorized_elementwise_kernelILi2ENS0_11FillFunctorIhEESt5arrayIPcLm1EEEEviT0_T1_
    .private_segment_fixed_size: 0
    .sgpr_count:     16
    .sgpr_spill_count: 0
    .symbol:         _ZN2at6native29vectorized_elementwise_kernelILi2ENS0_11FillFunctorIhEESt5arrayIPcLm1EEEEviT0_T1_.kd
    .uniform_work_group_size: 1
    .uses_dynamic_stack: false
    .vgpr_count:     14
    .vgpr_spill_count: 0
    .wavefront_size: 64
  - .agpr_count:     0
    .args:
      - .offset:         0
        .size:           4
        .value_kind:     by_value
      - .offset:         4
        .size:           1
        .value_kind:     by_value
      - .address_space:  global
        .offset:         8
        .size:           8
        .value_kind:     global_buffer
      - .offset:         16
        .size:           1
        .value_kind:     by_value
      - .offset:         17
        .size:           1
        .value_kind:     by_value
      - .offset:         18
        .size:           1
        .value_kind:     by_value
      - .offset:         19
        .size:           1
        .value_kind:     by_value
    .group_segment_fixed_size: 0
    .kernarg_segment_align: 8
    .kernarg_segment_size: 20
    .language:       OpenCL C
    .language_version:
      - 2
      - 0
    .max_flat_workgroup_size: 256
    .name:           _ZN2at6native27unrolled_elementwise_kernelINS0_11FillFunctorIhEESt5arrayIPcLm1EELi4E23TrivialOffsetCalculatorILi0EjES7_ILi1EjENS0_6memory15LoadWithoutCastENSA_16StoreWithoutCastEEEviT_T0_T2_T3_T4_T5_
    .private_segment_fixed_size: 0
    .sgpr_count:     16
    .sgpr_spill_count: 0
    .symbol:         _ZN2at6native27unrolled_elementwise_kernelINS0_11FillFunctorIhEESt5arrayIPcLm1EELi4E23TrivialOffsetCalculatorILi0EjES7_ILi1EjENS0_6memory15LoadWithoutCastENSA_16StoreWithoutCastEEEviT_T0_T2_T3_T4_T5_.kd
    .uniform_work_group_size: 1
    .uses_dynamic_stack: false
    .vgpr_count:     6
    .vgpr_spill_count: 0
    .wavefront_size: 64
  - .agpr_count:     0
    .args:
      - .offset:         0
        .size:           4
        .value_kind:     by_value
      - .offset:         8
        .size:           280
        .value_kind:     by_value
    .group_segment_fixed_size: 0
    .kernarg_segment_align: 8
    .kernarg_segment_size: 288
    .language:       OpenCL C
    .language_version:
      - 2
      - 0
    .max_flat_workgroup_size: 128
    .name:           _ZN2at6native32elementwise_kernel_manual_unrollILi128ELi8EZNS0_22gpu_kernel_impl_nocastINS0_11FillFunctorIhEEEEvRNS_18TensorIteratorBaseERKT_EUlibE_EEviT1_
    .private_segment_fixed_size: 0
    .sgpr_count:     57
    .sgpr_spill_count: 0
    .symbol:         _ZN2at6native32elementwise_kernel_manual_unrollILi128ELi8EZNS0_22gpu_kernel_impl_nocastINS0_11FillFunctorIhEEEEvRNS_18TensorIteratorBaseERKT_EUlibE_EEviT1_.kd
    .uniform_work_group_size: 1
    .uses_dynamic_stack: false
    .vgpr_count:     17
    .vgpr_spill_count: 0
    .wavefront_size: 64
  - .agpr_count:     0
    .args:
      - .offset:         0
        .size:           4
        .value_kind:     by_value
      - .offset:         8
        .size:           16
        .value_kind:     by_value
    .group_segment_fixed_size: 0
    .kernarg_segment_align: 8
    .kernarg_segment_size: 24
    .language:       OpenCL C
    .language_version:
      - 2
      - 0
    .max_flat_workgroup_size: 128
    .name:           _ZN2at6native32elementwise_kernel_manual_unrollILi128ELi4EZNS0_15gpu_kernel_implINS0_11FillFunctorIhEEEEvRNS_18TensorIteratorBaseERKT_EUlibE_EEviT1_
    .private_segment_fixed_size: 0
    .sgpr_count:     58
    .sgpr_spill_count: 0
    .symbol:         _ZN2at6native32elementwise_kernel_manual_unrollILi128ELi4EZNS0_15gpu_kernel_implINS0_11FillFunctorIhEEEEvRNS_18TensorIteratorBaseERKT_EUlibE_EEviT1_.kd
    .uniform_work_group_size: 1
    .uses_dynamic_stack: false
    .vgpr_count:     25
    .vgpr_spill_count: 0
    .wavefront_size: 64
  - .agpr_count:     0
    .args:
      - .offset:         0
        .size:           4
        .value_kind:     by_value
      - .offset:         8
        .size:           280
        .value_kind:     by_value
    .group_segment_fixed_size: 0
    .kernarg_segment_align: 8
    .kernarg_segment_size: 288
    .language:       OpenCL C
    .language_version:
      - 2
      - 0
    .max_flat_workgroup_size: 128
    .name:           _ZN2at6native32elementwise_kernel_manual_unrollILi128ELi4EZNS0_15gpu_kernel_implINS0_11FillFunctorIhEEEEvRNS_18TensorIteratorBaseERKT_EUlibE0_EEviT1_
    .private_segment_fixed_size: 0
    .sgpr_count:     91
    .sgpr_spill_count: 0
    .symbol:         _ZN2at6native32elementwise_kernel_manual_unrollILi128ELi4EZNS0_15gpu_kernel_implINS0_11FillFunctorIhEEEEvRNS_18TensorIteratorBaseERKT_EUlibE0_EEviT1_.kd
    .uniform_work_group_size: 1
    .uses_dynamic_stack: false
    .vgpr_count:     26
    .vgpr_spill_count: 0
    .wavefront_size: 64
  - .agpr_count:     0
    .args:
      - .offset:         0
        .size:           4
        .value_kind:     by_value
      - .offset:         4
        .size:           1
        .value_kind:     by_value
      - .address_space:  global
        .offset:         8
        .size:           8
        .value_kind:     global_buffer
    .group_segment_fixed_size: 0
    .kernarg_segment_align: 8
    .kernarg_segment_size: 16
    .language:       OpenCL C
    .language_version:
      - 2
      - 0
    .max_flat_workgroup_size: 256
    .name:           _ZN2at6native29vectorized_elementwise_kernelILi16ENS0_11FillFunctorIaEESt5arrayIPcLm1EEEEviT0_T1_
    .private_segment_fixed_size: 0
    .sgpr_count:     16
    .sgpr_spill_count: 0
    .symbol:         _ZN2at6native29vectorized_elementwise_kernelILi16ENS0_11FillFunctorIaEESt5arrayIPcLm1EEEEviT0_T1_.kd
    .uniform_work_group_size: 1
    .uses_dynamic_stack: false
    .vgpr_count:     14
    .vgpr_spill_count: 0
    .wavefront_size: 64
  - .agpr_count:     0
    .args:
      - .offset:         0
        .size:           4
        .value_kind:     by_value
      - .offset:         4
        .size:           1
        .value_kind:     by_value
      - .address_space:  global
        .offset:         8
        .size:           8
        .value_kind:     global_buffer
    .group_segment_fixed_size: 0
    .kernarg_segment_align: 8
    .kernarg_segment_size: 16
    .language:       OpenCL C
    .language_version:
      - 2
      - 0
    .max_flat_workgroup_size: 256
    .name:           _ZN2at6native29vectorized_elementwise_kernelILi8ENS0_11FillFunctorIaEESt5arrayIPcLm1EEEEviT0_T1_
    .private_segment_fixed_size: 0
    .sgpr_count:     16
    .sgpr_spill_count: 0
    .symbol:         _ZN2at6native29vectorized_elementwise_kernelILi8ENS0_11FillFunctorIaEESt5arrayIPcLm1EEEEviT0_T1_.kd
    .uniform_work_group_size: 1
    .uses_dynamic_stack: false
    .vgpr_count:     14
    .vgpr_spill_count: 0
    .wavefront_size: 64
  - .agpr_count:     0
    .args:
      - .offset:         0
        .size:           4
        .value_kind:     by_value
      - .offset:         4
        .size:           1
        .value_kind:     by_value
      - .address_space:  global
        .offset:         8
        .size:           8
        .value_kind:     global_buffer
    .group_segment_fixed_size: 0
    .kernarg_segment_align: 8
    .kernarg_segment_size: 16
    .language:       OpenCL C
    .language_version:
      - 2
      - 0
    .max_flat_workgroup_size: 256
    .name:           _ZN2at6native29vectorized_elementwise_kernelILi4ENS0_11FillFunctorIaEESt5arrayIPcLm1EEEEviT0_T1_
    .private_segment_fixed_size: 0
    .sgpr_count:     16
    .sgpr_spill_count: 0
    .symbol:         _ZN2at6native29vectorized_elementwise_kernelILi4ENS0_11FillFunctorIaEESt5arrayIPcLm1EEEEviT0_T1_.kd
    .uniform_work_group_size: 1
    .uses_dynamic_stack: false
    .vgpr_count:     14
    .vgpr_spill_count: 0
    .wavefront_size: 64
  - .agpr_count:     0
    .args:
      - .offset:         0
        .size:           4
        .value_kind:     by_value
      - .offset:         4
        .size:           1
        .value_kind:     by_value
      - .address_space:  global
        .offset:         8
        .size:           8
        .value_kind:     global_buffer
    .group_segment_fixed_size: 0
    .kernarg_segment_align: 8
    .kernarg_segment_size: 16
    .language:       OpenCL C
    .language_version:
      - 2
      - 0
    .max_flat_workgroup_size: 256
    .name:           _ZN2at6native29vectorized_elementwise_kernelILi2ENS0_11FillFunctorIaEESt5arrayIPcLm1EEEEviT0_T1_
    .private_segment_fixed_size: 0
    .sgpr_count:     16
    .sgpr_spill_count: 0
    .symbol:         _ZN2at6native29vectorized_elementwise_kernelILi2ENS0_11FillFunctorIaEESt5arrayIPcLm1EEEEviT0_T1_.kd
    .uniform_work_group_size: 1
    .uses_dynamic_stack: false
    .vgpr_count:     14
    .vgpr_spill_count: 0
    .wavefront_size: 64
  - .agpr_count:     0
    .args:
      - .offset:         0
        .size:           4
        .value_kind:     by_value
      - .offset:         4
        .size:           1
        .value_kind:     by_value
      - .address_space:  global
        .offset:         8
        .size:           8
        .value_kind:     global_buffer
      - .offset:         16
        .size:           1
        .value_kind:     by_value
      - .offset:         17
        .size:           1
        .value_kind:     by_value
      - .offset:         18
        .size:           1
        .value_kind:     by_value
      - .offset:         19
        .size:           1
        .value_kind:     by_value
    .group_segment_fixed_size: 0
    .kernarg_segment_align: 8
    .kernarg_segment_size: 20
    .language:       OpenCL C
    .language_version:
      - 2
      - 0
    .max_flat_workgroup_size: 256
    .name:           _ZN2at6native27unrolled_elementwise_kernelINS0_11FillFunctorIaEESt5arrayIPcLm1EELi4E23TrivialOffsetCalculatorILi0EjES7_ILi1EjENS0_6memory15LoadWithoutCastENSA_16StoreWithoutCastEEEviT_T0_T2_T3_T4_T5_
    .private_segment_fixed_size: 0
    .sgpr_count:     16
    .sgpr_spill_count: 0
    .symbol:         _ZN2at6native27unrolled_elementwise_kernelINS0_11FillFunctorIaEESt5arrayIPcLm1EELi4E23TrivialOffsetCalculatorILi0EjES7_ILi1EjENS0_6memory15LoadWithoutCastENSA_16StoreWithoutCastEEEviT_T0_T2_T3_T4_T5_.kd
    .uniform_work_group_size: 1
    .uses_dynamic_stack: false
    .vgpr_count:     6
    .vgpr_spill_count: 0
    .wavefront_size: 64
  - .agpr_count:     0
    .args:
      - .offset:         0
        .size:           4
        .value_kind:     by_value
      - .offset:         8
        .size:           280
        .value_kind:     by_value
    .group_segment_fixed_size: 0
    .kernarg_segment_align: 8
    .kernarg_segment_size: 288
    .language:       OpenCL C
    .language_version:
      - 2
      - 0
    .max_flat_workgroup_size: 128
    .name:           _ZN2at6native32elementwise_kernel_manual_unrollILi128ELi8EZNS0_22gpu_kernel_impl_nocastINS0_11FillFunctorIaEEEEvRNS_18TensorIteratorBaseERKT_EUlibE_EEviT1_
    .private_segment_fixed_size: 0
    .sgpr_count:     57
    .sgpr_spill_count: 0
    .symbol:         _ZN2at6native32elementwise_kernel_manual_unrollILi128ELi8EZNS0_22gpu_kernel_impl_nocastINS0_11FillFunctorIaEEEEvRNS_18TensorIteratorBaseERKT_EUlibE_EEviT1_.kd
    .uniform_work_group_size: 1
    .uses_dynamic_stack: false
    .vgpr_count:     17
    .vgpr_spill_count: 0
    .wavefront_size: 64
  - .agpr_count:     0
    .args:
      - .offset:         0
        .size:           4
        .value_kind:     by_value
      - .offset:         8
        .size:           16
        .value_kind:     by_value
    .group_segment_fixed_size: 0
    .kernarg_segment_align: 8
    .kernarg_segment_size: 24
    .language:       OpenCL C
    .language_version:
      - 2
      - 0
    .max_flat_workgroup_size: 128
    .name:           _ZN2at6native32elementwise_kernel_manual_unrollILi128ELi4EZNS0_15gpu_kernel_implINS0_11FillFunctorIaEEEEvRNS_18TensorIteratorBaseERKT_EUlibE_EEviT1_
    .private_segment_fixed_size: 0
    .sgpr_count:     65
    .sgpr_spill_count: 0
    .symbol:         _ZN2at6native32elementwise_kernel_manual_unrollILi128ELi4EZNS0_15gpu_kernel_implINS0_11FillFunctorIaEEEEvRNS_18TensorIteratorBaseERKT_EUlibE_EEviT1_.kd
    .uniform_work_group_size: 1
    .uses_dynamic_stack: false
    .vgpr_count:     19
    .vgpr_spill_count: 0
    .wavefront_size: 64
  - .agpr_count:     0
    .args:
      - .offset:         0
        .size:           4
        .value_kind:     by_value
      - .offset:         8
        .size:           280
        .value_kind:     by_value
    .group_segment_fixed_size: 0
    .kernarg_segment_align: 8
    .kernarg_segment_size: 288
    .language:       OpenCL C
    .language_version:
      - 2
      - 0
    .max_flat_workgroup_size: 128
    .name:           _ZN2at6native32elementwise_kernel_manual_unrollILi128ELi4EZNS0_15gpu_kernel_implINS0_11FillFunctorIaEEEEvRNS_18TensorIteratorBaseERKT_EUlibE0_EEviT1_
    .private_segment_fixed_size: 0
    .sgpr_count:     100
    .sgpr_spill_count: 0
    .symbol:         _ZN2at6native32elementwise_kernel_manual_unrollILi128ELi4EZNS0_15gpu_kernel_implINS0_11FillFunctorIaEEEEvRNS_18TensorIteratorBaseERKT_EUlibE0_EEviT1_.kd
    .uniform_work_group_size: 1
    .uses_dynamic_stack: false
    .vgpr_count:     18
    .vgpr_spill_count: 0
    .wavefront_size: 64
  - .agpr_count:     0
    .args:
      - .offset:         0
        .size:           4
        .value_kind:     by_value
      - .offset:         4
        .size:           4
        .value_kind:     by_value
      - .address_space:  global
        .offset:         8
        .size:           8
        .value_kind:     global_buffer
    .group_segment_fixed_size: 0
    .kernarg_segment_align: 8
    .kernarg_segment_size: 16
    .language:       OpenCL C
    .language_version:
      - 2
      - 0
    .max_flat_workgroup_size: 256
    .name:           _ZN2at6native29vectorized_elementwise_kernelILi16ENS0_11FillFunctorIiEESt5arrayIPcLm1EEEEviT0_T1_
    .private_segment_fixed_size: 0
    .sgpr_count:     12
    .sgpr_spill_count: 0
    .symbol:         _ZN2at6native29vectorized_elementwise_kernelILi16ENS0_11FillFunctorIiEESt5arrayIPcLm1EEEEviT0_T1_.kd
    .uniform_work_group_size: 1
    .uses_dynamic_stack: false
    .vgpr_count:     6
    .vgpr_spill_count: 0
    .wavefront_size: 64
  - .agpr_count:     0
    .args:
      - .offset:         0
        .size:           4
        .value_kind:     by_value
      - .offset:         4
        .size:           4
        .value_kind:     by_value
      - .address_space:  global
        .offset:         8
        .size:           8
        .value_kind:     global_buffer
    .group_segment_fixed_size: 0
    .kernarg_segment_align: 8
    .kernarg_segment_size: 16
    .language:       OpenCL C
    .language_version:
      - 2
      - 0
    .max_flat_workgroup_size: 256
    .name:           _ZN2at6native29vectorized_elementwise_kernelILi8ENS0_11FillFunctorIiEESt5arrayIPcLm1EEEEviT0_T1_
    .private_segment_fixed_size: 0
    .sgpr_count:     12
    .sgpr_spill_count: 0
    .symbol:         _ZN2at6native29vectorized_elementwise_kernelILi8ENS0_11FillFunctorIiEESt5arrayIPcLm1EEEEviT0_T1_.kd
    .uniform_work_group_size: 1
    .uses_dynamic_stack: false
    .vgpr_count:     6
    .vgpr_spill_count: 0
    .wavefront_size: 64
  - .agpr_count:     0
    .args:
      - .offset:         0
        .size:           4
        .value_kind:     by_value
      - .offset:         4
        .size:           4
        .value_kind:     by_value
      - .address_space:  global
        .offset:         8
        .size:           8
        .value_kind:     global_buffer
    .group_segment_fixed_size: 0
    .kernarg_segment_align: 8
    .kernarg_segment_size: 16
    .language:       OpenCL C
    .language_version:
      - 2
      - 0
    .max_flat_workgroup_size: 256
    .name:           _ZN2at6native29vectorized_elementwise_kernelILi4ENS0_11FillFunctorIiEESt5arrayIPcLm1EEEEviT0_T1_
    .private_segment_fixed_size: 0
    .sgpr_count:     12
    .sgpr_spill_count: 0
    .symbol:         _ZN2at6native29vectorized_elementwise_kernelILi4ENS0_11FillFunctorIiEESt5arrayIPcLm1EEEEviT0_T1_.kd
    .uniform_work_group_size: 1
    .uses_dynamic_stack: false
    .vgpr_count:     6
    .vgpr_spill_count: 0
    .wavefront_size: 64
  - .agpr_count:     0
    .args:
      - .offset:         0
        .size:           4
        .value_kind:     by_value
      - .offset:         4
        .size:           4
        .value_kind:     by_value
      - .address_space:  global
        .offset:         8
        .size:           8
        .value_kind:     global_buffer
    .group_segment_fixed_size: 0
    .kernarg_segment_align: 8
    .kernarg_segment_size: 16
    .language:       OpenCL C
    .language_version:
      - 2
      - 0
    .max_flat_workgroup_size: 256
    .name:           _ZN2at6native29vectorized_elementwise_kernelILi2ENS0_11FillFunctorIiEESt5arrayIPcLm1EEEEviT0_T1_
    .private_segment_fixed_size: 0
    .sgpr_count:     13
    .sgpr_spill_count: 0
    .symbol:         _ZN2at6native29vectorized_elementwise_kernelILi2ENS0_11FillFunctorIiEESt5arrayIPcLm1EEEEviT0_T1_.kd
    .uniform_work_group_size: 1
    .uses_dynamic_stack: false
    .vgpr_count:     4
    .vgpr_spill_count: 0
    .wavefront_size: 64
  - .agpr_count:     0
    .args:
      - .offset:         0
        .size:           4
        .value_kind:     by_value
      - .offset:         4
        .size:           4
        .value_kind:     by_value
      - .address_space:  global
        .offset:         8
        .size:           8
        .value_kind:     global_buffer
      - .offset:         16
        .size:           1
        .value_kind:     by_value
      - .offset:         17
        .size:           1
        .value_kind:     by_value
      - .offset:         18
        .size:           1
        .value_kind:     by_value
      - .offset:         19
        .size:           1
        .value_kind:     by_value
    .group_segment_fixed_size: 0
    .kernarg_segment_align: 8
    .kernarg_segment_size: 20
    .language:       OpenCL C
    .language_version:
      - 2
      - 0
    .max_flat_workgroup_size: 256
    .name:           _ZN2at6native27unrolled_elementwise_kernelINS0_11FillFunctorIiEESt5arrayIPcLm1EELi4E23TrivialOffsetCalculatorILi0EjES7_ILi1EjENS0_6memory15LoadWithoutCastENSA_16StoreWithoutCastEEEviT_T0_T2_T3_T4_T5_
    .private_segment_fixed_size: 0
    .sgpr_count:     11
    .sgpr_spill_count: 0
    .symbol:         _ZN2at6native27unrolled_elementwise_kernelINS0_11FillFunctorIiEESt5arrayIPcLm1EELi4E23TrivialOffsetCalculatorILi0EjES7_ILi1EjENS0_6memory15LoadWithoutCastENSA_16StoreWithoutCastEEEviT_T0_T2_T3_T4_T5_.kd
    .uniform_work_group_size: 1
    .uses_dynamic_stack: false
    .vgpr_count:     5
    .vgpr_spill_count: 0
    .wavefront_size: 64
  - .agpr_count:     0
    .args:
      - .offset:         0
        .size:           4
        .value_kind:     by_value
      - .offset:         8
        .size:           280
        .value_kind:     by_value
    .group_segment_fixed_size: 0
    .kernarg_segment_align: 8
    .kernarg_segment_size: 288
    .language:       OpenCL C
    .language_version:
      - 2
      - 0
    .max_flat_workgroup_size: 128
    .name:           _ZN2at6native32elementwise_kernel_manual_unrollILi128ELi4EZNS0_22gpu_kernel_impl_nocastINS0_11FillFunctorIiEEEEvRNS_18TensorIteratorBaseERKT_EUlibE_EEviT1_
    .private_segment_fixed_size: 0
    .sgpr_count:     57
    .sgpr_spill_count: 0
    .symbol:         _ZN2at6native32elementwise_kernel_manual_unrollILi128ELi4EZNS0_22gpu_kernel_impl_nocastINS0_11FillFunctorIiEEEEvRNS_18TensorIteratorBaseERKT_EUlibE_EEviT1_.kd
    .uniform_work_group_size: 1
    .uses_dynamic_stack: false
    .vgpr_count:     10
    .vgpr_spill_count: 0
    .wavefront_size: 64
  - .agpr_count:     0
    .args:
      - .offset:         0
        .size:           4
        .value_kind:     by_value
      - .offset:         8
        .size:           24
        .value_kind:     by_value
    .group_segment_fixed_size: 0
    .kernarg_segment_align: 8
    .kernarg_segment_size: 32
    .language:       OpenCL C
    .language_version:
      - 2
      - 0
    .max_flat_workgroup_size: 128
    .name:           _ZN2at6native32elementwise_kernel_manual_unrollILi128ELi4EZNS0_15gpu_kernel_implINS0_11FillFunctorIiEEEEvRNS_18TensorIteratorBaseERKT_EUlibE_EEviT1_
    .private_segment_fixed_size: 0
    .sgpr_count:     66
    .sgpr_spill_count: 0
    .symbol:         _ZN2at6native32elementwise_kernel_manual_unrollILi128ELi4EZNS0_15gpu_kernel_implINS0_11FillFunctorIiEEEEvRNS_18TensorIteratorBaseERKT_EUlibE_EEviT1_.kd
    .uniform_work_group_size: 1
    .uses_dynamic_stack: false
    .vgpr_count:     17
    .vgpr_spill_count: 0
    .wavefront_size: 64
  - .agpr_count:     0
    .args:
      - .offset:         0
        .size:           4
        .value_kind:     by_value
      - .offset:         8
        .size:           280
        .value_kind:     by_value
    .group_segment_fixed_size: 0
    .kernarg_segment_align: 8
    .kernarg_segment_size: 288
    .language:       OpenCL C
    .language_version:
      - 2
      - 0
    .max_flat_workgroup_size: 128
    .name:           _ZN2at6native32elementwise_kernel_manual_unrollILi128ELi4EZNS0_15gpu_kernel_implINS0_11FillFunctorIiEEEEvRNS_18TensorIteratorBaseERKT_EUlibE0_EEviT1_
    .private_segment_fixed_size: 0
    .sgpr_count:     100
    .sgpr_spill_count: 0
    .symbol:         _ZN2at6native32elementwise_kernel_manual_unrollILi128ELi4EZNS0_15gpu_kernel_implINS0_11FillFunctorIiEEEEvRNS_18TensorIteratorBaseERKT_EUlibE0_EEviT1_.kd
    .uniform_work_group_size: 1
    .uses_dynamic_stack: false
    .vgpr_count:     17
    .vgpr_spill_count: 0
    .wavefront_size: 64
  - .agpr_count:     0
    .args:
      - .offset:         0
        .size:           4
        .value_kind:     by_value
      - .offset:         8
        .size:           8
        .value_kind:     by_value
      - .address_space:  global
        .offset:         16
        .size:           8
        .value_kind:     global_buffer
    .group_segment_fixed_size: 0
    .kernarg_segment_align: 8
    .kernarg_segment_size: 24
    .language:       OpenCL C
    .language_version:
      - 2
      - 0
    .max_flat_workgroup_size: 256
    .name:           _ZN2at6native29vectorized_elementwise_kernelILi16ENS0_11FillFunctorIlEESt5arrayIPcLm1EEEEviT0_T1_
    .private_segment_fixed_size: 0
    .sgpr_count:     20
    .sgpr_spill_count: 0
    .symbol:         _ZN2at6native29vectorized_elementwise_kernelILi16ENS0_11FillFunctorIlEESt5arrayIPcLm1EEEEviT0_T1_.kd
    .uniform_work_group_size: 1
    .uses_dynamic_stack: false
    .vgpr_count:     6
    .vgpr_spill_count: 0
    .wavefront_size: 64
  - .agpr_count:     0
    .args:
      - .offset:         0
        .size:           4
        .value_kind:     by_value
      - .offset:         8
        .size:           8
        .value_kind:     by_value
      - .address_space:  global
        .offset:         16
        .size:           8
        .value_kind:     global_buffer
    .group_segment_fixed_size: 0
    .kernarg_segment_align: 8
    .kernarg_segment_size: 24
    .language:       OpenCL C
    .language_version:
      - 2
      - 0
    .max_flat_workgroup_size: 256
    .name:           _ZN2at6native29vectorized_elementwise_kernelILi8ENS0_11FillFunctorIlEESt5arrayIPcLm1EEEEviT0_T1_
    .private_segment_fixed_size: 0
    .sgpr_count:     20
    .sgpr_spill_count: 0
    .symbol:         _ZN2at6native29vectorized_elementwise_kernelILi8ENS0_11FillFunctorIlEESt5arrayIPcLm1EEEEviT0_T1_.kd
    .uniform_work_group_size: 1
    .uses_dynamic_stack: false
    .vgpr_count:     6
    .vgpr_spill_count: 0
    .wavefront_size: 64
  - .agpr_count:     0
    .args:
      - .offset:         0
        .size:           4
        .value_kind:     by_value
      - .offset:         8
        .size:           8
        .value_kind:     by_value
      - .address_space:  global
        .offset:         16
        .size:           8
        .value_kind:     global_buffer
    .group_segment_fixed_size: 0
    .kernarg_segment_align: 8
    .kernarg_segment_size: 24
    .language:       OpenCL C
    .language_version:
      - 2
      - 0
    .max_flat_workgroup_size: 256
    .name:           _ZN2at6native29vectorized_elementwise_kernelILi4ENS0_11FillFunctorIlEESt5arrayIPcLm1EEEEviT0_T1_
    .private_segment_fixed_size: 0
    .sgpr_count:     20
    .sgpr_spill_count: 0
    .symbol:         _ZN2at6native29vectorized_elementwise_kernelILi4ENS0_11FillFunctorIlEESt5arrayIPcLm1EEEEviT0_T1_.kd
    .uniform_work_group_size: 1
    .uses_dynamic_stack: false
    .vgpr_count:     6
    .vgpr_spill_count: 0
    .wavefront_size: 64
  - .agpr_count:     0
    .args:
      - .offset:         0
        .size:           4
        .value_kind:     by_value
      - .offset:         8
        .size:           8
        .value_kind:     by_value
      - .address_space:  global
        .offset:         16
        .size:           8
        .value_kind:     global_buffer
    .group_segment_fixed_size: 0
    .kernarg_segment_align: 8
    .kernarg_segment_size: 24
    .language:       OpenCL C
    .language_version:
      - 2
      - 0
    .max_flat_workgroup_size: 256
    .name:           _ZN2at6native29vectorized_elementwise_kernelILi2ENS0_11FillFunctorIlEESt5arrayIPcLm1EEEEviT0_T1_
    .private_segment_fixed_size: 0
    .sgpr_count:     20
    .sgpr_spill_count: 0
    .symbol:         _ZN2at6native29vectorized_elementwise_kernelILi2ENS0_11FillFunctorIlEESt5arrayIPcLm1EEEEviT0_T1_.kd
    .uniform_work_group_size: 1
    .uses_dynamic_stack: false
    .vgpr_count:     8
    .vgpr_spill_count: 0
    .wavefront_size: 64
  - .agpr_count:     0
    .args:
      - .offset:         0
        .size:           4
        .value_kind:     by_value
      - .offset:         8
        .size:           8
        .value_kind:     by_value
      - .address_space:  global
        .offset:         16
        .size:           8
        .value_kind:     global_buffer
      - .offset:         24
        .size:           1
        .value_kind:     by_value
      - .offset:         25
        .size:           1
        .value_kind:     by_value
      - .offset:         26
        .size:           1
        .value_kind:     by_value
      - .offset:         27
        .size:           1
        .value_kind:     by_value
    .group_segment_fixed_size: 0
    .kernarg_segment_align: 8
    .kernarg_segment_size: 28
    .language:       OpenCL C
    .language_version:
      - 2
      - 0
    .max_flat_workgroup_size: 256
    .name:           _ZN2at6native27unrolled_elementwise_kernelINS0_11FillFunctorIlEESt5arrayIPcLm1EELi4E23TrivialOffsetCalculatorILi0EjES7_ILi1EjENS0_6memory15LoadWithoutCastENSA_16StoreWithoutCastEEEviT_T0_T2_T3_T4_T5_
    .private_segment_fixed_size: 0
    .sgpr_count:     16
    .sgpr_spill_count: 0
    .symbol:         _ZN2at6native27unrolled_elementwise_kernelINS0_11FillFunctorIlEESt5arrayIPcLm1EELi4E23TrivialOffsetCalculatorILi0EjES7_ILi1EjENS0_6memory15LoadWithoutCastENSA_16StoreWithoutCastEEEviT_T0_T2_T3_T4_T5_.kd
    .uniform_work_group_size: 1
    .uses_dynamic_stack: false
    .vgpr_count:     8
    .vgpr_spill_count: 0
    .wavefront_size: 64
  - .agpr_count:     0
    .args:
      - .offset:         0
        .size:           4
        .value_kind:     by_value
      - .offset:         8
        .size:           280
        .value_kind:     by_value
    .group_segment_fixed_size: 0
    .kernarg_segment_align: 8
    .kernarg_segment_size: 288
    .language:       OpenCL C
    .language_version:
      - 2
      - 0
    .max_flat_workgroup_size: 128
    .name:           _ZN2at6native32elementwise_kernel_manual_unrollILi128ELi4EZNS0_22gpu_kernel_impl_nocastINS0_11FillFunctorIlEEEEvRNS_18TensorIteratorBaseERKT_EUlibE_EEviT1_
    .private_segment_fixed_size: 0
    .sgpr_count:     58
    .sgpr_spill_count: 0
    .symbol:         _ZN2at6native32elementwise_kernel_manual_unrollILi128ELi4EZNS0_22gpu_kernel_impl_nocastINS0_11FillFunctorIlEEEEvRNS_18TensorIteratorBaseERKT_EUlibE_EEviT1_.kd
    .uniform_work_group_size: 1
    .uses_dynamic_stack: false
    .vgpr_count:     10
    .vgpr_spill_count: 0
    .wavefront_size: 64
  - .agpr_count:     0
    .args:
      - .offset:         0
        .size:           4
        .value_kind:     by_value
      - .offset:         8
        .size:           32
        .value_kind:     by_value
    .group_segment_fixed_size: 0
    .kernarg_segment_align: 8
    .kernarg_segment_size: 40
    .language:       OpenCL C
    .language_version:
      - 2
      - 0
    .max_flat_workgroup_size: 128
    .name:           _ZN2at6native32elementwise_kernel_manual_unrollILi128ELi4EZNS0_15gpu_kernel_implINS0_11FillFunctorIlEEEEvRNS_18TensorIteratorBaseERKT_EUlibE_EEviT1_
    .private_segment_fixed_size: 0
    .sgpr_count:     65
    .sgpr_spill_count: 0
    .symbol:         _ZN2at6native32elementwise_kernel_manual_unrollILi128ELi4EZNS0_15gpu_kernel_implINS0_11FillFunctorIlEEEEvRNS_18TensorIteratorBaseERKT_EUlibE_EEviT1_.kd
    .uniform_work_group_size: 1
    .uses_dynamic_stack: false
    .vgpr_count:     17
    .vgpr_spill_count: 0
    .wavefront_size: 64
  - .agpr_count:     0
    .args:
      - .offset:         0
        .size:           4
        .value_kind:     by_value
      - .offset:         8
        .size:           288
        .value_kind:     by_value
    .group_segment_fixed_size: 0
    .kernarg_segment_align: 8
    .kernarg_segment_size: 296
    .language:       OpenCL C
    .language_version:
      - 2
      - 0
    .max_flat_workgroup_size: 128
    .name:           _ZN2at6native32elementwise_kernel_manual_unrollILi128ELi4EZNS0_15gpu_kernel_implINS0_11FillFunctorIlEEEEvRNS_18TensorIteratorBaseERKT_EUlibE0_EEviT1_
    .private_segment_fixed_size: 0
    .sgpr_count:     99
    .sgpr_spill_count: 0
    .symbol:         _ZN2at6native32elementwise_kernel_manual_unrollILi128ELi4EZNS0_15gpu_kernel_implINS0_11FillFunctorIlEEEEvRNS_18TensorIteratorBaseERKT_EUlibE0_EEviT1_.kd
    .uniform_work_group_size: 1
    .uses_dynamic_stack: false
    .vgpr_count:     17
    .vgpr_spill_count: 0
    .wavefront_size: 64
  - .agpr_count:     0
    .args:
      - .offset:         0
        .size:           4
        .value_kind:     by_value
      - .offset:         4
        .size:           2
        .value_kind:     by_value
      - .address_space:  global
        .offset:         8
        .size:           8
        .value_kind:     global_buffer
    .group_segment_fixed_size: 0
    .kernarg_segment_align: 8
    .kernarg_segment_size: 16
    .language:       OpenCL C
    .language_version:
      - 2
      - 0
    .max_flat_workgroup_size: 256
    .name:           _ZN2at6native29vectorized_elementwise_kernelILi16ENS0_11FillFunctorIsEESt5arrayIPcLm1EEEEviT0_T1_
    .private_segment_fixed_size: 0
    .sgpr_count:     16
    .sgpr_spill_count: 0
    .symbol:         _ZN2at6native29vectorized_elementwise_kernelILi16ENS0_11FillFunctorIsEESt5arrayIPcLm1EEEEviT0_T1_.kd
    .uniform_work_group_size: 1
    .uses_dynamic_stack: false
    .vgpr_count:     8
    .vgpr_spill_count: 0
    .wavefront_size: 64
  - .agpr_count:     0
    .args:
      - .offset:         0
        .size:           4
        .value_kind:     by_value
      - .offset:         4
        .size:           2
        .value_kind:     by_value
      - .address_space:  global
        .offset:         8
        .size:           8
        .value_kind:     global_buffer
    .group_segment_fixed_size: 0
    .kernarg_segment_align: 8
    .kernarg_segment_size: 16
    .language:       OpenCL C
    .language_version:
      - 2
      - 0
    .max_flat_workgroup_size: 256
    .name:           _ZN2at6native29vectorized_elementwise_kernelILi8ENS0_11FillFunctorIsEESt5arrayIPcLm1EEEEviT0_T1_
    .private_segment_fixed_size: 0
    .sgpr_count:     16
    .sgpr_spill_count: 0
    .symbol:         _ZN2at6native29vectorized_elementwise_kernelILi8ENS0_11FillFunctorIsEESt5arrayIPcLm1EEEEviT0_T1_.kd
    .uniform_work_group_size: 1
    .uses_dynamic_stack: false
    .vgpr_count:     8
    .vgpr_spill_count: 0
    .wavefront_size: 64
  - .agpr_count:     0
    .args:
      - .offset:         0
        .size:           4
        .value_kind:     by_value
      - .offset:         4
        .size:           2
        .value_kind:     by_value
      - .address_space:  global
        .offset:         8
        .size:           8
        .value_kind:     global_buffer
    .group_segment_fixed_size: 0
    .kernarg_segment_align: 8
    .kernarg_segment_size: 16
    .language:       OpenCL C
    .language_version:
      - 2
      - 0
    .max_flat_workgroup_size: 256
    .name:           _ZN2at6native29vectorized_elementwise_kernelILi4ENS0_11FillFunctorIsEESt5arrayIPcLm1EEEEviT0_T1_
    .private_segment_fixed_size: 0
    .sgpr_count:     16
    .sgpr_spill_count: 0
    .symbol:         _ZN2at6native29vectorized_elementwise_kernelILi4ENS0_11FillFunctorIsEESt5arrayIPcLm1EEEEviT0_T1_.kd
    .uniform_work_group_size: 1
    .uses_dynamic_stack: false
    .vgpr_count:     8
    .vgpr_spill_count: 0
    .wavefront_size: 64
  - .agpr_count:     0
    .args:
      - .offset:         0
        .size:           4
        .value_kind:     by_value
      - .offset:         4
        .size:           2
        .value_kind:     by_value
      - .address_space:  global
        .offset:         8
        .size:           8
        .value_kind:     global_buffer
    .group_segment_fixed_size: 0
    .kernarg_segment_align: 8
    .kernarg_segment_size: 16
    .language:       OpenCL C
    .language_version:
      - 2
      - 0
    .max_flat_workgroup_size: 256
    .name:           _ZN2at6native29vectorized_elementwise_kernelILi2ENS0_11FillFunctorIsEESt5arrayIPcLm1EEEEviT0_T1_
    .private_segment_fixed_size: 0
    .sgpr_count:     16
    .sgpr_spill_count: 0
    .symbol:         _ZN2at6native29vectorized_elementwise_kernelILi2ENS0_11FillFunctorIsEESt5arrayIPcLm1EEEEviT0_T1_.kd
    .uniform_work_group_size: 1
    .uses_dynamic_stack: false
    .vgpr_count:     8
    .vgpr_spill_count: 0
    .wavefront_size: 64
  - .agpr_count:     0
    .args:
      - .offset:         0
        .size:           4
        .value_kind:     by_value
      - .offset:         4
        .size:           2
        .value_kind:     by_value
      - .address_space:  global
        .offset:         8
        .size:           8
        .value_kind:     global_buffer
      - .offset:         16
        .size:           1
        .value_kind:     by_value
      - .offset:         17
        .size:           1
        .value_kind:     by_value
      - .offset:         18
        .size:           1
        .value_kind:     by_value
      - .offset:         19
        .size:           1
        .value_kind:     by_value
    .group_segment_fixed_size: 0
    .kernarg_segment_align: 8
    .kernarg_segment_size: 20
    .language:       OpenCL C
    .language_version:
      - 2
      - 0
    .max_flat_workgroup_size: 256
    .name:           _ZN2at6native27unrolled_elementwise_kernelINS0_11FillFunctorIsEESt5arrayIPcLm1EELi4E23TrivialOffsetCalculatorILi0EjES7_ILi1EjENS0_6memory15LoadWithoutCastENSA_16StoreWithoutCastEEEviT_T0_T2_T3_T4_T5_
    .private_segment_fixed_size: 0
    .sgpr_count:     16
    .sgpr_spill_count: 0
    .symbol:         _ZN2at6native27unrolled_elementwise_kernelINS0_11FillFunctorIsEESt5arrayIPcLm1EELi4E23TrivialOffsetCalculatorILi0EjES7_ILi1EjENS0_6memory15LoadWithoutCastENSA_16StoreWithoutCastEEEviT_T0_T2_T3_T4_T5_.kd
    .uniform_work_group_size: 1
    .uses_dynamic_stack: false
    .vgpr_count:     6
    .vgpr_spill_count: 0
    .wavefront_size: 64
  - .agpr_count:     0
    .args:
      - .offset:         0
        .size:           4
        .value_kind:     by_value
      - .offset:         8
        .size:           280
        .value_kind:     by_value
    .group_segment_fixed_size: 0
    .kernarg_segment_align: 8
    .kernarg_segment_size: 288
    .language:       OpenCL C
    .language_version:
      - 2
      - 0
    .max_flat_workgroup_size: 128
    .name:           _ZN2at6native32elementwise_kernel_manual_unrollILi128ELi8EZNS0_22gpu_kernel_impl_nocastINS0_11FillFunctorIsEEEEvRNS_18TensorIteratorBaseERKT_EUlibE_EEviT1_
    .private_segment_fixed_size: 0
    .sgpr_count:     57
    .sgpr_spill_count: 0
    .symbol:         _ZN2at6native32elementwise_kernel_manual_unrollILi128ELi8EZNS0_22gpu_kernel_impl_nocastINS0_11FillFunctorIsEEEEvRNS_18TensorIteratorBaseERKT_EUlibE_EEviT1_.kd
    .uniform_work_group_size: 1
    .uses_dynamic_stack: false
    .vgpr_count:     17
    .vgpr_spill_count: 0
    .wavefront_size: 64
  - .agpr_count:     0
    .args:
      - .offset:         0
        .size:           4
        .value_kind:     by_value
      - .offset:         8
        .size:           16
        .value_kind:     by_value
    .group_segment_fixed_size: 0
    .kernarg_segment_align: 8
    .kernarg_segment_size: 24
    .language:       OpenCL C
    .language_version:
      - 2
      - 0
    .max_flat_workgroup_size: 128
    .name:           _ZN2at6native32elementwise_kernel_manual_unrollILi128ELi4EZNS0_15gpu_kernel_implINS0_11FillFunctorIsEEEEvRNS_18TensorIteratorBaseERKT_EUlibE_EEviT1_
    .private_segment_fixed_size: 0
    .sgpr_count:     66
    .sgpr_spill_count: 0
    .symbol:         _ZN2at6native32elementwise_kernel_manual_unrollILi128ELi4EZNS0_15gpu_kernel_implINS0_11FillFunctorIsEEEEvRNS_18TensorIteratorBaseERKT_EUlibE_EEviT1_.kd
    .uniform_work_group_size: 1
    .uses_dynamic_stack: false
    .vgpr_count:     17
    .vgpr_spill_count: 0
    .wavefront_size: 64
  - .agpr_count:     0
    .args:
      - .offset:         0
        .size:           4
        .value_kind:     by_value
      - .offset:         8
        .size:           280
        .value_kind:     by_value
    .group_segment_fixed_size: 0
    .kernarg_segment_align: 8
    .kernarg_segment_size: 288
    .language:       OpenCL C
    .language_version:
      - 2
      - 0
    .max_flat_workgroup_size: 128
    .name:           _ZN2at6native32elementwise_kernel_manual_unrollILi128ELi4EZNS0_15gpu_kernel_implINS0_11FillFunctorIsEEEEvRNS_18TensorIteratorBaseERKT_EUlibE0_EEviT1_
    .private_segment_fixed_size: 0
    .sgpr_count:     100
    .sgpr_spill_count: 0
    .symbol:         _ZN2at6native32elementwise_kernel_manual_unrollILi128ELi4EZNS0_15gpu_kernel_implINS0_11FillFunctorIsEEEEvRNS_18TensorIteratorBaseERKT_EUlibE0_EEviT1_.kd
    .uniform_work_group_size: 1
    .uses_dynamic_stack: false
    .vgpr_count:     17
    .vgpr_spill_count: 0
    .wavefront_size: 64
  - .agpr_count:     0
    .args:
      - .offset:         0
        .size:           4
        .value_kind:     by_value
      - .offset:         8
        .size:           8
        .value_kind:     by_value
      - .address_space:  global
        .offset:         16
        .size:           8
        .value_kind:     global_buffer
    .group_segment_fixed_size: 0
    .kernarg_segment_align: 8
    .kernarg_segment_size: 24
    .language:       OpenCL C
    .language_version:
      - 2
      - 0
    .max_flat_workgroup_size: 256
    .name:           _ZN2at6native29vectorized_elementwise_kernelILi16ENS0_11FillFunctorIdEESt5arrayIPcLm1EEEEviT0_T1_
    .private_segment_fixed_size: 0
    .sgpr_count:     20
    .sgpr_spill_count: 0
    .symbol:         _ZN2at6native29vectorized_elementwise_kernelILi16ENS0_11FillFunctorIdEESt5arrayIPcLm1EEEEviT0_T1_.kd
    .uniform_work_group_size: 1
    .uses_dynamic_stack: false
    .vgpr_count:     6
    .vgpr_spill_count: 0
    .wavefront_size: 64
  - .agpr_count:     0
    .args:
      - .offset:         0
        .size:           4
        .value_kind:     by_value
      - .offset:         8
        .size:           8
        .value_kind:     by_value
      - .address_space:  global
        .offset:         16
        .size:           8
        .value_kind:     global_buffer
    .group_segment_fixed_size: 0
    .kernarg_segment_align: 8
    .kernarg_segment_size: 24
    .language:       OpenCL C
    .language_version:
      - 2
      - 0
    .max_flat_workgroup_size: 256
    .name:           _ZN2at6native29vectorized_elementwise_kernelILi8ENS0_11FillFunctorIdEESt5arrayIPcLm1EEEEviT0_T1_
    .private_segment_fixed_size: 0
    .sgpr_count:     20
    .sgpr_spill_count: 0
    .symbol:         _ZN2at6native29vectorized_elementwise_kernelILi8ENS0_11FillFunctorIdEESt5arrayIPcLm1EEEEviT0_T1_.kd
    .uniform_work_group_size: 1
    .uses_dynamic_stack: false
    .vgpr_count:     6
    .vgpr_spill_count: 0
    .wavefront_size: 64
  - .agpr_count:     0
    .args:
      - .offset:         0
        .size:           4
        .value_kind:     by_value
      - .offset:         8
        .size:           8
        .value_kind:     by_value
      - .address_space:  global
        .offset:         16
        .size:           8
        .value_kind:     global_buffer
    .group_segment_fixed_size: 0
    .kernarg_segment_align: 8
    .kernarg_segment_size: 24
    .language:       OpenCL C
    .language_version:
      - 2
      - 0
    .max_flat_workgroup_size: 256
    .name:           _ZN2at6native29vectorized_elementwise_kernelILi4ENS0_11FillFunctorIdEESt5arrayIPcLm1EEEEviT0_T1_
    .private_segment_fixed_size: 0
    .sgpr_count:     20
    .sgpr_spill_count: 0
    .symbol:         _ZN2at6native29vectorized_elementwise_kernelILi4ENS0_11FillFunctorIdEESt5arrayIPcLm1EEEEviT0_T1_.kd
    .uniform_work_group_size: 1
    .uses_dynamic_stack: false
    .vgpr_count:     6
    .vgpr_spill_count: 0
    .wavefront_size: 64
  - .agpr_count:     0
    .args:
      - .offset:         0
        .size:           4
        .value_kind:     by_value
      - .offset:         8
        .size:           8
        .value_kind:     by_value
      - .address_space:  global
        .offset:         16
        .size:           8
        .value_kind:     global_buffer
    .group_segment_fixed_size: 0
    .kernarg_segment_align: 8
    .kernarg_segment_size: 24
    .language:       OpenCL C
    .language_version:
      - 2
      - 0
    .max_flat_workgroup_size: 256
    .name:           _ZN2at6native29vectorized_elementwise_kernelILi2ENS0_11FillFunctorIdEESt5arrayIPcLm1EEEEviT0_T1_
    .private_segment_fixed_size: 0
    .sgpr_count:     20
    .sgpr_spill_count: 0
    .symbol:         _ZN2at6native29vectorized_elementwise_kernelILi2ENS0_11FillFunctorIdEESt5arrayIPcLm1EEEEviT0_T1_.kd
    .uniform_work_group_size: 1
    .uses_dynamic_stack: false
    .vgpr_count:     8
    .vgpr_spill_count: 0
    .wavefront_size: 64
  - .agpr_count:     0
    .args:
      - .offset:         0
        .size:           4
        .value_kind:     by_value
      - .offset:         8
        .size:           8
        .value_kind:     by_value
      - .address_space:  global
        .offset:         16
        .size:           8
        .value_kind:     global_buffer
      - .offset:         24
        .size:           1
        .value_kind:     by_value
      - .offset:         25
        .size:           1
        .value_kind:     by_value
      - .offset:         26
        .size:           1
        .value_kind:     by_value
      - .offset:         27
        .size:           1
        .value_kind:     by_value
    .group_segment_fixed_size: 0
    .kernarg_segment_align: 8
    .kernarg_segment_size: 28
    .language:       OpenCL C
    .language_version:
      - 2
      - 0
    .max_flat_workgroup_size: 256
    .name:           _ZN2at6native27unrolled_elementwise_kernelINS0_11FillFunctorIdEESt5arrayIPcLm1EELi4E23TrivialOffsetCalculatorILi0EjES7_ILi1EjENS0_6memory15LoadWithoutCastENSA_16StoreWithoutCastEEEviT_T0_T2_T3_T4_T5_
    .private_segment_fixed_size: 0
    .sgpr_count:     12
    .sgpr_spill_count: 0
    .symbol:         _ZN2at6native27unrolled_elementwise_kernelINS0_11FillFunctorIdEESt5arrayIPcLm1EELi4E23TrivialOffsetCalculatorILi0EjES7_ILi1EjENS0_6memory15LoadWithoutCastENSA_16StoreWithoutCastEEEviT_T0_T2_T3_T4_T5_.kd
    .uniform_work_group_size: 1
    .uses_dynamic_stack: false
    .vgpr_count:     5
    .vgpr_spill_count: 0
    .wavefront_size: 64
  - .agpr_count:     0
    .args:
      - .offset:         0
        .size:           4
        .value_kind:     by_value
      - .offset:         8
        .size:           280
        .value_kind:     by_value
    .group_segment_fixed_size: 0
    .kernarg_segment_align: 8
    .kernarg_segment_size: 288
    .language:       OpenCL C
    .language_version:
      - 2
      - 0
    .max_flat_workgroup_size: 128
    .name:           _ZN2at6native32elementwise_kernel_manual_unrollILi128ELi4EZNS0_22gpu_kernel_impl_nocastINS0_11FillFunctorIdEEEEvRNS_18TensorIteratorBaseERKT_EUlibE_EEviT1_
    .private_segment_fixed_size: 0
    .sgpr_count:     58
    .sgpr_spill_count: 0
    .symbol:         _ZN2at6native32elementwise_kernel_manual_unrollILi128ELi4EZNS0_22gpu_kernel_impl_nocastINS0_11FillFunctorIdEEEEvRNS_18TensorIteratorBaseERKT_EUlibE_EEviT1_.kd
    .uniform_work_group_size: 1
    .uses_dynamic_stack: false
    .vgpr_count:     10
    .vgpr_spill_count: 0
    .wavefront_size: 64
  - .agpr_count:     0
    .args:
      - .offset:         0
        .size:           4
        .value_kind:     by_value
      - .offset:         8
        .size:           32
        .value_kind:     by_value
    .group_segment_fixed_size: 0
    .kernarg_segment_align: 8
    .kernarg_segment_size: 40
    .language:       OpenCL C
    .language_version:
      - 2
      - 0
    .max_flat_workgroup_size: 128
    .name:           _ZN2at6native32elementwise_kernel_manual_unrollILi128ELi4EZNS0_15gpu_kernel_implINS0_11FillFunctorIdEEEEvRNS_18TensorIteratorBaseERKT_EUlibE_EEviT1_
    .private_segment_fixed_size: 0
    .sgpr_count:     65
    .sgpr_spill_count: 0
    .symbol:         _ZN2at6native32elementwise_kernel_manual_unrollILi128ELi4EZNS0_15gpu_kernel_implINS0_11FillFunctorIdEEEEvRNS_18TensorIteratorBaseERKT_EUlibE_EEviT1_.kd
    .uniform_work_group_size: 1
    .uses_dynamic_stack: false
    .vgpr_count:     22
    .vgpr_spill_count: 0
    .wavefront_size: 64
  - .agpr_count:     0
    .args:
      - .offset:         0
        .size:           4
        .value_kind:     by_value
      - .offset:         8
        .size:           288
        .value_kind:     by_value
    .group_segment_fixed_size: 0
    .kernarg_segment_align: 8
    .kernarg_segment_size: 296
    .language:       OpenCL C
    .language_version:
      - 2
      - 0
    .max_flat_workgroup_size: 128
    .name:           _ZN2at6native32elementwise_kernel_manual_unrollILi128ELi4EZNS0_15gpu_kernel_implINS0_11FillFunctorIdEEEEvRNS_18TensorIteratorBaseERKT_EUlibE0_EEviT1_
    .private_segment_fixed_size: 0
    .sgpr_count:     99
    .sgpr_spill_count: 0
    .symbol:         _ZN2at6native32elementwise_kernel_manual_unrollILi128ELi4EZNS0_15gpu_kernel_implINS0_11FillFunctorIdEEEEvRNS_18TensorIteratorBaseERKT_EUlibE0_EEviT1_.kd
    .uniform_work_group_size: 1
    .uses_dynamic_stack: false
    .vgpr_count:     22
    .vgpr_spill_count: 0
    .wavefront_size: 64
  - .agpr_count:     0
    .args:
      - .offset:         0
        .size:           4
        .value_kind:     by_value
      - .offset:         4
        .size:           4
        .value_kind:     by_value
      - .address_space:  global
        .offset:         8
        .size:           8
        .value_kind:     global_buffer
    .group_segment_fixed_size: 0
    .kernarg_segment_align: 8
    .kernarg_segment_size: 16
    .language:       OpenCL C
    .language_version:
      - 2
      - 0
    .max_flat_workgroup_size: 256
    .name:           _ZN2at6native29vectorized_elementwise_kernelILi16ENS0_11FillFunctorIfEESt5arrayIPcLm1EEEEviT0_T1_
    .private_segment_fixed_size: 0
    .sgpr_count:     12
    .sgpr_spill_count: 0
    .symbol:         _ZN2at6native29vectorized_elementwise_kernelILi16ENS0_11FillFunctorIfEESt5arrayIPcLm1EEEEviT0_T1_.kd
    .uniform_work_group_size: 1
    .uses_dynamic_stack: false
    .vgpr_count:     6
    .vgpr_spill_count: 0
    .wavefront_size: 64
  - .agpr_count:     0
    .args:
      - .offset:         0
        .size:           4
        .value_kind:     by_value
      - .offset:         4
        .size:           4
        .value_kind:     by_value
      - .address_space:  global
        .offset:         8
        .size:           8
        .value_kind:     global_buffer
    .group_segment_fixed_size: 0
    .kernarg_segment_align: 8
    .kernarg_segment_size: 16
    .language:       OpenCL C
    .language_version:
      - 2
      - 0
    .max_flat_workgroup_size: 256
    .name:           _ZN2at6native29vectorized_elementwise_kernelILi8ENS0_11FillFunctorIfEESt5arrayIPcLm1EEEEviT0_T1_
    .private_segment_fixed_size: 0
    .sgpr_count:     12
    .sgpr_spill_count: 0
    .symbol:         _ZN2at6native29vectorized_elementwise_kernelILi8ENS0_11FillFunctorIfEESt5arrayIPcLm1EEEEviT0_T1_.kd
    .uniform_work_group_size: 1
    .uses_dynamic_stack: false
    .vgpr_count:     6
    .vgpr_spill_count: 0
    .wavefront_size: 64
  - .agpr_count:     0
    .args:
      - .offset:         0
        .size:           4
        .value_kind:     by_value
      - .offset:         4
        .size:           4
        .value_kind:     by_value
      - .address_space:  global
        .offset:         8
        .size:           8
        .value_kind:     global_buffer
    .group_segment_fixed_size: 0
    .kernarg_segment_align: 8
    .kernarg_segment_size: 16
    .language:       OpenCL C
    .language_version:
      - 2
      - 0
    .max_flat_workgroup_size: 256
    .name:           _ZN2at6native29vectorized_elementwise_kernelILi4ENS0_11FillFunctorIfEESt5arrayIPcLm1EEEEviT0_T1_
    .private_segment_fixed_size: 0
    .sgpr_count:     12
    .sgpr_spill_count: 0
    .symbol:         _ZN2at6native29vectorized_elementwise_kernelILi4ENS0_11FillFunctorIfEESt5arrayIPcLm1EEEEviT0_T1_.kd
    .uniform_work_group_size: 1
    .uses_dynamic_stack: false
    .vgpr_count:     6
    .vgpr_spill_count: 0
    .wavefront_size: 64
  - .agpr_count:     0
    .args:
      - .offset:         0
        .size:           4
        .value_kind:     by_value
      - .offset:         4
        .size:           4
        .value_kind:     by_value
      - .address_space:  global
        .offset:         8
        .size:           8
        .value_kind:     global_buffer
    .group_segment_fixed_size: 0
    .kernarg_segment_align: 8
    .kernarg_segment_size: 16
    .language:       OpenCL C
    .language_version:
      - 2
      - 0
    .max_flat_workgroup_size: 256
    .name:           _ZN2at6native29vectorized_elementwise_kernelILi2ENS0_11FillFunctorIfEESt5arrayIPcLm1EEEEviT0_T1_
    .private_segment_fixed_size: 0
    .sgpr_count:     13
    .sgpr_spill_count: 0
    .symbol:         _ZN2at6native29vectorized_elementwise_kernelILi2ENS0_11FillFunctorIfEESt5arrayIPcLm1EEEEviT0_T1_.kd
    .uniform_work_group_size: 1
    .uses_dynamic_stack: false
    .vgpr_count:     5
    .vgpr_spill_count: 0
    .wavefront_size: 64
  - .agpr_count:     0
    .args:
      - .offset:         0
        .size:           4
        .value_kind:     by_value
      - .offset:         4
        .size:           4
        .value_kind:     by_value
      - .address_space:  global
        .offset:         8
        .size:           8
        .value_kind:     global_buffer
      - .offset:         16
        .size:           1
        .value_kind:     by_value
      - .offset:         17
        .size:           1
        .value_kind:     by_value
      - .offset:         18
        .size:           1
        .value_kind:     by_value
      - .offset:         19
        .size:           1
        .value_kind:     by_value
    .group_segment_fixed_size: 0
    .kernarg_segment_align: 8
    .kernarg_segment_size: 20
    .language:       OpenCL C
    .language_version:
      - 2
      - 0
    .max_flat_workgroup_size: 256
    .name:           _ZN2at6native27unrolled_elementwise_kernelINS0_11FillFunctorIfEESt5arrayIPcLm1EELi4E23TrivialOffsetCalculatorILi0EjES7_ILi1EjENS0_6memory15LoadWithoutCastENSA_16StoreWithoutCastEEEviT_T0_T2_T3_T4_T5_
    .private_segment_fixed_size: 0
    .sgpr_count:     11
    .sgpr_spill_count: 0
    .symbol:         _ZN2at6native27unrolled_elementwise_kernelINS0_11FillFunctorIfEESt5arrayIPcLm1EELi4E23TrivialOffsetCalculatorILi0EjES7_ILi1EjENS0_6memory15LoadWithoutCastENSA_16StoreWithoutCastEEEviT_T0_T2_T3_T4_T5_.kd
    .uniform_work_group_size: 1
    .uses_dynamic_stack: false
    .vgpr_count:     4
    .vgpr_spill_count: 0
    .wavefront_size: 64
  - .agpr_count:     0
    .args:
      - .offset:         0
        .size:           4
        .value_kind:     by_value
      - .offset:         8
        .size:           280
        .value_kind:     by_value
    .group_segment_fixed_size: 0
    .kernarg_segment_align: 8
    .kernarg_segment_size: 288
    .language:       OpenCL C
    .language_version:
      - 2
      - 0
    .max_flat_workgroup_size: 128
    .name:           _ZN2at6native32elementwise_kernel_manual_unrollILi128ELi4EZNS0_22gpu_kernel_impl_nocastINS0_11FillFunctorIfEEEEvRNS_18TensorIteratorBaseERKT_EUlibE_EEviT1_
    .private_segment_fixed_size: 0
    .sgpr_count:     57
    .sgpr_spill_count: 0
    .symbol:         _ZN2at6native32elementwise_kernel_manual_unrollILi128ELi4EZNS0_22gpu_kernel_impl_nocastINS0_11FillFunctorIfEEEEvRNS_18TensorIteratorBaseERKT_EUlibE_EEviT1_.kd
    .uniform_work_group_size: 1
    .uses_dynamic_stack: false
    .vgpr_count:     10
    .vgpr_spill_count: 0
    .wavefront_size: 64
  - .agpr_count:     0
    .args:
      - .offset:         0
        .size:           4
        .value_kind:     by_value
      - .offset:         8
        .size:           24
        .value_kind:     by_value
    .group_segment_fixed_size: 0
    .kernarg_segment_align: 8
    .kernarg_segment_size: 32
    .language:       OpenCL C
    .language_version:
      - 2
      - 0
    .max_flat_workgroup_size: 128
    .name:           _ZN2at6native32elementwise_kernel_manual_unrollILi128ELi4EZNS0_15gpu_kernel_implINS0_11FillFunctorIfEEEEvRNS_18TensorIteratorBaseERKT_EUlibE_EEviT1_
    .private_segment_fixed_size: 0
    .sgpr_count:     68
    .sgpr_spill_count: 0
    .symbol:         _ZN2at6native32elementwise_kernel_manual_unrollILi128ELi4EZNS0_15gpu_kernel_implINS0_11FillFunctorIfEEEEvRNS_18TensorIteratorBaseERKT_EUlibE_EEviT1_.kd
    .uniform_work_group_size: 1
    .uses_dynamic_stack: false
    .vgpr_count:     17
    .vgpr_spill_count: 0
    .wavefront_size: 64
  - .agpr_count:     0
    .args:
      - .offset:         0
        .size:           4
        .value_kind:     by_value
      - .offset:         8
        .size:           280
        .value_kind:     by_value
    .group_segment_fixed_size: 0
    .kernarg_segment_align: 8
    .kernarg_segment_size: 288
    .language:       OpenCL C
    .language_version:
      - 2
      - 0
    .max_flat_workgroup_size: 128
    .name:           _ZN2at6native32elementwise_kernel_manual_unrollILi128ELi4EZNS0_15gpu_kernel_implINS0_11FillFunctorIfEEEEvRNS_18TensorIteratorBaseERKT_EUlibE0_EEviT1_
    .private_segment_fixed_size: 0
    .sgpr_count:     100
    .sgpr_spill_count: 0
    .symbol:         _ZN2at6native32elementwise_kernel_manual_unrollILi128ELi4EZNS0_15gpu_kernel_implINS0_11FillFunctorIfEEEEvRNS_18TensorIteratorBaseERKT_EUlibE0_EEviT1_.kd
    .uniform_work_group_size: 1
    .uses_dynamic_stack: false
    .vgpr_count:     18
    .vgpr_spill_count: 0
    .wavefront_size: 64
  - .agpr_count:     0
    .args:
      - .offset:         0
        .size:           4
        .value_kind:     by_value
      - .offset:         16
        .size:           16
        .value_kind:     by_value
      - .address_space:  global
        .offset:         32
        .size:           8
        .value_kind:     global_buffer
    .group_segment_fixed_size: 0
    .kernarg_segment_align: 16
    .kernarg_segment_size: 40
    .language:       OpenCL C
    .language_version:
      - 2
      - 0
    .max_flat_workgroup_size: 256
    .name:           _ZN2at6native29vectorized_elementwise_kernelILi16ENS0_11FillFunctorIN3c107complexIdEEEESt5arrayIPcLm1EEEEviT0_T1_
    .private_segment_fixed_size: 0
    .sgpr_count:     15
    .sgpr_spill_count: 0
    .symbol:         _ZN2at6native29vectorized_elementwise_kernelILi16ENS0_11FillFunctorIN3c107complexIdEEEESt5arrayIPcLm1EEEEviT0_T1_.kd
    .uniform_work_group_size: 1
    .uses_dynamic_stack: false
    .vgpr_count:     10
    .vgpr_spill_count: 0
    .wavefront_size: 64
  - .agpr_count:     0
    .args:
      - .offset:         0
        .size:           4
        .value_kind:     by_value
      - .offset:         16
        .size:           16
        .value_kind:     by_value
      - .address_space:  global
        .offset:         32
        .size:           8
        .value_kind:     global_buffer
    .group_segment_fixed_size: 0
    .kernarg_segment_align: 16
    .kernarg_segment_size: 40
    .language:       OpenCL C
    .language_version:
      - 2
      - 0
    .max_flat_workgroup_size: 256
    .name:           _ZN2at6native29vectorized_elementwise_kernelILi8ENS0_11FillFunctorIN3c107complexIdEEEESt5arrayIPcLm1EEEEviT0_T1_
    .private_segment_fixed_size: 0
    .sgpr_count:     15
    .sgpr_spill_count: 0
    .symbol:         _ZN2at6native29vectorized_elementwise_kernelILi8ENS0_11FillFunctorIN3c107complexIdEEEESt5arrayIPcLm1EEEEviT0_T1_.kd
    .uniform_work_group_size: 1
    .uses_dynamic_stack: false
    .vgpr_count:     10
    .vgpr_spill_count: 0
    .wavefront_size: 64
  - .agpr_count:     0
    .args:
      - .offset:         0
        .size:           4
        .value_kind:     by_value
      - .offset:         16
        .size:           16
        .value_kind:     by_value
      - .address_space:  global
        .offset:         32
        .size:           8
        .value_kind:     global_buffer
    .group_segment_fixed_size: 0
    .kernarg_segment_align: 16
    .kernarg_segment_size: 40
    .language:       OpenCL C
    .language_version:
      - 2
      - 0
    .max_flat_workgroup_size: 256
    .name:           _ZN2at6native29vectorized_elementwise_kernelILi4ENS0_11FillFunctorIN3c107complexIdEEEESt5arrayIPcLm1EEEEviT0_T1_
    .private_segment_fixed_size: 0
    .sgpr_count:     15
    .sgpr_spill_count: 0
    .symbol:         _ZN2at6native29vectorized_elementwise_kernelILi4ENS0_11FillFunctorIN3c107complexIdEEEESt5arrayIPcLm1EEEEviT0_T1_.kd
    .uniform_work_group_size: 1
    .uses_dynamic_stack: false
    .vgpr_count:     10
    .vgpr_spill_count: 0
    .wavefront_size: 64
  - .agpr_count:     0
    .args:
      - .offset:         0
        .size:           4
        .value_kind:     by_value
      - .offset:         16
        .size:           16
        .value_kind:     by_value
      - .address_space:  global
        .offset:         32
        .size:           8
        .value_kind:     global_buffer
    .group_segment_fixed_size: 0
    .kernarg_segment_align: 16
    .kernarg_segment_size: 40
    .language:       OpenCL C
    .language_version:
      - 2
      - 0
    .max_flat_workgroup_size: 256
    .name:           _ZN2at6native29vectorized_elementwise_kernelILi2ENS0_11FillFunctorIN3c107complexIdEEEESt5arrayIPcLm1EEEEviT0_T1_
    .private_segment_fixed_size: 0
    .sgpr_count:     15
    .sgpr_spill_count: 0
    .symbol:         _ZN2at6native29vectorized_elementwise_kernelILi2ENS0_11FillFunctorIN3c107complexIdEEEESt5arrayIPcLm1EEEEviT0_T1_.kd
    .uniform_work_group_size: 1
    .uses_dynamic_stack: false
    .vgpr_count:     10
    .vgpr_spill_count: 0
    .wavefront_size: 64
  - .agpr_count:     0
    .args:
      - .offset:         0
        .size:           4
        .value_kind:     by_value
      - .offset:         16
        .size:           16
        .value_kind:     by_value
      - .address_space:  global
        .offset:         32
        .size:           8
        .value_kind:     global_buffer
      - .offset:         40
        .size:           1
        .value_kind:     by_value
      - .offset:         41
        .size:           1
        .value_kind:     by_value
      - .offset:         42
        .size:           1
        .value_kind:     by_value
      - .offset:         43
        .size:           1
        .value_kind:     by_value
    .group_segment_fixed_size: 0
    .kernarg_segment_align: 16
    .kernarg_segment_size: 44
    .language:       OpenCL C
    .language_version:
      - 2
      - 0
    .max_flat_workgroup_size: 256
    .name:           _ZN2at6native27unrolled_elementwise_kernelINS0_11FillFunctorIN3c107complexIdEEEESt5arrayIPcLm1EELi4E23TrivialOffsetCalculatorILi0EjESA_ILi1EjENS0_6memory15LoadWithoutCastENSD_16StoreWithoutCastEEEviT_T0_T2_T3_T4_T5_
    .private_segment_fixed_size: 0
    .sgpr_count:     14
    .sgpr_spill_count: 0
    .symbol:         _ZN2at6native27unrolled_elementwise_kernelINS0_11FillFunctorIN3c107complexIdEEEESt5arrayIPcLm1EELi4E23TrivialOffsetCalculatorILi0EjESA_ILi1EjENS0_6memory15LoadWithoutCastENSD_16StoreWithoutCastEEEviT_T0_T2_T3_T4_T5_.kd
    .uniform_work_group_size: 1
    .uses_dynamic_stack: false
    .vgpr_count:     10
    .vgpr_spill_count: 0
    .wavefront_size: 64
  - .agpr_count:     0
    .args:
      - .offset:         0
        .size:           4
        .value_kind:     by_value
      - .offset:         16
        .size:           288
        .value_kind:     by_value
    .group_segment_fixed_size: 0
    .kernarg_segment_align: 16
    .kernarg_segment_size: 304
    .language:       OpenCL C
    .language_version:
      - 2
      - 0
    .max_flat_workgroup_size: 128
    .name:           _ZN2at6native32elementwise_kernel_manual_unrollILi128ELi4EZNS0_22gpu_kernel_impl_nocastINS0_11FillFunctorIN3c107complexIdEEEEEEvRNS_18TensorIteratorBaseERKT_EUlibE_EEviT1_
    .private_segment_fixed_size: 0
    .sgpr_count:     60
    .sgpr_spill_count: 0
    .symbol:         _ZN2at6native32elementwise_kernel_manual_unrollILi128ELi4EZNS0_22gpu_kernel_impl_nocastINS0_11FillFunctorIN3c107complexIdEEEEEEvRNS_18TensorIteratorBaseERKT_EUlibE_EEviT1_.kd
    .uniform_work_group_size: 1
    .uses_dynamic_stack: false
    .vgpr_count:     16
    .vgpr_spill_count: 0
    .wavefront_size: 64
  - .agpr_count:     0
    .args:
      - .offset:         0
        .size:           4
        .value_kind:     by_value
      - .offset:         16
        .size:           48
        .value_kind:     by_value
    .group_segment_fixed_size: 0
    .kernarg_segment_align: 16
    .kernarg_segment_size: 64
    .language:       OpenCL C
    .language_version:
      - 2
      - 0
    .max_flat_workgroup_size: 128
    .name:           _ZN2at6native32elementwise_kernel_manual_unrollILi128ELi4EZNS0_15gpu_kernel_implINS0_11FillFunctorIN3c107complexIdEEEEEEvRNS_18TensorIteratorBaseERKT_EUlibE_EEviT1_
    .private_segment_fixed_size: 0
    .sgpr_count:     67
    .sgpr_spill_count: 0
    .symbol:         _ZN2at6native32elementwise_kernel_manual_unrollILi128ELi4EZNS0_15gpu_kernel_implINS0_11FillFunctorIN3c107complexIdEEEEEEvRNS_18TensorIteratorBaseERKT_EUlibE_EEviT1_.kd
    .uniform_work_group_size: 1
    .uses_dynamic_stack: false
    .vgpr_count:     24
    .vgpr_spill_count: 0
    .wavefront_size: 64
  - .agpr_count:     0
    .args:
      - .offset:         0
        .size:           4
        .value_kind:     by_value
      - .offset:         16
        .size:           304
        .value_kind:     by_value
    .group_segment_fixed_size: 0
    .kernarg_segment_align: 16
    .kernarg_segment_size: 320
    .language:       OpenCL C
    .language_version:
      - 2
      - 0
    .max_flat_workgroup_size: 128
    .name:           _ZN2at6native32elementwise_kernel_manual_unrollILi128ELi4EZNS0_15gpu_kernel_implINS0_11FillFunctorIN3c107complexIdEEEEEEvRNS_18TensorIteratorBaseERKT_EUlibE0_EEviT1_
    .private_segment_fixed_size: 0
    .sgpr_count:     100
    .sgpr_spill_count: 0
    .symbol:         _ZN2at6native32elementwise_kernel_manual_unrollILi128ELi4EZNS0_15gpu_kernel_implINS0_11FillFunctorIN3c107complexIdEEEEEEvRNS_18TensorIteratorBaseERKT_EUlibE0_EEviT1_.kd
    .uniform_work_group_size: 1
    .uses_dynamic_stack: false
    .vgpr_count:     24
    .vgpr_spill_count: 0
    .wavefront_size: 64
  - .agpr_count:     0
    .args:
      - .offset:         0
        .size:           4
        .value_kind:     by_value
      - .offset:         8
        .size:           8
        .value_kind:     by_value
      - .address_space:  global
        .offset:         16
        .size:           8
        .value_kind:     global_buffer
    .group_segment_fixed_size: 0
    .kernarg_segment_align: 8
    .kernarg_segment_size: 24
    .language:       OpenCL C
    .language_version:
      - 2
      - 0
    .max_flat_workgroup_size: 256
    .name:           _ZN2at6native29vectorized_elementwise_kernelILi16ENS0_11FillFunctorIN3c107complexIfEEEESt5arrayIPcLm1EEEEviT0_T1_
    .private_segment_fixed_size: 0
    .sgpr_count:     20
    .sgpr_spill_count: 0
    .symbol:         _ZN2at6native29vectorized_elementwise_kernelILi16ENS0_11FillFunctorIN3c107complexIfEEEESt5arrayIPcLm1EEEEviT0_T1_.kd
    .uniform_work_group_size: 1
    .uses_dynamic_stack: false
    .vgpr_count:     8
    .vgpr_spill_count: 0
    .wavefront_size: 64
  - .agpr_count:     0
    .args:
      - .offset:         0
        .size:           4
        .value_kind:     by_value
      - .offset:         8
        .size:           8
        .value_kind:     by_value
      - .address_space:  global
        .offset:         16
        .size:           8
        .value_kind:     global_buffer
    .group_segment_fixed_size: 0
    .kernarg_segment_align: 8
    .kernarg_segment_size: 24
    .language:       OpenCL C
    .language_version:
      - 2
      - 0
    .max_flat_workgroup_size: 256
    .name:           _ZN2at6native29vectorized_elementwise_kernelILi8ENS0_11FillFunctorIN3c107complexIfEEEESt5arrayIPcLm1EEEEviT0_T1_
    .private_segment_fixed_size: 0
    .sgpr_count:     20
    .sgpr_spill_count: 0
    .symbol:         _ZN2at6native29vectorized_elementwise_kernelILi8ENS0_11FillFunctorIN3c107complexIfEEEESt5arrayIPcLm1EEEEviT0_T1_.kd
    .uniform_work_group_size: 1
    .uses_dynamic_stack: false
    .vgpr_count:     8
    .vgpr_spill_count: 0
    .wavefront_size: 64
  - .agpr_count:     0
    .args:
      - .offset:         0
        .size:           4
        .value_kind:     by_value
      - .offset:         8
        .size:           8
        .value_kind:     by_value
      - .address_space:  global
        .offset:         16
        .size:           8
        .value_kind:     global_buffer
    .group_segment_fixed_size: 0
    .kernarg_segment_align: 8
    .kernarg_segment_size: 24
    .language:       OpenCL C
    .language_version:
      - 2
      - 0
    .max_flat_workgroup_size: 256
    .name:           _ZN2at6native29vectorized_elementwise_kernelILi4ENS0_11FillFunctorIN3c107complexIfEEEESt5arrayIPcLm1EEEEviT0_T1_
    .private_segment_fixed_size: 0
    .sgpr_count:     20
    .sgpr_spill_count: 0
    .symbol:         _ZN2at6native29vectorized_elementwise_kernelILi4ENS0_11FillFunctorIN3c107complexIfEEEESt5arrayIPcLm1EEEEviT0_T1_.kd
    .uniform_work_group_size: 1
    .uses_dynamic_stack: false
    .vgpr_count:     8
    .vgpr_spill_count: 0
    .wavefront_size: 64
  - .agpr_count:     0
    .args:
      - .offset:         0
        .size:           4
        .value_kind:     by_value
      - .offset:         8
        .size:           8
        .value_kind:     by_value
      - .address_space:  global
        .offset:         16
        .size:           8
        .value_kind:     global_buffer
    .group_segment_fixed_size: 0
    .kernarg_segment_align: 8
    .kernarg_segment_size: 24
    .language:       OpenCL C
    .language_version:
      - 2
      - 0
    .max_flat_workgroup_size: 256
    .name:           _ZN2at6native29vectorized_elementwise_kernelILi2ENS0_11FillFunctorIN3c107complexIfEEEESt5arrayIPcLm1EEEEviT0_T1_
    .private_segment_fixed_size: 0
    .sgpr_count:     20
    .sgpr_spill_count: 0
    .symbol:         _ZN2at6native29vectorized_elementwise_kernelILi2ENS0_11FillFunctorIN3c107complexIfEEEESt5arrayIPcLm1EEEEviT0_T1_.kd
    .uniform_work_group_size: 1
    .uses_dynamic_stack: false
    .vgpr_count:     8
    .vgpr_spill_count: 0
    .wavefront_size: 64
  - .agpr_count:     0
    .args:
      - .offset:         0
        .size:           4
        .value_kind:     by_value
      - .offset:         8
        .size:           8
        .value_kind:     by_value
      - .address_space:  global
        .offset:         16
        .size:           8
        .value_kind:     global_buffer
      - .offset:         24
        .size:           1
        .value_kind:     by_value
      - .offset:         25
        .size:           1
        .value_kind:     by_value
      - .offset:         26
        .size:           1
        .value_kind:     by_value
      - .offset:         27
        .size:           1
        .value_kind:     by_value
    .group_segment_fixed_size: 0
    .kernarg_segment_align: 8
    .kernarg_segment_size: 28
    .language:       OpenCL C
    .language_version:
      - 2
      - 0
    .max_flat_workgroup_size: 256
    .name:           _ZN2at6native27unrolled_elementwise_kernelINS0_11FillFunctorIN3c107complexIfEEEESt5arrayIPcLm1EELi4E23TrivialOffsetCalculatorILi0EjESA_ILi1EjENS0_6memory15LoadWithoutCastENSD_16StoreWithoutCastEEEviT_T0_T2_T3_T4_T5_
    .private_segment_fixed_size: 0
    .sgpr_count:     12
    .sgpr_spill_count: 0
    .symbol:         _ZN2at6native27unrolled_elementwise_kernelINS0_11FillFunctorIN3c107complexIfEEEESt5arrayIPcLm1EELi4E23TrivialOffsetCalculatorILi0EjESA_ILi1EjENS0_6memory15LoadWithoutCastENSD_16StoreWithoutCastEEEviT_T0_T2_T3_T4_T5_.kd
    .uniform_work_group_size: 1
    .uses_dynamic_stack: false
    .vgpr_count:     8
    .vgpr_spill_count: 0
    .wavefront_size: 64
  - .agpr_count:     0
    .args:
      - .offset:         0
        .size:           4
        .value_kind:     by_value
      - .offset:         8
        .size:           280
        .value_kind:     by_value
    .group_segment_fixed_size: 0
    .kernarg_segment_align: 8
    .kernarg_segment_size: 288
    .language:       OpenCL C
    .language_version:
      - 2
      - 0
    .max_flat_workgroup_size: 128
    .name:           _ZN2at6native32elementwise_kernel_manual_unrollILi128ELi4EZNS0_22gpu_kernel_impl_nocastINS0_11FillFunctorIN3c107complexIfEEEEEEvRNS_18TensorIteratorBaseERKT_EUlibE_EEviT1_
    .private_segment_fixed_size: 0
    .sgpr_count:     58
    .sgpr_spill_count: 0
    .symbol:         _ZN2at6native32elementwise_kernel_manual_unrollILi128ELi4EZNS0_22gpu_kernel_impl_nocastINS0_11FillFunctorIN3c107complexIfEEEEEEvRNS_18TensorIteratorBaseERKT_EUlibE_EEviT1_.kd
    .uniform_work_group_size: 1
    .uses_dynamic_stack: false
    .vgpr_count:     12
    .vgpr_spill_count: 0
    .wavefront_size: 64
  - .agpr_count:     0
    .args:
      - .offset:         0
        .size:           4
        .value_kind:     by_value
      - .offset:         8
        .size:           32
        .value_kind:     by_value
    .group_segment_fixed_size: 0
    .kernarg_segment_align: 8
    .kernarg_segment_size: 40
    .language:       OpenCL C
    .language_version:
      - 2
      - 0
    .max_flat_workgroup_size: 128
    .name:           _ZN2at6native32elementwise_kernel_manual_unrollILi128ELi4EZNS0_15gpu_kernel_implINS0_11FillFunctorIN3c107complexIfEEEEEEvRNS_18TensorIteratorBaseERKT_EUlibE_EEviT1_
    .private_segment_fixed_size: 0
    .sgpr_count:     70
    .sgpr_spill_count: 0
    .symbol:         _ZN2at6native32elementwise_kernel_manual_unrollILi128ELi4EZNS0_15gpu_kernel_implINS0_11FillFunctorIN3c107complexIfEEEEEEvRNS_18TensorIteratorBaseERKT_EUlibE_EEviT1_.kd
    .uniform_work_group_size: 1
    .uses_dynamic_stack: false
    .vgpr_count:     20
    .vgpr_spill_count: 0
    .wavefront_size: 64
  - .agpr_count:     0
    .args:
      - .offset:         0
        .size:           4
        .value_kind:     by_value
      - .offset:         8
        .size:           288
        .value_kind:     by_value
    .group_segment_fixed_size: 0
    .kernarg_segment_align: 8
    .kernarg_segment_size: 296
    .language:       OpenCL C
    .language_version:
      - 2
      - 0
    .max_flat_workgroup_size: 128
    .name:           _ZN2at6native32elementwise_kernel_manual_unrollILi128ELi4EZNS0_15gpu_kernel_implINS0_11FillFunctorIN3c107complexIfEEEEEEvRNS_18TensorIteratorBaseERKT_EUlibE0_EEviT1_
    .private_segment_fixed_size: 0
    .sgpr_count:     100
    .sgpr_spill_count: 2
    .symbol:         _ZN2at6native32elementwise_kernel_manual_unrollILi128ELi4EZNS0_15gpu_kernel_implINS0_11FillFunctorIN3c107complexIfEEEEEEvRNS_18TensorIteratorBaseERKT_EUlibE0_EEviT1_.kd
    .uniform_work_group_size: 1
    .uses_dynamic_stack: false
    .vgpr_count:     22
    .vgpr_spill_count: 0
    .wavefront_size: 64
  - .agpr_count:     0
    .args:
      - .offset:         0
        .size:           4
        .value_kind:     by_value
      - .offset:         4
        .size:           4
        .value_kind:     by_value
      - .address_space:  global
        .offset:         8
        .size:           8
        .value_kind:     global_buffer
    .group_segment_fixed_size: 0
    .kernarg_segment_align: 8
    .kernarg_segment_size: 16
    .language:       OpenCL C
    .language_version:
      - 2
      - 0
    .max_flat_workgroup_size: 256
    .name:           _ZN2at6native29vectorized_elementwise_kernelILi16ENS0_11FillFunctorIN3c107complexINS3_4HalfEEEEESt5arrayIPcLm1EEEEviT0_T1_
    .private_segment_fixed_size: 0
    .sgpr_count:     14
    .sgpr_spill_count: 0
    .symbol:         _ZN2at6native29vectorized_elementwise_kernelILi16ENS0_11FillFunctorIN3c107complexINS3_4HalfEEEEESt5arrayIPcLm1EEEEviT0_T1_.kd
    .uniform_work_group_size: 1
    .uses_dynamic_stack: false
    .vgpr_count:     7
    .vgpr_spill_count: 0
    .wavefront_size: 64
  - .agpr_count:     0
    .args:
      - .offset:         0
        .size:           4
        .value_kind:     by_value
      - .offset:         4
        .size:           4
        .value_kind:     by_value
      - .address_space:  global
        .offset:         8
        .size:           8
        .value_kind:     global_buffer
    .group_segment_fixed_size: 0
    .kernarg_segment_align: 8
    .kernarg_segment_size: 16
    .language:       OpenCL C
    .language_version:
      - 2
      - 0
    .max_flat_workgroup_size: 256
    .name:           _ZN2at6native29vectorized_elementwise_kernelILi8ENS0_11FillFunctorIN3c107complexINS3_4HalfEEEEESt5arrayIPcLm1EEEEviT0_T1_
    .private_segment_fixed_size: 0
    .sgpr_count:     14
    .sgpr_spill_count: 0
    .symbol:         _ZN2at6native29vectorized_elementwise_kernelILi8ENS0_11FillFunctorIN3c107complexINS3_4HalfEEEEESt5arrayIPcLm1EEEEviT0_T1_.kd
    .uniform_work_group_size: 1
    .uses_dynamic_stack: false
    .vgpr_count:     7
    .vgpr_spill_count: 0
    .wavefront_size: 64
  - .agpr_count:     0
    .args:
      - .offset:         0
        .size:           4
        .value_kind:     by_value
      - .offset:         4
        .size:           4
        .value_kind:     by_value
      - .address_space:  global
        .offset:         8
        .size:           8
        .value_kind:     global_buffer
    .group_segment_fixed_size: 0
    .kernarg_segment_align: 8
    .kernarg_segment_size: 16
    .language:       OpenCL C
    .language_version:
      - 2
      - 0
    .max_flat_workgroup_size: 256
    .name:           _ZN2at6native29vectorized_elementwise_kernelILi4ENS0_11FillFunctorIN3c107complexINS3_4HalfEEEEESt5arrayIPcLm1EEEEviT0_T1_
    .private_segment_fixed_size: 0
    .sgpr_count:     14
    .sgpr_spill_count: 0
    .symbol:         _ZN2at6native29vectorized_elementwise_kernelILi4ENS0_11FillFunctorIN3c107complexINS3_4HalfEEEEESt5arrayIPcLm1EEEEviT0_T1_.kd
    .uniform_work_group_size: 1
    .uses_dynamic_stack: false
    .vgpr_count:     7
    .vgpr_spill_count: 0
    .wavefront_size: 64
  - .agpr_count:     0
    .args:
      - .offset:         0
        .size:           4
        .value_kind:     by_value
      - .offset:         4
        .size:           4
        .value_kind:     by_value
      - .address_space:  global
        .offset:         8
        .size:           8
        .value_kind:     global_buffer
    .group_segment_fixed_size: 0
    .kernarg_segment_align: 8
    .kernarg_segment_size: 16
    .language:       OpenCL C
    .language_version:
      - 2
      - 0
    .max_flat_workgroup_size: 256
    .name:           _ZN2at6native29vectorized_elementwise_kernelILi2ENS0_11FillFunctorIN3c107complexINS3_4HalfEEEEESt5arrayIPcLm1EEEEviT0_T1_
    .private_segment_fixed_size: 0
    .sgpr_count:     13
    .sgpr_spill_count: 0
    .symbol:         _ZN2at6native29vectorized_elementwise_kernelILi2ENS0_11FillFunctorIN3c107complexINS3_4HalfEEEEESt5arrayIPcLm1EEEEviT0_T1_.kd
    .uniform_work_group_size: 1
    .uses_dynamic_stack: false
    .vgpr_count:     4
    .vgpr_spill_count: 0
    .wavefront_size: 64
  - .agpr_count:     0
    .args:
      - .offset:         0
        .size:           4
        .value_kind:     by_value
      - .offset:         4
        .size:           4
        .value_kind:     by_value
      - .address_space:  global
        .offset:         8
        .size:           8
        .value_kind:     global_buffer
      - .offset:         16
        .size:           1
        .value_kind:     by_value
      - .offset:         17
        .size:           1
        .value_kind:     by_value
      - .offset:         18
        .size:           1
        .value_kind:     by_value
      - .offset:         19
        .size:           1
        .value_kind:     by_value
    .group_segment_fixed_size: 0
    .kernarg_segment_align: 8
    .kernarg_segment_size: 20
    .language:       OpenCL C
    .language_version:
      - 2
      - 0
    .max_flat_workgroup_size: 256
    .name:           _ZN2at6native27unrolled_elementwise_kernelINS0_11FillFunctorIN3c107complexINS3_4HalfEEEEESt5arrayIPcLm1EELi4E23TrivialOffsetCalculatorILi0EjESB_ILi1EjENS0_6memory15LoadWithoutCastENSE_16StoreWithoutCastEEEviT_T0_T2_T3_T4_T5_
    .private_segment_fixed_size: 0
    .sgpr_count:     11
    .sgpr_spill_count: 0
    .symbol:         _ZN2at6native27unrolled_elementwise_kernelINS0_11FillFunctorIN3c107complexINS3_4HalfEEEEESt5arrayIPcLm1EELi4E23TrivialOffsetCalculatorILi0EjESB_ILi1EjENS0_6memory15LoadWithoutCastENSE_16StoreWithoutCastEEEviT_T0_T2_T3_T4_T5_.kd
    .uniform_work_group_size: 1
    .uses_dynamic_stack: false
    .vgpr_count:     4
    .vgpr_spill_count: 0
    .wavefront_size: 64
  - .agpr_count:     0
    .args:
      - .offset:         0
        .size:           4
        .value_kind:     by_value
      - .offset:         8
        .size:           280
        .value_kind:     by_value
    .group_segment_fixed_size: 0
    .kernarg_segment_align: 8
    .kernarg_segment_size: 288
    .language:       OpenCL C
    .language_version:
      - 2
      - 0
    .max_flat_workgroup_size: 128
    .name:           _ZN2at6native32elementwise_kernel_manual_unrollILi128ELi4EZNS0_22gpu_kernel_impl_nocastINS0_11FillFunctorIN3c107complexINS4_4HalfEEEEEEEvRNS_18TensorIteratorBaseERKT_EUlibE_EEviT1_
    .private_segment_fixed_size: 0
    .sgpr_count:     57
    .sgpr_spill_count: 0
    .symbol:         _ZN2at6native32elementwise_kernel_manual_unrollILi128ELi4EZNS0_22gpu_kernel_impl_nocastINS0_11FillFunctorIN3c107complexINS4_4HalfEEEEEEEvRNS_18TensorIteratorBaseERKT_EUlibE_EEviT1_.kd
    .uniform_work_group_size: 1
    .uses_dynamic_stack: false
    .vgpr_count:     10
    .vgpr_spill_count: 0
    .wavefront_size: 64
  - .agpr_count:     0
    .args:
      - .offset:         0
        .size:           4
        .value_kind:     by_value
      - .offset:         8
        .size:           24
        .value_kind:     by_value
    .group_segment_fixed_size: 0
    .kernarg_segment_align: 8
    .kernarg_segment_size: 32
    .language:       OpenCL C
    .language_version:
      - 2
      - 0
    .max_flat_workgroup_size: 128
    .name:           _ZN2at6native32elementwise_kernel_manual_unrollILi128ELi4EZNS0_15gpu_kernel_implINS0_11FillFunctorIN3c107complexINS4_4HalfEEEEEEEvRNS_18TensorIteratorBaseERKT_EUlibE_EEviT1_
    .private_segment_fixed_size: 0
    .sgpr_count:     64
    .sgpr_spill_count: 0
    .symbol:         _ZN2at6native32elementwise_kernel_manual_unrollILi128ELi4EZNS0_15gpu_kernel_implINS0_11FillFunctorIN3c107complexINS4_4HalfEEEEEEEvRNS_18TensorIteratorBaseERKT_EUlibE_EEviT1_.kd
    .uniform_work_group_size: 1
    .uses_dynamic_stack: false
    .vgpr_count:     23
    .vgpr_spill_count: 0
    .wavefront_size: 64
  - .agpr_count:     0
    .args:
      - .offset:         0
        .size:           4
        .value_kind:     by_value
      - .offset:         8
        .size:           280
        .value_kind:     by_value
    .group_segment_fixed_size: 0
    .kernarg_segment_align: 8
    .kernarg_segment_size: 288
    .language:       OpenCL C
    .language_version:
      - 2
      - 0
    .max_flat_workgroup_size: 128
    .name:           _ZN2at6native32elementwise_kernel_manual_unrollILi128ELi4EZNS0_15gpu_kernel_implINS0_11FillFunctorIN3c107complexINS4_4HalfEEEEEEEvRNS_18TensorIteratorBaseERKT_EUlibE0_EEviT1_
    .private_segment_fixed_size: 0
    .sgpr_count:     98
    .sgpr_spill_count: 0
    .symbol:         _ZN2at6native32elementwise_kernel_manual_unrollILi128ELi4EZNS0_15gpu_kernel_implINS0_11FillFunctorIN3c107complexINS4_4HalfEEEEEEEvRNS_18TensorIteratorBaseERKT_EUlibE0_EEviT1_.kd
    .uniform_work_group_size: 1
    .uses_dynamic_stack: false
    .vgpr_count:     26
    .vgpr_spill_count: 0
    .wavefront_size: 64
  - .agpr_count:     0
    .args:
      - .offset:         0
        .size:           4
        .value_kind:     by_value
      - .offset:         4
        .size:           4
        .value_kind:     by_value
      - .address_space:  global
        .offset:         8
        .size:           8
        .value_kind:     global_buffer
    .group_segment_fixed_size: 0
    .kernarg_segment_align: 8
    .kernarg_segment_size: 16
    .language:       OpenCL C
    .language_version:
      - 2
      - 0
    .max_flat_workgroup_size: 256
    .name:           _ZN2at6native29vectorized_elementwise_kernelILi16ENS0_11FillFunctorIN3c107complexINS3_8BFloat16EEEEESt5arrayIPcLm1EEEEviT0_T1_
    .private_segment_fixed_size: 0
    .sgpr_count:     14
    .sgpr_spill_count: 0
    .symbol:         _ZN2at6native29vectorized_elementwise_kernelILi16ENS0_11FillFunctorIN3c107complexINS3_8BFloat16EEEEESt5arrayIPcLm1EEEEviT0_T1_.kd
    .uniform_work_group_size: 1
    .uses_dynamic_stack: false
    .vgpr_count:     7
    .vgpr_spill_count: 0
    .wavefront_size: 64
  - .agpr_count:     0
    .args:
      - .offset:         0
        .size:           4
        .value_kind:     by_value
      - .offset:         4
        .size:           4
        .value_kind:     by_value
      - .address_space:  global
        .offset:         8
        .size:           8
        .value_kind:     global_buffer
    .group_segment_fixed_size: 0
    .kernarg_segment_align: 8
    .kernarg_segment_size: 16
    .language:       OpenCL C
    .language_version:
      - 2
      - 0
    .max_flat_workgroup_size: 256
    .name:           _ZN2at6native29vectorized_elementwise_kernelILi8ENS0_11FillFunctorIN3c107complexINS3_8BFloat16EEEEESt5arrayIPcLm1EEEEviT0_T1_
    .private_segment_fixed_size: 0
    .sgpr_count:     14
    .sgpr_spill_count: 0
    .symbol:         _ZN2at6native29vectorized_elementwise_kernelILi8ENS0_11FillFunctorIN3c107complexINS3_8BFloat16EEEEESt5arrayIPcLm1EEEEviT0_T1_.kd
    .uniform_work_group_size: 1
    .uses_dynamic_stack: false
    .vgpr_count:     7
    .vgpr_spill_count: 0
    .wavefront_size: 64
  - .agpr_count:     0
    .args:
      - .offset:         0
        .size:           4
        .value_kind:     by_value
      - .offset:         4
        .size:           4
        .value_kind:     by_value
      - .address_space:  global
        .offset:         8
        .size:           8
        .value_kind:     global_buffer
    .group_segment_fixed_size: 0
    .kernarg_segment_align: 8
    .kernarg_segment_size: 16
    .language:       OpenCL C
    .language_version:
      - 2
      - 0
    .max_flat_workgroup_size: 256
    .name:           _ZN2at6native29vectorized_elementwise_kernelILi4ENS0_11FillFunctorIN3c107complexINS3_8BFloat16EEEEESt5arrayIPcLm1EEEEviT0_T1_
    .private_segment_fixed_size: 0
    .sgpr_count:     14
    .sgpr_spill_count: 0
    .symbol:         _ZN2at6native29vectorized_elementwise_kernelILi4ENS0_11FillFunctorIN3c107complexINS3_8BFloat16EEEEESt5arrayIPcLm1EEEEviT0_T1_.kd
    .uniform_work_group_size: 1
    .uses_dynamic_stack: false
    .vgpr_count:     7
    .vgpr_spill_count: 0
    .wavefront_size: 64
  - .agpr_count:     0
    .args:
      - .offset:         0
        .size:           4
        .value_kind:     by_value
      - .offset:         4
        .size:           4
        .value_kind:     by_value
      - .address_space:  global
        .offset:         8
        .size:           8
        .value_kind:     global_buffer
    .group_segment_fixed_size: 0
    .kernarg_segment_align: 8
    .kernarg_segment_size: 16
    .language:       OpenCL C
    .language_version:
      - 2
      - 0
    .max_flat_workgroup_size: 256
    .name:           _ZN2at6native29vectorized_elementwise_kernelILi2ENS0_11FillFunctorIN3c107complexINS3_8BFloat16EEEEESt5arrayIPcLm1EEEEviT0_T1_
    .private_segment_fixed_size: 0
    .sgpr_count:     13
    .sgpr_spill_count: 0
    .symbol:         _ZN2at6native29vectorized_elementwise_kernelILi2ENS0_11FillFunctorIN3c107complexINS3_8BFloat16EEEEESt5arrayIPcLm1EEEEviT0_T1_.kd
    .uniform_work_group_size: 1
    .uses_dynamic_stack: false
    .vgpr_count:     4
    .vgpr_spill_count: 0
    .wavefront_size: 64
  - .agpr_count:     0
    .args:
      - .offset:         0
        .size:           4
        .value_kind:     by_value
      - .offset:         4
        .size:           4
        .value_kind:     by_value
      - .address_space:  global
        .offset:         8
        .size:           8
        .value_kind:     global_buffer
      - .offset:         16
        .size:           1
        .value_kind:     by_value
      - .offset:         17
        .size:           1
        .value_kind:     by_value
      - .offset:         18
        .size:           1
        .value_kind:     by_value
      - .offset:         19
        .size:           1
        .value_kind:     by_value
    .group_segment_fixed_size: 0
    .kernarg_segment_align: 8
    .kernarg_segment_size: 20
    .language:       OpenCL C
    .language_version:
      - 2
      - 0
    .max_flat_workgroup_size: 256
    .name:           _ZN2at6native27unrolled_elementwise_kernelINS0_11FillFunctorIN3c107complexINS3_8BFloat16EEEEESt5arrayIPcLm1EELi4E23TrivialOffsetCalculatorILi0EjESB_ILi1EjENS0_6memory15LoadWithoutCastENSE_16StoreWithoutCastEEEviT_T0_T2_T3_T4_T5_
    .private_segment_fixed_size: 0
    .sgpr_count:     11
    .sgpr_spill_count: 0
    .symbol:         _ZN2at6native27unrolled_elementwise_kernelINS0_11FillFunctorIN3c107complexINS3_8BFloat16EEEEESt5arrayIPcLm1EELi4E23TrivialOffsetCalculatorILi0EjESB_ILi1EjENS0_6memory15LoadWithoutCastENSE_16StoreWithoutCastEEEviT_T0_T2_T3_T4_T5_.kd
    .uniform_work_group_size: 1
    .uses_dynamic_stack: false
    .vgpr_count:     4
    .vgpr_spill_count: 0
    .wavefront_size: 64
  - .agpr_count:     0
    .args:
      - .offset:         0
        .size:           4
        .value_kind:     by_value
      - .offset:         8
        .size:           280
        .value_kind:     by_value
    .group_segment_fixed_size: 0
    .kernarg_segment_align: 8
    .kernarg_segment_size: 288
    .language:       OpenCL C
    .language_version:
      - 2
      - 0
    .max_flat_workgroup_size: 128
    .name:           _ZN2at6native32elementwise_kernel_manual_unrollILi128ELi4EZNS0_22gpu_kernel_impl_nocastINS0_11FillFunctorIN3c107complexINS4_8BFloat16EEEEEEEvRNS_18TensorIteratorBaseERKT_EUlibE_EEviT1_
    .private_segment_fixed_size: 0
    .sgpr_count:     57
    .sgpr_spill_count: 0
    .symbol:         _ZN2at6native32elementwise_kernel_manual_unrollILi128ELi4EZNS0_22gpu_kernel_impl_nocastINS0_11FillFunctorIN3c107complexINS4_8BFloat16EEEEEEEvRNS_18TensorIteratorBaseERKT_EUlibE_EEviT1_.kd
    .uniform_work_group_size: 1
    .uses_dynamic_stack: false
    .vgpr_count:     10
    .vgpr_spill_count: 0
    .wavefront_size: 64
  - .agpr_count:     0
    .args:
      - .offset:         0
        .size:           4
        .value_kind:     by_value
      - .offset:         8
        .size:           24
        .value_kind:     by_value
    .group_segment_fixed_size: 0
    .kernarg_segment_align: 8
    .kernarg_segment_size: 32
    .language:       OpenCL C
    .language_version:
      - 2
      - 0
    .max_flat_workgroup_size: 128
    .name:           _ZN2at6native32elementwise_kernel_manual_unrollILi128ELi4EZNS0_15gpu_kernel_implINS0_11FillFunctorIN3c107complexINS4_8BFloat16EEEEEEEvRNS_18TensorIteratorBaseERKT_EUlibE_EEviT1_
    .private_segment_fixed_size: 0
    .sgpr_count:     69
    .sgpr_spill_count: 0
    .symbol:         _ZN2at6native32elementwise_kernel_manual_unrollILi128ELi4EZNS0_15gpu_kernel_implINS0_11FillFunctorIN3c107complexINS4_8BFloat16EEEEEEEvRNS_18TensorIteratorBaseERKT_EUlibE_EEviT1_.kd
    .uniform_work_group_size: 1
    .uses_dynamic_stack: false
    .vgpr_count:     20
    .vgpr_spill_count: 0
    .wavefront_size: 64
  - .agpr_count:     0
    .args:
      - .offset:         0
        .size:           4
        .value_kind:     by_value
      - .offset:         8
        .size:           280
        .value_kind:     by_value
    .group_segment_fixed_size: 0
    .kernarg_segment_align: 8
    .kernarg_segment_size: 288
    .language:       OpenCL C
    .language_version:
      - 2
      - 0
    .max_flat_workgroup_size: 128
    .name:           _ZN2at6native32elementwise_kernel_manual_unrollILi128ELi4EZNS0_15gpu_kernel_implINS0_11FillFunctorIN3c107complexINS4_8BFloat16EEEEEEEvRNS_18TensorIteratorBaseERKT_EUlibE0_EEviT1_
    .private_segment_fixed_size: 0
    .sgpr_count:     100
    .sgpr_spill_count: 0
    .symbol:         _ZN2at6native32elementwise_kernel_manual_unrollILi128ELi4EZNS0_15gpu_kernel_implINS0_11FillFunctorIN3c107complexINS4_8BFloat16EEEEEEEvRNS_18TensorIteratorBaseERKT_EUlibE0_EEviT1_.kd
    .uniform_work_group_size: 1
    .uses_dynamic_stack: false
    .vgpr_count:     21
    .vgpr_spill_count: 0
    .wavefront_size: 64
  - .agpr_count:     0
    .args:
      - .offset:         0
        .size:           4
        .value_kind:     by_value
      - .offset:         4
        .size:           1
        .value_kind:     by_value
      - .address_space:  global
        .offset:         8
        .size:           8
        .value_kind:     global_buffer
    .group_segment_fixed_size: 0
    .kernarg_segment_align: 8
    .kernarg_segment_size: 16
    .language:       OpenCL C
    .language_version:
      - 2
      - 0
    .max_flat_workgroup_size: 256
    .name:           _ZN2at6native29vectorized_elementwise_kernelILi16ENS0_11FillFunctorIbEESt5arrayIPcLm1EEEEviT0_T1_
    .private_segment_fixed_size: 0
    .sgpr_count:     13
    .sgpr_spill_count: 0
    .symbol:         _ZN2at6native29vectorized_elementwise_kernelILi16ENS0_11FillFunctorIbEESt5arrayIPcLm1EEEEviT0_T1_.kd
    .uniform_work_group_size: 1
    .uses_dynamic_stack: false
    .vgpr_count:     11
    .vgpr_spill_count: 0
    .wavefront_size: 64
  - .agpr_count:     0
    .args:
      - .offset:         0
        .size:           4
        .value_kind:     by_value
      - .offset:         4
        .size:           1
        .value_kind:     by_value
      - .address_space:  global
        .offset:         8
        .size:           8
        .value_kind:     global_buffer
    .group_segment_fixed_size: 0
    .kernarg_segment_align: 8
    .kernarg_segment_size: 16
    .language:       OpenCL C
    .language_version:
      - 2
      - 0
    .max_flat_workgroup_size: 256
    .name:           _ZN2at6native29vectorized_elementwise_kernelILi8ENS0_11FillFunctorIbEESt5arrayIPcLm1EEEEviT0_T1_
    .private_segment_fixed_size: 0
    .sgpr_count:     13
    .sgpr_spill_count: 0
    .symbol:         _ZN2at6native29vectorized_elementwise_kernelILi8ENS0_11FillFunctorIbEESt5arrayIPcLm1EEEEviT0_T1_.kd
    .uniform_work_group_size: 1
    .uses_dynamic_stack: false
    .vgpr_count:     11
    .vgpr_spill_count: 0
    .wavefront_size: 64
  - .agpr_count:     0
    .args:
      - .offset:         0
        .size:           4
        .value_kind:     by_value
      - .offset:         4
        .size:           1
        .value_kind:     by_value
      - .address_space:  global
        .offset:         8
        .size:           8
        .value_kind:     global_buffer
    .group_segment_fixed_size: 0
    .kernarg_segment_align: 8
    .kernarg_segment_size: 16
    .language:       OpenCL C
    .language_version:
      - 2
      - 0
    .max_flat_workgroup_size: 256
    .name:           _ZN2at6native29vectorized_elementwise_kernelILi4ENS0_11FillFunctorIbEESt5arrayIPcLm1EEEEviT0_T1_
    .private_segment_fixed_size: 0
    .sgpr_count:     13
    .sgpr_spill_count: 0
    .symbol:         _ZN2at6native29vectorized_elementwise_kernelILi4ENS0_11FillFunctorIbEESt5arrayIPcLm1EEEEviT0_T1_.kd
    .uniform_work_group_size: 1
    .uses_dynamic_stack: false
    .vgpr_count:     11
    .vgpr_spill_count: 0
    .wavefront_size: 64
  - .agpr_count:     0
    .args:
      - .offset:         0
        .size:           4
        .value_kind:     by_value
      - .offset:         4
        .size:           1
        .value_kind:     by_value
      - .address_space:  global
        .offset:         8
        .size:           8
        .value_kind:     global_buffer
    .group_segment_fixed_size: 0
    .kernarg_segment_align: 8
    .kernarg_segment_size: 16
    .language:       OpenCL C
    .language_version:
      - 2
      - 0
    .max_flat_workgroup_size: 256
    .name:           _ZN2at6native29vectorized_elementwise_kernelILi2ENS0_11FillFunctorIbEESt5arrayIPcLm1EEEEviT0_T1_
    .private_segment_fixed_size: 0
    .sgpr_count:     13
    .sgpr_spill_count: 0
    .symbol:         _ZN2at6native29vectorized_elementwise_kernelILi2ENS0_11FillFunctorIbEESt5arrayIPcLm1EEEEviT0_T1_.kd
    .uniform_work_group_size: 1
    .uses_dynamic_stack: false
    .vgpr_count:     11
    .vgpr_spill_count: 0
    .wavefront_size: 64
  - .agpr_count:     0
    .args:
      - .offset:         0
        .size:           4
        .value_kind:     by_value
      - .offset:         4
        .size:           1
        .value_kind:     by_value
      - .address_space:  global
        .offset:         8
        .size:           8
        .value_kind:     global_buffer
      - .offset:         16
        .size:           1
        .value_kind:     by_value
      - .offset:         17
        .size:           1
        .value_kind:     by_value
      - .offset:         18
        .size:           1
        .value_kind:     by_value
      - .offset:         19
        .size:           1
        .value_kind:     by_value
    .group_segment_fixed_size: 0
    .kernarg_segment_align: 8
    .kernarg_segment_size: 20
    .language:       OpenCL C
    .language_version:
      - 2
      - 0
    .max_flat_workgroup_size: 256
    .name:           _ZN2at6native27unrolled_elementwise_kernelINS0_11FillFunctorIbEESt5arrayIPcLm1EELi4E23TrivialOffsetCalculatorILi0EjES7_ILi1EjENS0_6memory15LoadWithoutCastENSA_16StoreWithoutCastEEEviT_T0_T2_T3_T4_T5_
    .private_segment_fixed_size: 0
    .sgpr_count:     11
    .sgpr_spill_count: 0
    .symbol:         _ZN2at6native27unrolled_elementwise_kernelINS0_11FillFunctorIbEESt5arrayIPcLm1EELi4E23TrivialOffsetCalculatorILi0EjES7_ILi1EjENS0_6memory15LoadWithoutCastENSA_16StoreWithoutCastEEEviT_T0_T2_T3_T4_T5_.kd
    .uniform_work_group_size: 1
    .uses_dynamic_stack: false
    .vgpr_count:     6
    .vgpr_spill_count: 0
    .wavefront_size: 64
  - .agpr_count:     0
    .args:
      - .offset:         0
        .size:           4
        .value_kind:     by_value
      - .offset:         8
        .size:           280
        .value_kind:     by_value
    .group_segment_fixed_size: 0
    .kernarg_segment_align: 8
    .kernarg_segment_size: 288
    .language:       OpenCL C
    .language_version:
      - 2
      - 0
    .max_flat_workgroup_size: 128
    .name:           _ZN2at6native32elementwise_kernel_manual_unrollILi128ELi8EZNS0_22gpu_kernel_impl_nocastINS0_11FillFunctorIbEEEEvRNS_18TensorIteratorBaseERKT_EUlibE_EEviT1_
    .private_segment_fixed_size: 0
    .sgpr_count:     57
    .sgpr_spill_count: 0
    .symbol:         _ZN2at6native32elementwise_kernel_manual_unrollILi128ELi8EZNS0_22gpu_kernel_impl_nocastINS0_11FillFunctorIbEEEEvRNS_18TensorIteratorBaseERKT_EUlibE_EEviT1_.kd
    .uniform_work_group_size: 1
    .uses_dynamic_stack: false
    .vgpr_count:     17
    .vgpr_spill_count: 0
    .wavefront_size: 64
  - .agpr_count:     0
    .args:
      - .offset:         0
        .size:           4
        .value_kind:     by_value
      - .offset:         8
        .size:           16
        .value_kind:     by_value
    .group_segment_fixed_size: 0
    .kernarg_segment_align: 8
    .kernarg_segment_size: 24
    .language:       OpenCL C
    .language_version:
      - 2
      - 0
    .max_flat_workgroup_size: 128
    .name:           _ZN2at6native32elementwise_kernel_manual_unrollILi128ELi4EZNS0_15gpu_kernel_implINS0_11FillFunctorIbEEEEvRNS_18TensorIteratorBaseERKT_EUlibE_EEviT1_
    .private_segment_fixed_size: 0
    .sgpr_count:     58
    .sgpr_spill_count: 0
    .symbol:         _ZN2at6native32elementwise_kernel_manual_unrollILi128ELi4EZNS0_15gpu_kernel_implINS0_11FillFunctorIbEEEEvRNS_18TensorIteratorBaseERKT_EUlibE_EEviT1_.kd
    .uniform_work_group_size: 1
    .uses_dynamic_stack: false
    .vgpr_count:     24
    .vgpr_spill_count: 0
    .wavefront_size: 64
  - .agpr_count:     0
    .args:
      - .offset:         0
        .size:           4
        .value_kind:     by_value
      - .offset:         8
        .size:           280
        .value_kind:     by_value
    .group_segment_fixed_size: 0
    .kernarg_segment_align: 8
    .kernarg_segment_size: 288
    .language:       OpenCL C
    .language_version:
      - 2
      - 0
    .max_flat_workgroup_size: 128
    .name:           _ZN2at6native32elementwise_kernel_manual_unrollILi128ELi4EZNS0_15gpu_kernel_implINS0_11FillFunctorIbEEEEvRNS_18TensorIteratorBaseERKT_EUlibE0_EEviT1_
    .private_segment_fixed_size: 0
    .sgpr_count:     91
    .sgpr_spill_count: 0
    .symbol:         _ZN2at6native32elementwise_kernel_manual_unrollILi128ELi4EZNS0_15gpu_kernel_implINS0_11FillFunctorIbEEEEvRNS_18TensorIteratorBaseERKT_EUlibE0_EEviT1_.kd
    .uniform_work_group_size: 1
    .uses_dynamic_stack: false
    .vgpr_count:     25
    .vgpr_spill_count: 0
    .wavefront_size: 64
  - .agpr_count:     0
    .args:
      - .offset:         0
        .size:           4
        .value_kind:     by_value
      - .offset:         4
        .size:           2
        .value_kind:     by_value
      - .address_space:  global
        .offset:         8
        .size:           8
        .value_kind:     global_buffer
    .group_segment_fixed_size: 0
    .kernarg_segment_align: 8
    .kernarg_segment_size: 16
    .language:       OpenCL C
    .language_version:
      - 2
      - 0
    .max_flat_workgroup_size: 256
    .name:           _ZN2at6native29vectorized_elementwise_kernelILi16ENS0_11FillFunctorIN3c104HalfEEESt5arrayIPcLm1EEEEviT0_T1_
    .private_segment_fixed_size: 0
    .sgpr_count:     14
    .sgpr_spill_count: 0
    .symbol:         _ZN2at6native29vectorized_elementwise_kernelILi16ENS0_11FillFunctorIN3c104HalfEEESt5arrayIPcLm1EEEEviT0_T1_.kd
    .uniform_work_group_size: 1
    .uses_dynamic_stack: false
    .vgpr_count:     7
    .vgpr_spill_count: 0
    .wavefront_size: 64
  - .agpr_count:     0
    .args:
      - .offset:         0
        .size:           4
        .value_kind:     by_value
      - .offset:         4
        .size:           2
        .value_kind:     by_value
      - .address_space:  global
        .offset:         8
        .size:           8
        .value_kind:     global_buffer
    .group_segment_fixed_size: 0
    .kernarg_segment_align: 8
    .kernarg_segment_size: 16
    .language:       OpenCL C
    .language_version:
      - 2
      - 0
    .max_flat_workgroup_size: 256
    .name:           _ZN2at6native29vectorized_elementwise_kernelILi8ENS0_11FillFunctorIN3c104HalfEEESt5arrayIPcLm1EEEEviT0_T1_
    .private_segment_fixed_size: 0
    .sgpr_count:     14
    .sgpr_spill_count: 0
    .symbol:         _ZN2at6native29vectorized_elementwise_kernelILi8ENS0_11FillFunctorIN3c104HalfEEESt5arrayIPcLm1EEEEviT0_T1_.kd
    .uniform_work_group_size: 1
    .uses_dynamic_stack: false
    .vgpr_count:     7
    .vgpr_spill_count: 0
    .wavefront_size: 64
  - .agpr_count:     0
    .args:
      - .offset:         0
        .size:           4
        .value_kind:     by_value
      - .offset:         4
        .size:           2
        .value_kind:     by_value
      - .address_space:  global
        .offset:         8
        .size:           8
        .value_kind:     global_buffer
    .group_segment_fixed_size: 0
    .kernarg_segment_align: 8
    .kernarg_segment_size: 16
    .language:       OpenCL C
    .language_version:
      - 2
      - 0
    .max_flat_workgroup_size: 256
    .name:           _ZN2at6native29vectorized_elementwise_kernelILi4ENS0_11FillFunctorIN3c104HalfEEESt5arrayIPcLm1EEEEviT0_T1_
    .private_segment_fixed_size: 0
    .sgpr_count:     14
    .sgpr_spill_count: 0
    .symbol:         _ZN2at6native29vectorized_elementwise_kernelILi4ENS0_11FillFunctorIN3c104HalfEEESt5arrayIPcLm1EEEEviT0_T1_.kd
    .uniform_work_group_size: 1
    .uses_dynamic_stack: false
    .vgpr_count:     4
    .vgpr_spill_count: 0
    .wavefront_size: 64
  - .agpr_count:     0
    .args:
      - .offset:         0
        .size:           4
        .value_kind:     by_value
      - .offset:         4
        .size:           2
        .value_kind:     by_value
      - .address_space:  global
        .offset:         8
        .size:           8
        .value_kind:     global_buffer
    .group_segment_fixed_size: 0
    .kernarg_segment_align: 8
    .kernarg_segment_size: 16
    .language:       OpenCL C
    .language_version:
      - 2
      - 0
    .max_flat_workgroup_size: 256
    .name:           _ZN2at6native29vectorized_elementwise_kernelILi2ENS0_11FillFunctorIN3c104HalfEEESt5arrayIPcLm1EEEEviT0_T1_
    .private_segment_fixed_size: 0
    .sgpr_count:     12
    .sgpr_spill_count: 0
    .symbol:         _ZN2at6native29vectorized_elementwise_kernelILi2ENS0_11FillFunctorIN3c104HalfEEESt5arrayIPcLm1EEEEviT0_T1_.kd
    .uniform_work_group_size: 1
    .uses_dynamic_stack: false
    .vgpr_count:     4
    .vgpr_spill_count: 0
    .wavefront_size: 64
  - .agpr_count:     0
    .args:
      - .offset:         0
        .size:           4
        .value_kind:     by_value
      - .offset:         4
        .size:           2
        .value_kind:     by_value
      - .address_space:  global
        .offset:         8
        .size:           8
        .value_kind:     global_buffer
      - .offset:         16
        .size:           1
        .value_kind:     by_value
      - .offset:         17
        .size:           1
        .value_kind:     by_value
      - .offset:         18
        .size:           1
        .value_kind:     by_value
      - .offset:         19
        .size:           1
        .value_kind:     by_value
    .group_segment_fixed_size: 0
    .kernarg_segment_align: 8
    .kernarg_segment_size: 20
    .language:       OpenCL C
    .language_version:
      - 2
      - 0
    .max_flat_workgroup_size: 256
    .name:           _ZN2at6native27unrolled_elementwise_kernelINS0_11FillFunctorIN3c104HalfEEESt5arrayIPcLm1EELi4E23TrivialOffsetCalculatorILi0EjES9_ILi1EjENS0_6memory15LoadWithoutCastENSC_16StoreWithoutCastEEEviT_T0_T2_T3_T4_T5_
    .private_segment_fixed_size: 0
    .sgpr_count:     11
    .sgpr_spill_count: 0
    .symbol:         _ZN2at6native27unrolled_elementwise_kernelINS0_11FillFunctorIN3c104HalfEEESt5arrayIPcLm1EELi4E23TrivialOffsetCalculatorILi0EjES9_ILi1EjENS0_6memory15LoadWithoutCastENSC_16StoreWithoutCastEEEviT_T0_T2_T3_T4_T5_.kd
    .uniform_work_group_size: 1
    .uses_dynamic_stack: false
    .vgpr_count:     4
    .vgpr_spill_count: 0
    .wavefront_size: 64
  - .agpr_count:     0
    .args:
      - .offset:         0
        .size:           4
        .value_kind:     by_value
      - .offset:         8
        .size:           280
        .value_kind:     by_value
    .group_segment_fixed_size: 0
    .kernarg_segment_align: 8
    .kernarg_segment_size: 288
    .language:       OpenCL C
    .language_version:
      - 2
      - 0
    .max_flat_workgroup_size: 128
    .name:           _ZN2at6native32elementwise_kernel_manual_unrollILi128ELi8EZNS0_22gpu_kernel_impl_nocastINS0_11FillFunctorIN3c104HalfEEEEEvRNS_18TensorIteratorBaseERKT_EUlibE_EEviT1_
    .private_segment_fixed_size: 0
    .sgpr_count:     57
    .sgpr_spill_count: 0
    .symbol:         _ZN2at6native32elementwise_kernel_manual_unrollILi128ELi8EZNS0_22gpu_kernel_impl_nocastINS0_11FillFunctorIN3c104HalfEEEEEvRNS_18TensorIteratorBaseERKT_EUlibE_EEviT1_.kd
    .uniform_work_group_size: 1
    .uses_dynamic_stack: false
    .vgpr_count:     17
    .vgpr_spill_count: 0
    .wavefront_size: 64
  - .agpr_count:     0
    .args:
      - .offset:         0
        .size:           4
        .value_kind:     by_value
      - .offset:         8
        .size:           16
        .value_kind:     by_value
    .group_segment_fixed_size: 0
    .kernarg_segment_align: 8
    .kernarg_segment_size: 24
    .language:       OpenCL C
    .language_version:
      - 2
      - 0
    .max_flat_workgroup_size: 128
    .name:           _ZN2at6native32elementwise_kernel_manual_unrollILi128ELi4EZNS0_15gpu_kernel_implINS0_11FillFunctorIN3c104HalfEEEEEvRNS_18TensorIteratorBaseERKT_EUlibE_EEviT1_
    .private_segment_fixed_size: 0
    .sgpr_count:     65
    .sgpr_spill_count: 0
    .symbol:         _ZN2at6native32elementwise_kernel_manual_unrollILi128ELi4EZNS0_15gpu_kernel_implINS0_11FillFunctorIN3c104HalfEEEEEvRNS_18TensorIteratorBaseERKT_EUlibE_EEviT1_.kd
    .uniform_work_group_size: 1
    .uses_dynamic_stack: false
    .vgpr_count:     22
    .vgpr_spill_count: 0
    .wavefront_size: 64
  - .agpr_count:     0
    .args:
      - .offset:         0
        .size:           4
        .value_kind:     by_value
      - .offset:         8
        .size:           280
        .value_kind:     by_value
    .group_segment_fixed_size: 0
    .kernarg_segment_align: 8
    .kernarg_segment_size: 288
    .language:       OpenCL C
    .language_version:
      - 2
      - 0
    .max_flat_workgroup_size: 128
    .name:           _ZN2at6native32elementwise_kernel_manual_unrollILi128ELi4EZNS0_15gpu_kernel_implINS0_11FillFunctorIN3c104HalfEEEEEvRNS_18TensorIteratorBaseERKT_EUlibE0_EEviT1_
    .private_segment_fixed_size: 0
    .sgpr_count:     100
    .sgpr_spill_count: 0
    .symbol:         _ZN2at6native32elementwise_kernel_manual_unrollILi128ELi4EZNS0_15gpu_kernel_implINS0_11FillFunctorIN3c104HalfEEEEEvRNS_18TensorIteratorBaseERKT_EUlibE0_EEviT1_.kd
    .uniform_work_group_size: 1
    .uses_dynamic_stack: false
    .vgpr_count:     22
    .vgpr_spill_count: 0
    .wavefront_size: 64
  - .agpr_count:     0
    .args:
      - .offset:         0
        .size:           4
        .value_kind:     by_value
      - .offset:         4
        .size:           2
        .value_kind:     by_value
      - .address_space:  global
        .offset:         8
        .size:           8
        .value_kind:     global_buffer
    .group_segment_fixed_size: 0
    .kernarg_segment_align: 8
    .kernarg_segment_size: 16
    .language:       OpenCL C
    .language_version:
      - 2
      - 0
    .max_flat_workgroup_size: 256
    .name:           _ZN2at6native29vectorized_elementwise_kernelILi16ENS0_11FillFunctorIN3c108BFloat16EEESt5arrayIPcLm1EEEEviT0_T1_
    .private_segment_fixed_size: 0
    .sgpr_count:     14
    .sgpr_spill_count: 0
    .symbol:         _ZN2at6native29vectorized_elementwise_kernelILi16ENS0_11FillFunctorIN3c108BFloat16EEESt5arrayIPcLm1EEEEviT0_T1_.kd
    .uniform_work_group_size: 1
    .uses_dynamic_stack: false
    .vgpr_count:     7
    .vgpr_spill_count: 0
    .wavefront_size: 64
  - .agpr_count:     0
    .args:
      - .offset:         0
        .size:           4
        .value_kind:     by_value
      - .offset:         4
        .size:           2
        .value_kind:     by_value
      - .address_space:  global
        .offset:         8
        .size:           8
        .value_kind:     global_buffer
    .group_segment_fixed_size: 0
    .kernarg_segment_align: 8
    .kernarg_segment_size: 16
    .language:       OpenCL C
    .language_version:
      - 2
      - 0
    .max_flat_workgroup_size: 256
    .name:           _ZN2at6native29vectorized_elementwise_kernelILi8ENS0_11FillFunctorIN3c108BFloat16EEESt5arrayIPcLm1EEEEviT0_T1_
    .private_segment_fixed_size: 0
    .sgpr_count:     14
    .sgpr_spill_count: 0
    .symbol:         _ZN2at6native29vectorized_elementwise_kernelILi8ENS0_11FillFunctorIN3c108BFloat16EEESt5arrayIPcLm1EEEEviT0_T1_.kd
    .uniform_work_group_size: 1
    .uses_dynamic_stack: false
    .vgpr_count:     7
    .vgpr_spill_count: 0
    .wavefront_size: 64
  - .agpr_count:     0
    .args:
      - .offset:         0
        .size:           4
        .value_kind:     by_value
      - .offset:         4
        .size:           2
        .value_kind:     by_value
      - .address_space:  global
        .offset:         8
        .size:           8
        .value_kind:     global_buffer
    .group_segment_fixed_size: 0
    .kernarg_segment_align: 8
    .kernarg_segment_size: 16
    .language:       OpenCL C
    .language_version:
      - 2
      - 0
    .max_flat_workgroup_size: 256
    .name:           _ZN2at6native29vectorized_elementwise_kernelILi4ENS0_11FillFunctorIN3c108BFloat16EEESt5arrayIPcLm1EEEEviT0_T1_
    .private_segment_fixed_size: 0
    .sgpr_count:     14
    .sgpr_spill_count: 0
    .symbol:         _ZN2at6native29vectorized_elementwise_kernelILi4ENS0_11FillFunctorIN3c108BFloat16EEESt5arrayIPcLm1EEEEviT0_T1_.kd
    .uniform_work_group_size: 1
    .uses_dynamic_stack: false
    .vgpr_count:     4
    .vgpr_spill_count: 0
    .wavefront_size: 64
  - .agpr_count:     0
    .args:
      - .offset:         0
        .size:           4
        .value_kind:     by_value
      - .offset:         4
        .size:           2
        .value_kind:     by_value
      - .address_space:  global
        .offset:         8
        .size:           8
        .value_kind:     global_buffer
    .group_segment_fixed_size: 0
    .kernarg_segment_align: 8
    .kernarg_segment_size: 16
    .language:       OpenCL C
    .language_version:
      - 2
      - 0
    .max_flat_workgroup_size: 256
    .name:           _ZN2at6native29vectorized_elementwise_kernelILi2ENS0_11FillFunctorIN3c108BFloat16EEESt5arrayIPcLm1EEEEviT0_T1_
    .private_segment_fixed_size: 0
    .sgpr_count:     12
    .sgpr_spill_count: 0
    .symbol:         _ZN2at6native29vectorized_elementwise_kernelILi2ENS0_11FillFunctorIN3c108BFloat16EEESt5arrayIPcLm1EEEEviT0_T1_.kd
    .uniform_work_group_size: 1
    .uses_dynamic_stack: false
    .vgpr_count:     4
    .vgpr_spill_count: 0
    .wavefront_size: 64
  - .agpr_count:     0
    .args:
      - .offset:         0
        .size:           4
        .value_kind:     by_value
      - .offset:         4
        .size:           2
        .value_kind:     by_value
      - .address_space:  global
        .offset:         8
        .size:           8
        .value_kind:     global_buffer
      - .offset:         16
        .size:           1
        .value_kind:     by_value
      - .offset:         17
        .size:           1
        .value_kind:     by_value
      - .offset:         18
        .size:           1
        .value_kind:     by_value
      - .offset:         19
        .size:           1
        .value_kind:     by_value
    .group_segment_fixed_size: 0
    .kernarg_segment_align: 8
    .kernarg_segment_size: 20
    .language:       OpenCL C
    .language_version:
      - 2
      - 0
    .max_flat_workgroup_size: 256
    .name:           _ZN2at6native27unrolled_elementwise_kernelINS0_11FillFunctorIN3c108BFloat16EEESt5arrayIPcLm1EELi4E23TrivialOffsetCalculatorILi0EjES9_ILi1EjENS0_6memory15LoadWithoutCastENSC_16StoreWithoutCastEEEviT_T0_T2_T3_T4_T5_
    .private_segment_fixed_size: 0
    .sgpr_count:     11
    .sgpr_spill_count: 0
    .symbol:         _ZN2at6native27unrolled_elementwise_kernelINS0_11FillFunctorIN3c108BFloat16EEESt5arrayIPcLm1EELi4E23TrivialOffsetCalculatorILi0EjES9_ILi1EjENS0_6memory15LoadWithoutCastENSC_16StoreWithoutCastEEEviT_T0_T2_T3_T4_T5_.kd
    .uniform_work_group_size: 1
    .uses_dynamic_stack: false
    .vgpr_count:     4
    .vgpr_spill_count: 0
    .wavefront_size: 64
  - .agpr_count:     0
    .args:
      - .offset:         0
        .size:           4
        .value_kind:     by_value
      - .offset:         8
        .size:           280
        .value_kind:     by_value
    .group_segment_fixed_size: 0
    .kernarg_segment_align: 8
    .kernarg_segment_size: 288
    .language:       OpenCL C
    .language_version:
      - 2
      - 0
    .max_flat_workgroup_size: 128
    .name:           _ZN2at6native32elementwise_kernel_manual_unrollILi128ELi8EZNS0_22gpu_kernel_impl_nocastINS0_11FillFunctorIN3c108BFloat16EEEEEvRNS_18TensorIteratorBaseERKT_EUlibE_EEviT1_
    .private_segment_fixed_size: 0
    .sgpr_count:     57
    .sgpr_spill_count: 0
    .symbol:         _ZN2at6native32elementwise_kernel_manual_unrollILi128ELi8EZNS0_22gpu_kernel_impl_nocastINS0_11FillFunctorIN3c108BFloat16EEEEEvRNS_18TensorIteratorBaseERKT_EUlibE_EEviT1_.kd
    .uniform_work_group_size: 1
    .uses_dynamic_stack: false
    .vgpr_count:     17
    .vgpr_spill_count: 0
    .wavefront_size: 64
  - .agpr_count:     0
    .args:
      - .offset:         0
        .size:           4
        .value_kind:     by_value
      - .offset:         8
        .size:           16
        .value_kind:     by_value
    .group_segment_fixed_size: 0
    .kernarg_segment_align: 8
    .kernarg_segment_size: 24
    .language:       OpenCL C
    .language_version:
      - 2
      - 0
    .max_flat_workgroup_size: 128
    .name:           _ZN2at6native32elementwise_kernel_manual_unrollILi128ELi4EZNS0_15gpu_kernel_implINS0_11FillFunctorIN3c108BFloat16EEEEEvRNS_18TensorIteratorBaseERKT_EUlibE_EEviT1_
    .private_segment_fixed_size: 0
    .sgpr_count:     69
    .sgpr_spill_count: 0
    .symbol:         _ZN2at6native32elementwise_kernel_manual_unrollILi128ELi4EZNS0_15gpu_kernel_implINS0_11FillFunctorIN3c108BFloat16EEEEEvRNS_18TensorIteratorBaseERKT_EUlibE_EEviT1_.kd
    .uniform_work_group_size: 1
    .uses_dynamic_stack: false
    .vgpr_count:     17
    .vgpr_spill_count: 0
    .wavefront_size: 64
  - .agpr_count:     0
    .args:
      - .offset:         0
        .size:           4
        .value_kind:     by_value
      - .offset:         8
        .size:           280
        .value_kind:     by_value
    .group_segment_fixed_size: 0
    .kernarg_segment_align: 8
    .kernarg_segment_size: 288
    .language:       OpenCL C
    .language_version:
      - 2
      - 0
    .max_flat_workgroup_size: 128
    .name:           _ZN2at6native32elementwise_kernel_manual_unrollILi128ELi4EZNS0_15gpu_kernel_implINS0_11FillFunctorIN3c108BFloat16EEEEEvRNS_18TensorIteratorBaseERKT_EUlibE0_EEviT1_
    .private_segment_fixed_size: 0
    .sgpr_count:     100
    .sgpr_spill_count: 8
    .symbol:         _ZN2at6native32elementwise_kernel_manual_unrollILi128ELi4EZNS0_15gpu_kernel_implINS0_11FillFunctorIN3c108BFloat16EEEEEvRNS_18TensorIteratorBaseERKT_EUlibE0_EEviT1_.kd
    .uniform_work_group_size: 1
    .uses_dynamic_stack: false
    .vgpr_count:     19
    .vgpr_spill_count: 0
    .wavefront_size: 64
  - .agpr_count:     0
    .args:
      - .offset:         0
        .size:           4
        .value_kind:     by_value
      - .offset:         4
        .size:           1
        .value_kind:     by_value
      - .address_space:  global
        .offset:         8
        .size:           8
        .value_kind:     global_buffer
    .group_segment_fixed_size: 0
    .kernarg_segment_align: 8
    .kernarg_segment_size: 16
    .language:       OpenCL C
    .language_version:
      - 2
      - 0
    .max_flat_workgroup_size: 256
    .name:           _ZN2at6native29vectorized_elementwise_kernelILi16ENS0_11FillFunctorIN3c1011Float8_e5m2EEESt5arrayIPcLm1EEEEviT0_T1_
    .private_segment_fixed_size: 0
    .sgpr_count:     13
    .sgpr_spill_count: 0
    .symbol:         _ZN2at6native29vectorized_elementwise_kernelILi16ENS0_11FillFunctorIN3c1011Float8_e5m2EEESt5arrayIPcLm1EEEEviT0_T1_.kd
    .uniform_work_group_size: 1
    .uses_dynamic_stack: false
    .vgpr_count:     8
    .vgpr_spill_count: 0
    .wavefront_size: 64
  - .agpr_count:     0
    .args:
      - .offset:         0
        .size:           4
        .value_kind:     by_value
      - .offset:         4
        .size:           1
        .value_kind:     by_value
      - .address_space:  global
        .offset:         8
        .size:           8
        .value_kind:     global_buffer
    .group_segment_fixed_size: 0
    .kernarg_segment_align: 8
    .kernarg_segment_size: 16
    .language:       OpenCL C
    .language_version:
      - 2
      - 0
    .max_flat_workgroup_size: 256
    .name:           _ZN2at6native29vectorized_elementwise_kernelILi8ENS0_11FillFunctorIN3c1011Float8_e5m2EEESt5arrayIPcLm1EEEEviT0_T1_
    .private_segment_fixed_size: 0
    .sgpr_count:     14
    .sgpr_spill_count: 0
    .symbol:         _ZN2at6native29vectorized_elementwise_kernelILi8ENS0_11FillFunctorIN3c1011Float8_e5m2EEESt5arrayIPcLm1EEEEviT0_T1_.kd
    .uniform_work_group_size: 1
    .uses_dynamic_stack: false
    .vgpr_count:     4
    .vgpr_spill_count: 0
    .wavefront_size: 64
  - .agpr_count:     0
    .args:
      - .offset:         0
        .size:           4
        .value_kind:     by_value
      - .offset:         4
        .size:           1
        .value_kind:     by_value
      - .address_space:  global
        .offset:         8
        .size:           8
        .value_kind:     global_buffer
    .group_segment_fixed_size: 0
    .kernarg_segment_align: 8
    .kernarg_segment_size: 16
    .language:       OpenCL C
    .language_version:
      - 2
      - 0
    .max_flat_workgroup_size: 256
    .name:           _ZN2at6native29vectorized_elementwise_kernelILi4ENS0_11FillFunctorIN3c1011Float8_e5m2EEESt5arrayIPcLm1EEEEviT0_T1_
    .private_segment_fixed_size: 0
    .sgpr_count:     12
    .sgpr_spill_count: 0
    .symbol:         _ZN2at6native29vectorized_elementwise_kernelILi4ENS0_11FillFunctorIN3c1011Float8_e5m2EEESt5arrayIPcLm1EEEEviT0_T1_.kd
    .uniform_work_group_size: 1
    .uses_dynamic_stack: false
    .vgpr_count:     3
    .vgpr_spill_count: 0
    .wavefront_size: 64
  - .agpr_count:     0
    .args:
      - .offset:         0
        .size:           4
        .value_kind:     by_value
      - .offset:         4
        .size:           1
        .value_kind:     by_value
      - .address_space:  global
        .offset:         8
        .size:           8
        .value_kind:     global_buffer
    .group_segment_fixed_size: 0
    .kernarg_segment_align: 8
    .kernarg_segment_size: 16
    .language:       OpenCL C
    .language_version:
      - 2
      - 0
    .max_flat_workgroup_size: 256
    .name:           _ZN2at6native29vectorized_elementwise_kernelILi2ENS0_11FillFunctorIN3c1011Float8_e5m2EEESt5arrayIPcLm1EEEEviT0_T1_
    .private_segment_fixed_size: 0
    .sgpr_count:     11
    .sgpr_spill_count: 0
    .symbol:         _ZN2at6native29vectorized_elementwise_kernelILi2ENS0_11FillFunctorIN3c1011Float8_e5m2EEESt5arrayIPcLm1EEEEviT0_T1_.kd
    .uniform_work_group_size: 1
    .uses_dynamic_stack: false
    .vgpr_count:     3
    .vgpr_spill_count: 0
    .wavefront_size: 64
  - .agpr_count:     0
    .args:
      - .offset:         0
        .size:           4
        .value_kind:     by_value
      - .offset:         4
        .size:           1
        .value_kind:     by_value
      - .address_space:  global
        .offset:         8
        .size:           8
        .value_kind:     global_buffer
      - .offset:         16
        .size:           1
        .value_kind:     by_value
      - .offset:         17
        .size:           1
        .value_kind:     by_value
      - .offset:         18
        .size:           1
        .value_kind:     by_value
      - .offset:         19
        .size:           1
        .value_kind:     by_value
    .group_segment_fixed_size: 0
    .kernarg_segment_align: 8
    .kernarg_segment_size: 20
    .language:       OpenCL C
    .language_version:
      - 2
      - 0
    .max_flat_workgroup_size: 256
    .name:           _ZN2at6native27unrolled_elementwise_kernelINS0_11FillFunctorIN3c1011Float8_e5m2EEESt5arrayIPcLm1EELi4E23TrivialOffsetCalculatorILi0EjES9_ILi1EjENS0_6memory15LoadWithoutCastENSC_16StoreWithoutCastEEEviT_T0_T2_T3_T4_T5_
    .private_segment_fixed_size: 0
    .sgpr_count:     11
    .sgpr_spill_count: 0
    .symbol:         _ZN2at6native27unrolled_elementwise_kernelINS0_11FillFunctorIN3c1011Float8_e5m2EEESt5arrayIPcLm1EELi4E23TrivialOffsetCalculatorILi0EjES9_ILi1EjENS0_6memory15LoadWithoutCastENSC_16StoreWithoutCastEEEviT_T0_T2_T3_T4_T5_.kd
    .uniform_work_group_size: 1
    .uses_dynamic_stack: false
    .vgpr_count:     3
    .vgpr_spill_count: 0
    .wavefront_size: 64
  - .agpr_count:     0
    .args:
      - .offset:         0
        .size:           4
        .value_kind:     by_value
      - .offset:         8
        .size:           280
        .value_kind:     by_value
    .group_segment_fixed_size: 0
    .kernarg_segment_align: 8
    .kernarg_segment_size: 288
    .language:       OpenCL C
    .language_version:
      - 2
      - 0
    .max_flat_workgroup_size: 128
    .name:           _ZN2at6native32elementwise_kernel_manual_unrollILi128ELi8EZNS0_22gpu_kernel_impl_nocastINS0_11FillFunctorIN3c1011Float8_e5m2EEEEEvRNS_18TensorIteratorBaseERKT_EUlibE_EEviT1_
    .private_segment_fixed_size: 0
    .sgpr_count:     57
    .sgpr_spill_count: 0
    .symbol:         _ZN2at6native32elementwise_kernel_manual_unrollILi128ELi8EZNS0_22gpu_kernel_impl_nocastINS0_11FillFunctorIN3c1011Float8_e5m2EEEEEvRNS_18TensorIteratorBaseERKT_EUlibE_EEviT1_.kd
    .uniform_work_group_size: 1
    .uses_dynamic_stack: false
    .vgpr_count:     17
    .vgpr_spill_count: 0
    .wavefront_size: 64
  - .agpr_count:     0
    .args:
      - .offset:         0
        .size:           4
        .value_kind:     by_value
      - .offset:         8
        .size:           16
        .value_kind:     by_value
    .group_segment_fixed_size: 0
    .kernarg_segment_align: 8
    .kernarg_segment_size: 24
    .language:       OpenCL C
    .language_version:
      - 2
      - 0
    .max_flat_workgroup_size: 128
    .name:           _ZN2at6native32elementwise_kernel_manual_unrollILi128ELi4EZNS0_15gpu_kernel_implINS0_11FillFunctorIN3c1011Float8_e5m2EEEEEvRNS_18TensorIteratorBaseERKT_EUlibE_EEviT1_
    .private_segment_fixed_size: 0
    .sgpr_count:     57
    .sgpr_spill_count: 0
    .symbol:         _ZN2at6native32elementwise_kernel_manual_unrollILi128ELi4EZNS0_15gpu_kernel_implINS0_11FillFunctorIN3c1011Float8_e5m2EEEEEvRNS_18TensorIteratorBaseERKT_EUlibE_EEviT1_.kd
    .uniform_work_group_size: 1
    .uses_dynamic_stack: false
    .vgpr_count:     21
    .vgpr_spill_count: 0
    .wavefront_size: 64
  - .agpr_count:     0
    .args:
      - .offset:         0
        .size:           4
        .value_kind:     by_value
      - .offset:         8
        .size:           280
        .value_kind:     by_value
    .group_segment_fixed_size: 0
    .kernarg_segment_align: 8
    .kernarg_segment_size: 288
    .language:       OpenCL C
    .language_version:
      - 2
      - 0
    .max_flat_workgroup_size: 128
    .name:           _ZN2at6native32elementwise_kernel_manual_unrollILi128ELi4EZNS0_15gpu_kernel_implINS0_11FillFunctorIN3c1011Float8_e5m2EEEEEvRNS_18TensorIteratorBaseERKT_EUlibE0_EEviT1_
    .private_segment_fixed_size: 0
    .sgpr_count:     91
    .sgpr_spill_count: 0
    .symbol:         _ZN2at6native32elementwise_kernel_manual_unrollILi128ELi4EZNS0_15gpu_kernel_implINS0_11FillFunctorIN3c1011Float8_e5m2EEEEEvRNS_18TensorIteratorBaseERKT_EUlibE0_EEviT1_.kd
    .uniform_work_group_size: 1
    .uses_dynamic_stack: false
    .vgpr_count:     23
    .vgpr_spill_count: 0
    .wavefront_size: 64
  - .agpr_count:     0
    .args:
      - .offset:         0
        .size:           4
        .value_kind:     by_value
      - .offset:         4
        .size:           1
        .value_kind:     by_value
      - .address_space:  global
        .offset:         8
        .size:           8
        .value_kind:     global_buffer
    .group_segment_fixed_size: 0
    .kernarg_segment_align: 8
    .kernarg_segment_size: 16
    .language:       OpenCL C
    .language_version:
      - 2
      - 0
    .max_flat_workgroup_size: 256
    .name:           _ZN2at6native29vectorized_elementwise_kernelILi16ENS0_11FillFunctorIN3c1015Float8_e5m2fnuzEEESt5arrayIPcLm1EEEEviT0_T1_
    .private_segment_fixed_size: 0
    .sgpr_count:     13
    .sgpr_spill_count: 0
    .symbol:         _ZN2at6native29vectorized_elementwise_kernelILi16ENS0_11FillFunctorIN3c1015Float8_e5m2fnuzEEESt5arrayIPcLm1EEEEviT0_T1_.kd
    .uniform_work_group_size: 1
    .uses_dynamic_stack: false
    .vgpr_count:     8
    .vgpr_spill_count: 0
    .wavefront_size: 64
  - .agpr_count:     0
    .args:
      - .offset:         0
        .size:           4
        .value_kind:     by_value
      - .offset:         4
        .size:           1
        .value_kind:     by_value
      - .address_space:  global
        .offset:         8
        .size:           8
        .value_kind:     global_buffer
    .group_segment_fixed_size: 0
    .kernarg_segment_align: 8
    .kernarg_segment_size: 16
    .language:       OpenCL C
    .language_version:
      - 2
      - 0
    .max_flat_workgroup_size: 256
    .name:           _ZN2at6native29vectorized_elementwise_kernelILi8ENS0_11FillFunctorIN3c1015Float8_e5m2fnuzEEESt5arrayIPcLm1EEEEviT0_T1_
    .private_segment_fixed_size: 0
    .sgpr_count:     14
    .sgpr_spill_count: 0
    .symbol:         _ZN2at6native29vectorized_elementwise_kernelILi8ENS0_11FillFunctorIN3c1015Float8_e5m2fnuzEEESt5arrayIPcLm1EEEEviT0_T1_.kd
    .uniform_work_group_size: 1
    .uses_dynamic_stack: false
    .vgpr_count:     4
    .vgpr_spill_count: 0
    .wavefront_size: 64
  - .agpr_count:     0
    .args:
      - .offset:         0
        .size:           4
        .value_kind:     by_value
      - .offset:         4
        .size:           1
        .value_kind:     by_value
      - .address_space:  global
        .offset:         8
        .size:           8
        .value_kind:     global_buffer
    .group_segment_fixed_size: 0
    .kernarg_segment_align: 8
    .kernarg_segment_size: 16
    .language:       OpenCL C
    .language_version:
      - 2
      - 0
    .max_flat_workgroup_size: 256
    .name:           _ZN2at6native29vectorized_elementwise_kernelILi4ENS0_11FillFunctorIN3c1015Float8_e5m2fnuzEEESt5arrayIPcLm1EEEEviT0_T1_
    .private_segment_fixed_size: 0
    .sgpr_count:     12
    .sgpr_spill_count: 0
    .symbol:         _ZN2at6native29vectorized_elementwise_kernelILi4ENS0_11FillFunctorIN3c1015Float8_e5m2fnuzEEESt5arrayIPcLm1EEEEviT0_T1_.kd
    .uniform_work_group_size: 1
    .uses_dynamic_stack: false
    .vgpr_count:     3
    .vgpr_spill_count: 0
    .wavefront_size: 64
  - .agpr_count:     0
    .args:
      - .offset:         0
        .size:           4
        .value_kind:     by_value
      - .offset:         4
        .size:           1
        .value_kind:     by_value
      - .address_space:  global
        .offset:         8
        .size:           8
        .value_kind:     global_buffer
    .group_segment_fixed_size: 0
    .kernarg_segment_align: 8
    .kernarg_segment_size: 16
    .language:       OpenCL C
    .language_version:
      - 2
      - 0
    .max_flat_workgroup_size: 256
    .name:           _ZN2at6native29vectorized_elementwise_kernelILi2ENS0_11FillFunctorIN3c1015Float8_e5m2fnuzEEESt5arrayIPcLm1EEEEviT0_T1_
    .private_segment_fixed_size: 0
    .sgpr_count:     11
    .sgpr_spill_count: 0
    .symbol:         _ZN2at6native29vectorized_elementwise_kernelILi2ENS0_11FillFunctorIN3c1015Float8_e5m2fnuzEEESt5arrayIPcLm1EEEEviT0_T1_.kd
    .uniform_work_group_size: 1
    .uses_dynamic_stack: false
    .vgpr_count:     3
    .vgpr_spill_count: 0
    .wavefront_size: 64
  - .agpr_count:     0
    .args:
      - .offset:         0
        .size:           4
        .value_kind:     by_value
      - .offset:         4
        .size:           1
        .value_kind:     by_value
      - .address_space:  global
        .offset:         8
        .size:           8
        .value_kind:     global_buffer
      - .offset:         16
        .size:           1
        .value_kind:     by_value
      - .offset:         17
        .size:           1
        .value_kind:     by_value
      - .offset:         18
        .size:           1
        .value_kind:     by_value
      - .offset:         19
        .size:           1
        .value_kind:     by_value
    .group_segment_fixed_size: 0
    .kernarg_segment_align: 8
    .kernarg_segment_size: 20
    .language:       OpenCL C
    .language_version:
      - 2
      - 0
    .max_flat_workgroup_size: 256
    .name:           _ZN2at6native27unrolled_elementwise_kernelINS0_11FillFunctorIN3c1015Float8_e5m2fnuzEEESt5arrayIPcLm1EELi4E23TrivialOffsetCalculatorILi0EjES9_ILi1EjENS0_6memory15LoadWithoutCastENSC_16StoreWithoutCastEEEviT_T0_T2_T3_T4_T5_
    .private_segment_fixed_size: 0
    .sgpr_count:     11
    .sgpr_spill_count: 0
    .symbol:         _ZN2at6native27unrolled_elementwise_kernelINS0_11FillFunctorIN3c1015Float8_e5m2fnuzEEESt5arrayIPcLm1EELi4E23TrivialOffsetCalculatorILi0EjES9_ILi1EjENS0_6memory15LoadWithoutCastENSC_16StoreWithoutCastEEEviT_T0_T2_T3_T4_T5_.kd
    .uniform_work_group_size: 1
    .uses_dynamic_stack: false
    .vgpr_count:     3
    .vgpr_spill_count: 0
    .wavefront_size: 64
  - .agpr_count:     0
    .args:
      - .offset:         0
        .size:           4
        .value_kind:     by_value
      - .offset:         8
        .size:           280
        .value_kind:     by_value
    .group_segment_fixed_size: 0
    .kernarg_segment_align: 8
    .kernarg_segment_size: 288
    .language:       OpenCL C
    .language_version:
      - 2
      - 0
    .max_flat_workgroup_size: 128
    .name:           _ZN2at6native32elementwise_kernel_manual_unrollILi128ELi8EZNS0_22gpu_kernel_impl_nocastINS0_11FillFunctorIN3c1015Float8_e5m2fnuzEEEEEvRNS_18TensorIteratorBaseERKT_EUlibE_EEviT1_
    .private_segment_fixed_size: 0
    .sgpr_count:     57
    .sgpr_spill_count: 0
    .symbol:         _ZN2at6native32elementwise_kernel_manual_unrollILi128ELi8EZNS0_22gpu_kernel_impl_nocastINS0_11FillFunctorIN3c1015Float8_e5m2fnuzEEEEEvRNS_18TensorIteratorBaseERKT_EUlibE_EEviT1_.kd
    .uniform_work_group_size: 1
    .uses_dynamic_stack: false
    .vgpr_count:     17
    .vgpr_spill_count: 0
    .wavefront_size: 64
  - .agpr_count:     0
    .args:
      - .offset:         0
        .size:           4
        .value_kind:     by_value
      - .offset:         8
        .size:           16
        .value_kind:     by_value
    .group_segment_fixed_size: 0
    .kernarg_segment_align: 8
    .kernarg_segment_size: 24
    .language:       OpenCL C
    .language_version:
      - 2
      - 0
    .max_flat_workgroup_size: 128
    .name:           _ZN2at6native32elementwise_kernel_manual_unrollILi128ELi4EZNS0_15gpu_kernel_implINS0_11FillFunctorIN3c1015Float8_e5m2fnuzEEEEEvRNS_18TensorIteratorBaseERKT_EUlibE_EEviT1_
    .private_segment_fixed_size: 0
    .sgpr_count:     39
    .sgpr_spill_count: 0
    .symbol:         _ZN2at6native32elementwise_kernel_manual_unrollILi128ELi4EZNS0_15gpu_kernel_implINS0_11FillFunctorIN3c1015Float8_e5m2fnuzEEEEEvRNS_18TensorIteratorBaseERKT_EUlibE_EEviT1_.kd
    .uniform_work_group_size: 1
    .uses_dynamic_stack: false
    .vgpr_count:     17
    .vgpr_spill_count: 0
    .wavefront_size: 64
  - .agpr_count:     0
    .args:
      - .offset:         0
        .size:           4
        .value_kind:     by_value
      - .offset:         8
        .size:           280
        .value_kind:     by_value
    .group_segment_fixed_size: 0
    .kernarg_segment_align: 8
    .kernarg_segment_size: 288
    .language:       OpenCL C
    .language_version:
      - 2
      - 0
    .max_flat_workgroup_size: 128
    .name:           _ZN2at6native32elementwise_kernel_manual_unrollILi128ELi4EZNS0_15gpu_kernel_implINS0_11FillFunctorIN3c1015Float8_e5m2fnuzEEEEEvRNS_18TensorIteratorBaseERKT_EUlibE0_EEviT1_
    .private_segment_fixed_size: 0
    .sgpr_count:     73
    .sgpr_spill_count: 0
    .symbol:         _ZN2at6native32elementwise_kernel_manual_unrollILi128ELi4EZNS0_15gpu_kernel_implINS0_11FillFunctorIN3c1015Float8_e5m2fnuzEEEEEvRNS_18TensorIteratorBaseERKT_EUlibE0_EEviT1_.kd
    .uniform_work_group_size: 1
    .uses_dynamic_stack: false
    .vgpr_count:     17
    .vgpr_spill_count: 0
    .wavefront_size: 64
  - .agpr_count:     0
    .args:
      - .offset:         0
        .size:           4
        .value_kind:     by_value
      - .offset:         4
        .size:           1
        .value_kind:     by_value
      - .address_space:  global
        .offset:         8
        .size:           8
        .value_kind:     global_buffer
    .group_segment_fixed_size: 0
    .kernarg_segment_align: 8
    .kernarg_segment_size: 16
    .language:       OpenCL C
    .language_version:
      - 2
      - 0
    .max_flat_workgroup_size: 256
    .name:           _ZN2at6native29vectorized_elementwise_kernelILi16ENS0_11FillFunctorIN3c1013Float8_e4m3fnEEESt5arrayIPcLm1EEEEviT0_T1_
    .private_segment_fixed_size: 0
    .sgpr_count:     13
    .sgpr_spill_count: 0
    .symbol:         _ZN2at6native29vectorized_elementwise_kernelILi16ENS0_11FillFunctorIN3c1013Float8_e4m3fnEEESt5arrayIPcLm1EEEEviT0_T1_.kd
    .uniform_work_group_size: 1
    .uses_dynamic_stack: false
    .vgpr_count:     8
    .vgpr_spill_count: 0
    .wavefront_size: 64
  - .agpr_count:     0
    .args:
      - .offset:         0
        .size:           4
        .value_kind:     by_value
      - .offset:         4
        .size:           1
        .value_kind:     by_value
      - .address_space:  global
        .offset:         8
        .size:           8
        .value_kind:     global_buffer
    .group_segment_fixed_size: 0
    .kernarg_segment_align: 8
    .kernarg_segment_size: 16
    .language:       OpenCL C
    .language_version:
      - 2
      - 0
    .max_flat_workgroup_size: 256
    .name:           _ZN2at6native29vectorized_elementwise_kernelILi8ENS0_11FillFunctorIN3c1013Float8_e4m3fnEEESt5arrayIPcLm1EEEEviT0_T1_
    .private_segment_fixed_size: 0
    .sgpr_count:     14
    .sgpr_spill_count: 0
    .symbol:         _ZN2at6native29vectorized_elementwise_kernelILi8ENS0_11FillFunctorIN3c1013Float8_e4m3fnEEESt5arrayIPcLm1EEEEviT0_T1_.kd
    .uniform_work_group_size: 1
    .uses_dynamic_stack: false
    .vgpr_count:     4
    .vgpr_spill_count: 0
    .wavefront_size: 64
  - .agpr_count:     0
    .args:
      - .offset:         0
        .size:           4
        .value_kind:     by_value
      - .offset:         4
        .size:           1
        .value_kind:     by_value
      - .address_space:  global
        .offset:         8
        .size:           8
        .value_kind:     global_buffer
    .group_segment_fixed_size: 0
    .kernarg_segment_align: 8
    .kernarg_segment_size: 16
    .language:       OpenCL C
    .language_version:
      - 2
      - 0
    .max_flat_workgroup_size: 256
    .name:           _ZN2at6native29vectorized_elementwise_kernelILi4ENS0_11FillFunctorIN3c1013Float8_e4m3fnEEESt5arrayIPcLm1EEEEviT0_T1_
    .private_segment_fixed_size: 0
    .sgpr_count:     12
    .sgpr_spill_count: 0
    .symbol:         _ZN2at6native29vectorized_elementwise_kernelILi4ENS0_11FillFunctorIN3c1013Float8_e4m3fnEEESt5arrayIPcLm1EEEEviT0_T1_.kd
    .uniform_work_group_size: 1
    .uses_dynamic_stack: false
    .vgpr_count:     3
    .vgpr_spill_count: 0
    .wavefront_size: 64
  - .agpr_count:     0
    .args:
      - .offset:         0
        .size:           4
        .value_kind:     by_value
      - .offset:         4
        .size:           1
        .value_kind:     by_value
      - .address_space:  global
        .offset:         8
        .size:           8
        .value_kind:     global_buffer
    .group_segment_fixed_size: 0
    .kernarg_segment_align: 8
    .kernarg_segment_size: 16
    .language:       OpenCL C
    .language_version:
      - 2
      - 0
    .max_flat_workgroup_size: 256
    .name:           _ZN2at6native29vectorized_elementwise_kernelILi2ENS0_11FillFunctorIN3c1013Float8_e4m3fnEEESt5arrayIPcLm1EEEEviT0_T1_
    .private_segment_fixed_size: 0
    .sgpr_count:     11
    .sgpr_spill_count: 0
    .symbol:         _ZN2at6native29vectorized_elementwise_kernelILi2ENS0_11FillFunctorIN3c1013Float8_e4m3fnEEESt5arrayIPcLm1EEEEviT0_T1_.kd
    .uniform_work_group_size: 1
    .uses_dynamic_stack: false
    .vgpr_count:     3
    .vgpr_spill_count: 0
    .wavefront_size: 64
  - .agpr_count:     0
    .args:
      - .offset:         0
        .size:           4
        .value_kind:     by_value
      - .offset:         4
        .size:           1
        .value_kind:     by_value
      - .address_space:  global
        .offset:         8
        .size:           8
        .value_kind:     global_buffer
      - .offset:         16
        .size:           1
        .value_kind:     by_value
      - .offset:         17
        .size:           1
        .value_kind:     by_value
      - .offset:         18
        .size:           1
        .value_kind:     by_value
      - .offset:         19
        .size:           1
        .value_kind:     by_value
    .group_segment_fixed_size: 0
    .kernarg_segment_align: 8
    .kernarg_segment_size: 20
    .language:       OpenCL C
    .language_version:
      - 2
      - 0
    .max_flat_workgroup_size: 256
    .name:           _ZN2at6native27unrolled_elementwise_kernelINS0_11FillFunctorIN3c1013Float8_e4m3fnEEESt5arrayIPcLm1EELi4E23TrivialOffsetCalculatorILi0EjES9_ILi1EjENS0_6memory15LoadWithoutCastENSC_16StoreWithoutCastEEEviT_T0_T2_T3_T4_T5_
    .private_segment_fixed_size: 0
    .sgpr_count:     11
    .sgpr_spill_count: 0
    .symbol:         _ZN2at6native27unrolled_elementwise_kernelINS0_11FillFunctorIN3c1013Float8_e4m3fnEEESt5arrayIPcLm1EELi4E23TrivialOffsetCalculatorILi0EjES9_ILi1EjENS0_6memory15LoadWithoutCastENSC_16StoreWithoutCastEEEviT_T0_T2_T3_T4_T5_.kd
    .uniform_work_group_size: 1
    .uses_dynamic_stack: false
    .vgpr_count:     3
    .vgpr_spill_count: 0
    .wavefront_size: 64
  - .agpr_count:     0
    .args:
      - .offset:         0
        .size:           4
        .value_kind:     by_value
      - .offset:         8
        .size:           280
        .value_kind:     by_value
    .group_segment_fixed_size: 0
    .kernarg_segment_align: 8
    .kernarg_segment_size: 288
    .language:       OpenCL C
    .language_version:
      - 2
      - 0
    .max_flat_workgroup_size: 128
    .name:           _ZN2at6native32elementwise_kernel_manual_unrollILi128ELi8EZNS0_22gpu_kernel_impl_nocastINS0_11FillFunctorIN3c1013Float8_e4m3fnEEEEEvRNS_18TensorIteratorBaseERKT_EUlibE_EEviT1_
    .private_segment_fixed_size: 0
    .sgpr_count:     57
    .sgpr_spill_count: 0
    .symbol:         _ZN2at6native32elementwise_kernel_manual_unrollILi128ELi8EZNS0_22gpu_kernel_impl_nocastINS0_11FillFunctorIN3c1013Float8_e4m3fnEEEEEvRNS_18TensorIteratorBaseERKT_EUlibE_EEviT1_.kd
    .uniform_work_group_size: 1
    .uses_dynamic_stack: false
    .vgpr_count:     17
    .vgpr_spill_count: 0
    .wavefront_size: 64
  - .agpr_count:     0
    .args:
      - .offset:         0
        .size:           4
        .value_kind:     by_value
      - .offset:         8
        .size:           16
        .value_kind:     by_value
    .group_segment_fixed_size: 0
    .kernarg_segment_align: 8
    .kernarg_segment_size: 24
    .language:       OpenCL C
    .language_version:
      - 2
      - 0
    .max_flat_workgroup_size: 128
    .name:           _ZN2at6native32elementwise_kernel_manual_unrollILi128ELi4EZNS0_15gpu_kernel_implINS0_11FillFunctorIN3c1013Float8_e4m3fnEEEEEvRNS_18TensorIteratorBaseERKT_EUlibE_EEviT1_
    .private_segment_fixed_size: 0
    .sgpr_count:     59
    .sgpr_spill_count: 0
    .symbol:         _ZN2at6native32elementwise_kernel_manual_unrollILi128ELi4EZNS0_15gpu_kernel_implINS0_11FillFunctorIN3c1013Float8_e4m3fnEEEEEvRNS_18TensorIteratorBaseERKT_EUlibE_EEviT1_.kd
    .uniform_work_group_size: 1
    .uses_dynamic_stack: false
    .vgpr_count:     19
    .vgpr_spill_count: 0
    .wavefront_size: 64
  - .agpr_count:     0
    .args:
      - .offset:         0
        .size:           4
        .value_kind:     by_value
      - .offset:         8
        .size:           280
        .value_kind:     by_value
    .group_segment_fixed_size: 0
    .kernarg_segment_align: 8
    .kernarg_segment_size: 288
    .language:       OpenCL C
    .language_version:
      - 2
      - 0
    .max_flat_workgroup_size: 128
    .name:           _ZN2at6native32elementwise_kernel_manual_unrollILi128ELi4EZNS0_15gpu_kernel_implINS0_11FillFunctorIN3c1013Float8_e4m3fnEEEEEvRNS_18TensorIteratorBaseERKT_EUlibE0_EEviT1_
    .private_segment_fixed_size: 0
    .sgpr_count:     93
    .sgpr_spill_count: 0
    .symbol:         _ZN2at6native32elementwise_kernel_manual_unrollILi128ELi4EZNS0_15gpu_kernel_implINS0_11FillFunctorIN3c1013Float8_e4m3fnEEEEEvRNS_18TensorIteratorBaseERKT_EUlibE0_EEviT1_.kd
    .uniform_work_group_size: 1
    .uses_dynamic_stack: false
    .vgpr_count:     21
    .vgpr_spill_count: 0
    .wavefront_size: 64
  - .agpr_count:     0
    .args:
      - .offset:         0
        .size:           4
        .value_kind:     by_value
      - .offset:         4
        .size:           1
        .value_kind:     by_value
      - .address_space:  global
        .offset:         8
        .size:           8
        .value_kind:     global_buffer
    .group_segment_fixed_size: 0
    .kernarg_segment_align: 8
    .kernarg_segment_size: 16
    .language:       OpenCL C
    .language_version:
      - 2
      - 0
    .max_flat_workgroup_size: 256
    .name:           _ZN2at6native29vectorized_elementwise_kernelILi16ENS0_11FillFunctorIN3c1015Float8_e4m3fnuzEEESt5arrayIPcLm1EEEEviT0_T1_
    .private_segment_fixed_size: 0
    .sgpr_count:     13
    .sgpr_spill_count: 0
    .symbol:         _ZN2at6native29vectorized_elementwise_kernelILi16ENS0_11FillFunctorIN3c1015Float8_e4m3fnuzEEESt5arrayIPcLm1EEEEviT0_T1_.kd
    .uniform_work_group_size: 1
    .uses_dynamic_stack: false
    .vgpr_count:     8
    .vgpr_spill_count: 0
    .wavefront_size: 64
  - .agpr_count:     0
    .args:
      - .offset:         0
        .size:           4
        .value_kind:     by_value
      - .offset:         4
        .size:           1
        .value_kind:     by_value
      - .address_space:  global
        .offset:         8
        .size:           8
        .value_kind:     global_buffer
    .group_segment_fixed_size: 0
    .kernarg_segment_align: 8
    .kernarg_segment_size: 16
    .language:       OpenCL C
    .language_version:
      - 2
      - 0
    .max_flat_workgroup_size: 256
    .name:           _ZN2at6native29vectorized_elementwise_kernelILi8ENS0_11FillFunctorIN3c1015Float8_e4m3fnuzEEESt5arrayIPcLm1EEEEviT0_T1_
    .private_segment_fixed_size: 0
    .sgpr_count:     14
    .sgpr_spill_count: 0
    .symbol:         _ZN2at6native29vectorized_elementwise_kernelILi8ENS0_11FillFunctorIN3c1015Float8_e4m3fnuzEEESt5arrayIPcLm1EEEEviT0_T1_.kd
    .uniform_work_group_size: 1
    .uses_dynamic_stack: false
    .vgpr_count:     4
    .vgpr_spill_count: 0
    .wavefront_size: 64
  - .agpr_count:     0
    .args:
      - .offset:         0
        .size:           4
        .value_kind:     by_value
      - .offset:         4
        .size:           1
        .value_kind:     by_value
      - .address_space:  global
        .offset:         8
        .size:           8
        .value_kind:     global_buffer
    .group_segment_fixed_size: 0
    .kernarg_segment_align: 8
    .kernarg_segment_size: 16
    .language:       OpenCL C
    .language_version:
      - 2
      - 0
    .max_flat_workgroup_size: 256
    .name:           _ZN2at6native29vectorized_elementwise_kernelILi4ENS0_11FillFunctorIN3c1015Float8_e4m3fnuzEEESt5arrayIPcLm1EEEEviT0_T1_
    .private_segment_fixed_size: 0
    .sgpr_count:     12
    .sgpr_spill_count: 0
    .symbol:         _ZN2at6native29vectorized_elementwise_kernelILi4ENS0_11FillFunctorIN3c1015Float8_e4m3fnuzEEESt5arrayIPcLm1EEEEviT0_T1_.kd
    .uniform_work_group_size: 1
    .uses_dynamic_stack: false
    .vgpr_count:     3
    .vgpr_spill_count: 0
    .wavefront_size: 64
  - .agpr_count:     0
    .args:
      - .offset:         0
        .size:           4
        .value_kind:     by_value
      - .offset:         4
        .size:           1
        .value_kind:     by_value
      - .address_space:  global
        .offset:         8
        .size:           8
        .value_kind:     global_buffer
    .group_segment_fixed_size: 0
    .kernarg_segment_align: 8
    .kernarg_segment_size: 16
    .language:       OpenCL C
    .language_version:
      - 2
      - 0
    .max_flat_workgroup_size: 256
    .name:           _ZN2at6native29vectorized_elementwise_kernelILi2ENS0_11FillFunctorIN3c1015Float8_e4m3fnuzEEESt5arrayIPcLm1EEEEviT0_T1_
    .private_segment_fixed_size: 0
    .sgpr_count:     11
    .sgpr_spill_count: 0
    .symbol:         _ZN2at6native29vectorized_elementwise_kernelILi2ENS0_11FillFunctorIN3c1015Float8_e4m3fnuzEEESt5arrayIPcLm1EEEEviT0_T1_.kd
    .uniform_work_group_size: 1
    .uses_dynamic_stack: false
    .vgpr_count:     3
    .vgpr_spill_count: 0
    .wavefront_size: 64
  - .agpr_count:     0
    .args:
      - .offset:         0
        .size:           4
        .value_kind:     by_value
      - .offset:         4
        .size:           1
        .value_kind:     by_value
      - .address_space:  global
        .offset:         8
        .size:           8
        .value_kind:     global_buffer
      - .offset:         16
        .size:           1
        .value_kind:     by_value
      - .offset:         17
        .size:           1
        .value_kind:     by_value
      - .offset:         18
        .size:           1
        .value_kind:     by_value
      - .offset:         19
        .size:           1
        .value_kind:     by_value
    .group_segment_fixed_size: 0
    .kernarg_segment_align: 8
    .kernarg_segment_size: 20
    .language:       OpenCL C
    .language_version:
      - 2
      - 0
    .max_flat_workgroup_size: 256
    .name:           _ZN2at6native27unrolled_elementwise_kernelINS0_11FillFunctorIN3c1015Float8_e4m3fnuzEEESt5arrayIPcLm1EELi4E23TrivialOffsetCalculatorILi0EjES9_ILi1EjENS0_6memory15LoadWithoutCastENSC_16StoreWithoutCastEEEviT_T0_T2_T3_T4_T5_
    .private_segment_fixed_size: 0
    .sgpr_count:     11
    .sgpr_spill_count: 0
    .symbol:         _ZN2at6native27unrolled_elementwise_kernelINS0_11FillFunctorIN3c1015Float8_e4m3fnuzEEESt5arrayIPcLm1EELi4E23TrivialOffsetCalculatorILi0EjES9_ILi1EjENS0_6memory15LoadWithoutCastENSC_16StoreWithoutCastEEEviT_T0_T2_T3_T4_T5_.kd
    .uniform_work_group_size: 1
    .uses_dynamic_stack: false
    .vgpr_count:     3
    .vgpr_spill_count: 0
    .wavefront_size: 64
  - .agpr_count:     0
    .args:
      - .offset:         0
        .size:           4
        .value_kind:     by_value
      - .offset:         8
        .size:           280
        .value_kind:     by_value
    .group_segment_fixed_size: 0
    .kernarg_segment_align: 8
    .kernarg_segment_size: 288
    .language:       OpenCL C
    .language_version:
      - 2
      - 0
    .max_flat_workgroup_size: 128
    .name:           _ZN2at6native32elementwise_kernel_manual_unrollILi128ELi8EZNS0_22gpu_kernel_impl_nocastINS0_11FillFunctorIN3c1015Float8_e4m3fnuzEEEEEvRNS_18TensorIteratorBaseERKT_EUlibE_EEviT1_
    .private_segment_fixed_size: 0
    .sgpr_count:     57
    .sgpr_spill_count: 0
    .symbol:         _ZN2at6native32elementwise_kernel_manual_unrollILi128ELi8EZNS0_22gpu_kernel_impl_nocastINS0_11FillFunctorIN3c1015Float8_e4m3fnuzEEEEEvRNS_18TensorIteratorBaseERKT_EUlibE_EEviT1_.kd
    .uniform_work_group_size: 1
    .uses_dynamic_stack: false
    .vgpr_count:     17
    .vgpr_spill_count: 0
    .wavefront_size: 64
  - .agpr_count:     0
    .args:
      - .offset:         0
        .size:           4
        .value_kind:     by_value
      - .offset:         8
        .size:           16
        .value_kind:     by_value
    .group_segment_fixed_size: 0
    .kernarg_segment_align: 8
    .kernarg_segment_size: 24
    .language:       OpenCL C
    .language_version:
      - 2
      - 0
    .max_flat_workgroup_size: 128
    .name:           _ZN2at6native32elementwise_kernel_manual_unrollILi128ELi4EZNS0_15gpu_kernel_implINS0_11FillFunctorIN3c1015Float8_e4m3fnuzEEEEEvRNS_18TensorIteratorBaseERKT_EUlibE_EEviT1_
    .private_segment_fixed_size: 0
    .sgpr_count:     40
    .sgpr_spill_count: 0
    .symbol:         _ZN2at6native32elementwise_kernel_manual_unrollILi128ELi4EZNS0_15gpu_kernel_implINS0_11FillFunctorIN3c1015Float8_e4m3fnuzEEEEEvRNS_18TensorIteratorBaseERKT_EUlibE_EEviT1_.kd
    .uniform_work_group_size: 1
    .uses_dynamic_stack: false
    .vgpr_count:     17
    .vgpr_spill_count: 0
    .wavefront_size: 64
  - .agpr_count:     0
    .args:
      - .offset:         0
        .size:           4
        .value_kind:     by_value
      - .offset:         8
        .size:           280
        .value_kind:     by_value
    .group_segment_fixed_size: 0
    .kernarg_segment_align: 8
    .kernarg_segment_size: 288
    .language:       OpenCL C
    .language_version:
      - 2
      - 0
    .max_flat_workgroup_size: 128
    .name:           _ZN2at6native32elementwise_kernel_manual_unrollILi128ELi4EZNS0_15gpu_kernel_implINS0_11FillFunctorIN3c1015Float8_e4m3fnuzEEEEEvRNS_18TensorIteratorBaseERKT_EUlibE0_EEviT1_
    .private_segment_fixed_size: 0
    .sgpr_count:     73
    .sgpr_spill_count: 0
    .symbol:         _ZN2at6native32elementwise_kernel_manual_unrollILi128ELi4EZNS0_15gpu_kernel_implINS0_11FillFunctorIN3c1015Float8_e4m3fnuzEEEEEvRNS_18TensorIteratorBaseERKT_EUlibE0_EEviT1_.kd
    .uniform_work_group_size: 1
    .uses_dynamic_stack: false
    .vgpr_count:     17
    .vgpr_spill_count: 0
    .wavefront_size: 64
  - .agpr_count:     0
    .args:
      - .offset:         0
        .size:           4
        .value_kind:     by_value
      - .offset:         4
        .size:           1
        .value_kind:     by_value
      - .address_space:  global
        .offset:         8
        .size:           8
        .value_kind:     global_buffer
    .group_segment_fixed_size: 0
    .kernarg_segment_align: 8
    .kernarg_segment_size: 16
    .language:       OpenCL C
    .language_version:
      - 2
      - 0
    .max_flat_workgroup_size: 256
    .name:           _ZN2at6native29vectorized_elementwise_kernelILi16ENS0_11FillFunctorIN3c1014Float8_e8m0fnuEEESt5arrayIPcLm1EEEEviT0_T1_
    .private_segment_fixed_size: 0
    .sgpr_count:     13
    .sgpr_spill_count: 0
    .symbol:         _ZN2at6native29vectorized_elementwise_kernelILi16ENS0_11FillFunctorIN3c1014Float8_e8m0fnuEEESt5arrayIPcLm1EEEEviT0_T1_.kd
    .uniform_work_group_size: 1
    .uses_dynamic_stack: false
    .vgpr_count:     8
    .vgpr_spill_count: 0
    .wavefront_size: 64
  - .agpr_count:     0
    .args:
      - .offset:         0
        .size:           4
        .value_kind:     by_value
      - .offset:         4
        .size:           1
        .value_kind:     by_value
      - .address_space:  global
        .offset:         8
        .size:           8
        .value_kind:     global_buffer
    .group_segment_fixed_size: 0
    .kernarg_segment_align: 8
    .kernarg_segment_size: 16
    .language:       OpenCL C
    .language_version:
      - 2
      - 0
    .max_flat_workgroup_size: 256
    .name:           _ZN2at6native29vectorized_elementwise_kernelILi8ENS0_11FillFunctorIN3c1014Float8_e8m0fnuEEESt5arrayIPcLm1EEEEviT0_T1_
    .private_segment_fixed_size: 0
    .sgpr_count:     14
    .sgpr_spill_count: 0
    .symbol:         _ZN2at6native29vectorized_elementwise_kernelILi8ENS0_11FillFunctorIN3c1014Float8_e8m0fnuEEESt5arrayIPcLm1EEEEviT0_T1_.kd
    .uniform_work_group_size: 1
    .uses_dynamic_stack: false
    .vgpr_count:     4
    .vgpr_spill_count: 0
    .wavefront_size: 64
  - .agpr_count:     0
    .args:
      - .offset:         0
        .size:           4
        .value_kind:     by_value
      - .offset:         4
        .size:           1
        .value_kind:     by_value
      - .address_space:  global
        .offset:         8
        .size:           8
        .value_kind:     global_buffer
    .group_segment_fixed_size: 0
    .kernarg_segment_align: 8
    .kernarg_segment_size: 16
    .language:       OpenCL C
    .language_version:
      - 2
      - 0
    .max_flat_workgroup_size: 256
    .name:           _ZN2at6native29vectorized_elementwise_kernelILi4ENS0_11FillFunctorIN3c1014Float8_e8m0fnuEEESt5arrayIPcLm1EEEEviT0_T1_
    .private_segment_fixed_size: 0
    .sgpr_count:     12
    .sgpr_spill_count: 0
    .symbol:         _ZN2at6native29vectorized_elementwise_kernelILi4ENS0_11FillFunctorIN3c1014Float8_e8m0fnuEEESt5arrayIPcLm1EEEEviT0_T1_.kd
    .uniform_work_group_size: 1
    .uses_dynamic_stack: false
    .vgpr_count:     3
    .vgpr_spill_count: 0
    .wavefront_size: 64
  - .agpr_count:     0
    .args:
      - .offset:         0
        .size:           4
        .value_kind:     by_value
      - .offset:         4
        .size:           1
        .value_kind:     by_value
      - .address_space:  global
        .offset:         8
        .size:           8
        .value_kind:     global_buffer
    .group_segment_fixed_size: 0
    .kernarg_segment_align: 8
    .kernarg_segment_size: 16
    .language:       OpenCL C
    .language_version:
      - 2
      - 0
    .max_flat_workgroup_size: 256
    .name:           _ZN2at6native29vectorized_elementwise_kernelILi2ENS0_11FillFunctorIN3c1014Float8_e8m0fnuEEESt5arrayIPcLm1EEEEviT0_T1_
    .private_segment_fixed_size: 0
    .sgpr_count:     11
    .sgpr_spill_count: 0
    .symbol:         _ZN2at6native29vectorized_elementwise_kernelILi2ENS0_11FillFunctorIN3c1014Float8_e8m0fnuEEESt5arrayIPcLm1EEEEviT0_T1_.kd
    .uniform_work_group_size: 1
    .uses_dynamic_stack: false
    .vgpr_count:     3
    .vgpr_spill_count: 0
    .wavefront_size: 64
  - .agpr_count:     0
    .args:
      - .offset:         0
        .size:           4
        .value_kind:     by_value
      - .offset:         4
        .size:           1
        .value_kind:     by_value
      - .address_space:  global
        .offset:         8
        .size:           8
        .value_kind:     global_buffer
      - .offset:         16
        .size:           1
        .value_kind:     by_value
      - .offset:         17
        .size:           1
        .value_kind:     by_value
      - .offset:         18
        .size:           1
        .value_kind:     by_value
      - .offset:         19
        .size:           1
        .value_kind:     by_value
    .group_segment_fixed_size: 0
    .kernarg_segment_align: 8
    .kernarg_segment_size: 20
    .language:       OpenCL C
    .language_version:
      - 2
      - 0
    .max_flat_workgroup_size: 256
    .name:           _ZN2at6native27unrolled_elementwise_kernelINS0_11FillFunctorIN3c1014Float8_e8m0fnuEEESt5arrayIPcLm1EELi4E23TrivialOffsetCalculatorILi0EjES9_ILi1EjENS0_6memory15LoadWithoutCastENSC_16StoreWithoutCastEEEviT_T0_T2_T3_T4_T5_
    .private_segment_fixed_size: 0
    .sgpr_count:     11
    .sgpr_spill_count: 0
    .symbol:         _ZN2at6native27unrolled_elementwise_kernelINS0_11FillFunctorIN3c1014Float8_e8m0fnuEEESt5arrayIPcLm1EELi4E23TrivialOffsetCalculatorILi0EjES9_ILi1EjENS0_6memory15LoadWithoutCastENSC_16StoreWithoutCastEEEviT_T0_T2_T3_T4_T5_.kd
    .uniform_work_group_size: 1
    .uses_dynamic_stack: false
    .vgpr_count:     3
    .vgpr_spill_count: 0
    .wavefront_size: 64
  - .agpr_count:     0
    .args:
      - .offset:         0
        .size:           4
        .value_kind:     by_value
      - .offset:         8
        .size:           280
        .value_kind:     by_value
    .group_segment_fixed_size: 0
    .kernarg_segment_align: 8
    .kernarg_segment_size: 288
    .language:       OpenCL C
    .language_version:
      - 2
      - 0
    .max_flat_workgroup_size: 128
    .name:           _ZN2at6native32elementwise_kernel_manual_unrollILi128ELi8EZNS0_22gpu_kernel_impl_nocastINS0_11FillFunctorIN3c1014Float8_e8m0fnuEEEEEvRNS_18TensorIteratorBaseERKT_EUlibE_EEviT1_
    .private_segment_fixed_size: 0
    .sgpr_count:     57
    .sgpr_spill_count: 0
    .symbol:         _ZN2at6native32elementwise_kernel_manual_unrollILi128ELi8EZNS0_22gpu_kernel_impl_nocastINS0_11FillFunctorIN3c1014Float8_e8m0fnuEEEEEvRNS_18TensorIteratorBaseERKT_EUlibE_EEviT1_.kd
    .uniform_work_group_size: 1
    .uses_dynamic_stack: false
    .vgpr_count:     17
    .vgpr_spill_count: 0
    .wavefront_size: 64
  - .agpr_count:     0
    .args:
      - .offset:         0
        .size:           4
        .value_kind:     by_value
      - .offset:         8
        .size:           16
        .value_kind:     by_value
    .group_segment_fixed_size: 0
    .kernarg_segment_align: 8
    .kernarg_segment_size: 24
    .language:       OpenCL C
    .language_version:
      - 2
      - 0
    .max_flat_workgroup_size: 128
    .name:           _ZN2at6native32elementwise_kernel_manual_unrollILi128ELi4EZNS0_15gpu_kernel_implINS0_11FillFunctorIN3c1014Float8_e8m0fnuEEEEEvRNS_18TensorIteratorBaseERKT_EUlibE_EEviT1_
    .private_segment_fixed_size: 0
    .sgpr_count:     58
    .sgpr_spill_count: 0
    .symbol:         _ZN2at6native32elementwise_kernel_manual_unrollILi128ELi4EZNS0_15gpu_kernel_implINS0_11FillFunctorIN3c1014Float8_e8m0fnuEEEEEvRNS_18TensorIteratorBaseERKT_EUlibE_EEviT1_.kd
    .uniform_work_group_size: 1
    .uses_dynamic_stack: false
    .vgpr_count:     25
    .vgpr_spill_count: 0
    .wavefront_size: 64
  - .agpr_count:     0
    .args:
      - .offset:         0
        .size:           4
        .value_kind:     by_value
      - .offset:         8
        .size:           280
        .value_kind:     by_value
    .group_segment_fixed_size: 0
    .kernarg_segment_align: 8
    .kernarg_segment_size: 288
    .language:       OpenCL C
    .language_version:
      - 2
      - 0
    .max_flat_workgroup_size: 128
    .name:           _ZN2at6native32elementwise_kernel_manual_unrollILi128ELi4EZNS0_15gpu_kernel_implINS0_11FillFunctorIN3c1014Float8_e8m0fnuEEEEEvRNS_18TensorIteratorBaseERKT_EUlibE0_EEviT1_
    .private_segment_fixed_size: 0
    .sgpr_count:     92
    .sgpr_spill_count: 0
    .symbol:         _ZN2at6native32elementwise_kernel_manual_unrollILi128ELi4EZNS0_15gpu_kernel_implINS0_11FillFunctorIN3c1014Float8_e8m0fnuEEEEEvRNS_18TensorIteratorBaseERKT_EUlibE0_EEviT1_.kd
    .uniform_work_group_size: 1
    .uses_dynamic_stack: false
    .vgpr_count:     27
    .vgpr_spill_count: 0
    .wavefront_size: 64
  - .agpr_count:     0
    .args:
      - .offset:         0
        .size:           4
        .value_kind:     by_value
      - .offset:         4
        .size:           2
        .value_kind:     by_value
      - .address_space:  global
        .offset:         8
        .size:           8
        .value_kind:     global_buffer
    .group_segment_fixed_size: 0
    .kernarg_segment_align: 8
    .kernarg_segment_size: 16
    .language:       OpenCL C
    .language_version:
      - 2
      - 0
    .max_flat_workgroup_size: 256
    .name:           _ZN2at6native29vectorized_elementwise_kernelILi16ENS0_11FillFunctorItEESt5arrayIPcLm1EEEEviT0_T1_
    .private_segment_fixed_size: 0
    .sgpr_count:     16
    .sgpr_spill_count: 0
    .symbol:         _ZN2at6native29vectorized_elementwise_kernelILi16ENS0_11FillFunctorItEESt5arrayIPcLm1EEEEviT0_T1_.kd
    .uniform_work_group_size: 1
    .uses_dynamic_stack: false
    .vgpr_count:     8
    .vgpr_spill_count: 0
    .wavefront_size: 64
  - .agpr_count:     0
    .args:
      - .offset:         0
        .size:           4
        .value_kind:     by_value
      - .offset:         4
        .size:           2
        .value_kind:     by_value
      - .address_space:  global
        .offset:         8
        .size:           8
        .value_kind:     global_buffer
    .group_segment_fixed_size: 0
    .kernarg_segment_align: 8
    .kernarg_segment_size: 16
    .language:       OpenCL C
    .language_version:
      - 2
      - 0
    .max_flat_workgroup_size: 256
    .name:           _ZN2at6native29vectorized_elementwise_kernelILi8ENS0_11FillFunctorItEESt5arrayIPcLm1EEEEviT0_T1_
    .private_segment_fixed_size: 0
    .sgpr_count:     16
    .sgpr_spill_count: 0
    .symbol:         _ZN2at6native29vectorized_elementwise_kernelILi8ENS0_11FillFunctorItEESt5arrayIPcLm1EEEEviT0_T1_.kd
    .uniform_work_group_size: 1
    .uses_dynamic_stack: false
    .vgpr_count:     8
    .vgpr_spill_count: 0
    .wavefront_size: 64
  - .agpr_count:     0
    .args:
      - .offset:         0
        .size:           4
        .value_kind:     by_value
      - .offset:         4
        .size:           2
        .value_kind:     by_value
      - .address_space:  global
        .offset:         8
        .size:           8
        .value_kind:     global_buffer
    .group_segment_fixed_size: 0
    .kernarg_segment_align: 8
    .kernarg_segment_size: 16
    .language:       OpenCL C
    .language_version:
      - 2
      - 0
    .max_flat_workgroup_size: 256
    .name:           _ZN2at6native29vectorized_elementwise_kernelILi4ENS0_11FillFunctorItEESt5arrayIPcLm1EEEEviT0_T1_
    .private_segment_fixed_size: 0
    .sgpr_count:     16
    .sgpr_spill_count: 0
    .symbol:         _ZN2at6native29vectorized_elementwise_kernelILi4ENS0_11FillFunctorItEESt5arrayIPcLm1EEEEviT0_T1_.kd
    .uniform_work_group_size: 1
    .uses_dynamic_stack: false
    .vgpr_count:     8
    .vgpr_spill_count: 0
    .wavefront_size: 64
  - .agpr_count:     0
    .args:
      - .offset:         0
        .size:           4
        .value_kind:     by_value
      - .offset:         4
        .size:           2
        .value_kind:     by_value
      - .address_space:  global
        .offset:         8
        .size:           8
        .value_kind:     global_buffer
    .group_segment_fixed_size: 0
    .kernarg_segment_align: 8
    .kernarg_segment_size: 16
    .language:       OpenCL C
    .language_version:
      - 2
      - 0
    .max_flat_workgroup_size: 256
    .name:           _ZN2at6native29vectorized_elementwise_kernelILi2ENS0_11FillFunctorItEESt5arrayIPcLm1EEEEviT0_T1_
    .private_segment_fixed_size: 0
    .sgpr_count:     16
    .sgpr_spill_count: 0
    .symbol:         _ZN2at6native29vectorized_elementwise_kernelILi2ENS0_11FillFunctorItEESt5arrayIPcLm1EEEEviT0_T1_.kd
    .uniform_work_group_size: 1
    .uses_dynamic_stack: false
    .vgpr_count:     8
    .vgpr_spill_count: 0
    .wavefront_size: 64
  - .agpr_count:     0
    .args:
      - .offset:         0
        .size:           4
        .value_kind:     by_value
      - .offset:         4
        .size:           2
        .value_kind:     by_value
      - .address_space:  global
        .offset:         8
        .size:           8
        .value_kind:     global_buffer
      - .offset:         16
        .size:           1
        .value_kind:     by_value
      - .offset:         17
        .size:           1
        .value_kind:     by_value
      - .offset:         18
        .size:           1
        .value_kind:     by_value
      - .offset:         19
        .size:           1
        .value_kind:     by_value
    .group_segment_fixed_size: 0
    .kernarg_segment_align: 8
    .kernarg_segment_size: 20
    .language:       OpenCL C
    .language_version:
      - 2
      - 0
    .max_flat_workgroup_size: 256
    .name:           _ZN2at6native27unrolled_elementwise_kernelINS0_11FillFunctorItEESt5arrayIPcLm1EELi4E23TrivialOffsetCalculatorILi0EjES7_ILi1EjENS0_6memory15LoadWithoutCastENSA_16StoreWithoutCastEEEviT_T0_T2_T3_T4_T5_
    .private_segment_fixed_size: 0
    .sgpr_count:     16
    .sgpr_spill_count: 0
    .symbol:         _ZN2at6native27unrolled_elementwise_kernelINS0_11FillFunctorItEESt5arrayIPcLm1EELi4E23TrivialOffsetCalculatorILi0EjES7_ILi1EjENS0_6memory15LoadWithoutCastENSA_16StoreWithoutCastEEEviT_T0_T2_T3_T4_T5_.kd
    .uniform_work_group_size: 1
    .uses_dynamic_stack: false
    .vgpr_count:     6
    .vgpr_spill_count: 0
    .wavefront_size: 64
  - .agpr_count:     0
    .args:
      - .offset:         0
        .size:           4
        .value_kind:     by_value
      - .offset:         8
        .size:           280
        .value_kind:     by_value
    .group_segment_fixed_size: 0
    .kernarg_segment_align: 8
    .kernarg_segment_size: 288
    .language:       OpenCL C
    .language_version:
      - 2
      - 0
    .max_flat_workgroup_size: 128
    .name:           _ZN2at6native32elementwise_kernel_manual_unrollILi128ELi8EZNS0_22gpu_kernel_impl_nocastINS0_11FillFunctorItEEEEvRNS_18TensorIteratorBaseERKT_EUlibE_EEviT1_
    .private_segment_fixed_size: 0
    .sgpr_count:     57
    .sgpr_spill_count: 0
    .symbol:         _ZN2at6native32elementwise_kernel_manual_unrollILi128ELi8EZNS0_22gpu_kernel_impl_nocastINS0_11FillFunctorItEEEEvRNS_18TensorIteratorBaseERKT_EUlibE_EEviT1_.kd
    .uniform_work_group_size: 1
    .uses_dynamic_stack: false
    .vgpr_count:     17
    .vgpr_spill_count: 0
    .wavefront_size: 64
  - .agpr_count:     0
    .args:
      - .offset:         0
        .size:           4
        .value_kind:     by_value
      - .offset:         8
        .size:           16
        .value_kind:     by_value
    .group_segment_fixed_size: 0
    .kernarg_segment_align: 8
    .kernarg_segment_size: 24
    .language:       OpenCL C
    .language_version:
      - 2
      - 0
    .max_flat_workgroup_size: 128
    .name:           _ZN2at6native32elementwise_kernel_manual_unrollILi128ELi4EZNS0_15gpu_kernel_implINS0_11FillFunctorItEEEEvRNS_18TensorIteratorBaseERKT_EUlibE_EEviT1_
    .private_segment_fixed_size: 0
    .sgpr_count:     58
    .sgpr_spill_count: 0
    .symbol:         _ZN2at6native32elementwise_kernel_manual_unrollILi128ELi4EZNS0_15gpu_kernel_implINS0_11FillFunctorItEEEEvRNS_18TensorIteratorBaseERKT_EUlibE_EEviT1_.kd
    .uniform_work_group_size: 1
    .uses_dynamic_stack: false
    .vgpr_count:     24
    .vgpr_spill_count: 0
    .wavefront_size: 64
  - .agpr_count:     0
    .args:
      - .offset:         0
        .size:           4
        .value_kind:     by_value
      - .offset:         8
        .size:           280
        .value_kind:     by_value
    .group_segment_fixed_size: 0
    .kernarg_segment_align: 8
    .kernarg_segment_size: 288
    .language:       OpenCL C
    .language_version:
      - 2
      - 0
    .max_flat_workgroup_size: 128
    .name:           _ZN2at6native32elementwise_kernel_manual_unrollILi128ELi4EZNS0_15gpu_kernel_implINS0_11FillFunctorItEEEEvRNS_18TensorIteratorBaseERKT_EUlibE0_EEviT1_
    .private_segment_fixed_size: 0
    .sgpr_count:     94
    .sgpr_spill_count: 0
    .symbol:         _ZN2at6native32elementwise_kernel_manual_unrollILi128ELi4EZNS0_15gpu_kernel_implINS0_11FillFunctorItEEEEvRNS_18TensorIteratorBaseERKT_EUlibE0_EEviT1_.kd
    .uniform_work_group_size: 1
    .uses_dynamic_stack: false
    .vgpr_count:     24
    .vgpr_spill_count: 0
    .wavefront_size: 64
  - .agpr_count:     0
    .args:
      - .offset:         0
        .size:           4
        .value_kind:     by_value
      - .offset:         4
        .size:           4
        .value_kind:     by_value
      - .address_space:  global
        .offset:         8
        .size:           8
        .value_kind:     global_buffer
    .group_segment_fixed_size: 0
    .kernarg_segment_align: 8
    .kernarg_segment_size: 16
    .language:       OpenCL C
    .language_version:
      - 2
      - 0
    .max_flat_workgroup_size: 256
    .name:           _ZN2at6native29vectorized_elementwise_kernelILi16ENS0_11FillFunctorIjEESt5arrayIPcLm1EEEEviT0_T1_
    .private_segment_fixed_size: 0
    .sgpr_count:     12
    .sgpr_spill_count: 0
    .symbol:         _ZN2at6native29vectorized_elementwise_kernelILi16ENS0_11FillFunctorIjEESt5arrayIPcLm1EEEEviT0_T1_.kd
    .uniform_work_group_size: 1
    .uses_dynamic_stack: false
    .vgpr_count:     6
    .vgpr_spill_count: 0
    .wavefront_size: 64
  - .agpr_count:     0
    .args:
      - .offset:         0
        .size:           4
        .value_kind:     by_value
      - .offset:         4
        .size:           4
        .value_kind:     by_value
      - .address_space:  global
        .offset:         8
        .size:           8
        .value_kind:     global_buffer
    .group_segment_fixed_size: 0
    .kernarg_segment_align: 8
    .kernarg_segment_size: 16
    .language:       OpenCL C
    .language_version:
      - 2
      - 0
    .max_flat_workgroup_size: 256
    .name:           _ZN2at6native29vectorized_elementwise_kernelILi8ENS0_11FillFunctorIjEESt5arrayIPcLm1EEEEviT0_T1_
    .private_segment_fixed_size: 0
    .sgpr_count:     12
    .sgpr_spill_count: 0
    .symbol:         _ZN2at6native29vectorized_elementwise_kernelILi8ENS0_11FillFunctorIjEESt5arrayIPcLm1EEEEviT0_T1_.kd
    .uniform_work_group_size: 1
    .uses_dynamic_stack: false
    .vgpr_count:     6
    .vgpr_spill_count: 0
    .wavefront_size: 64
  - .agpr_count:     0
    .args:
      - .offset:         0
        .size:           4
        .value_kind:     by_value
      - .offset:         4
        .size:           4
        .value_kind:     by_value
      - .address_space:  global
        .offset:         8
        .size:           8
        .value_kind:     global_buffer
    .group_segment_fixed_size: 0
    .kernarg_segment_align: 8
    .kernarg_segment_size: 16
    .language:       OpenCL C
    .language_version:
      - 2
      - 0
    .max_flat_workgroup_size: 256
    .name:           _ZN2at6native29vectorized_elementwise_kernelILi4ENS0_11FillFunctorIjEESt5arrayIPcLm1EEEEviT0_T1_
    .private_segment_fixed_size: 0
    .sgpr_count:     12
    .sgpr_spill_count: 0
    .symbol:         _ZN2at6native29vectorized_elementwise_kernelILi4ENS0_11FillFunctorIjEESt5arrayIPcLm1EEEEviT0_T1_.kd
    .uniform_work_group_size: 1
    .uses_dynamic_stack: false
    .vgpr_count:     6
    .vgpr_spill_count: 0
    .wavefront_size: 64
  - .agpr_count:     0
    .args:
      - .offset:         0
        .size:           4
        .value_kind:     by_value
      - .offset:         4
        .size:           4
        .value_kind:     by_value
      - .address_space:  global
        .offset:         8
        .size:           8
        .value_kind:     global_buffer
    .group_segment_fixed_size: 0
    .kernarg_segment_align: 8
    .kernarg_segment_size: 16
    .language:       OpenCL C
    .language_version:
      - 2
      - 0
    .max_flat_workgroup_size: 256
    .name:           _ZN2at6native29vectorized_elementwise_kernelILi2ENS0_11FillFunctorIjEESt5arrayIPcLm1EEEEviT0_T1_
    .private_segment_fixed_size: 0
    .sgpr_count:     13
    .sgpr_spill_count: 0
    .symbol:         _ZN2at6native29vectorized_elementwise_kernelILi2ENS0_11FillFunctorIjEESt5arrayIPcLm1EEEEviT0_T1_.kd
    .uniform_work_group_size: 1
    .uses_dynamic_stack: false
    .vgpr_count:     4
    .vgpr_spill_count: 0
    .wavefront_size: 64
  - .agpr_count:     0
    .args:
      - .offset:         0
        .size:           4
        .value_kind:     by_value
      - .offset:         4
        .size:           4
        .value_kind:     by_value
      - .address_space:  global
        .offset:         8
        .size:           8
        .value_kind:     global_buffer
      - .offset:         16
        .size:           1
        .value_kind:     by_value
      - .offset:         17
        .size:           1
        .value_kind:     by_value
      - .offset:         18
        .size:           1
        .value_kind:     by_value
      - .offset:         19
        .size:           1
        .value_kind:     by_value
    .group_segment_fixed_size: 0
    .kernarg_segment_align: 8
    .kernarg_segment_size: 20
    .language:       OpenCL C
    .language_version:
      - 2
      - 0
    .max_flat_workgroup_size: 256
    .name:           _ZN2at6native27unrolled_elementwise_kernelINS0_11FillFunctorIjEESt5arrayIPcLm1EELi4E23TrivialOffsetCalculatorILi0EjES7_ILi1EjENS0_6memory15LoadWithoutCastENSA_16StoreWithoutCastEEEviT_T0_T2_T3_T4_T5_
    .private_segment_fixed_size: 0
    .sgpr_count:     11
    .sgpr_spill_count: 0
    .symbol:         _ZN2at6native27unrolled_elementwise_kernelINS0_11FillFunctorIjEESt5arrayIPcLm1EELi4E23TrivialOffsetCalculatorILi0EjES7_ILi1EjENS0_6memory15LoadWithoutCastENSA_16StoreWithoutCastEEEviT_T0_T2_T3_T4_T5_.kd
    .uniform_work_group_size: 1
    .uses_dynamic_stack: false
    .vgpr_count:     5
    .vgpr_spill_count: 0
    .wavefront_size: 64
  - .agpr_count:     0
    .args:
      - .offset:         0
        .size:           4
        .value_kind:     by_value
      - .offset:         8
        .size:           280
        .value_kind:     by_value
    .group_segment_fixed_size: 0
    .kernarg_segment_align: 8
    .kernarg_segment_size: 288
    .language:       OpenCL C
    .language_version:
      - 2
      - 0
    .max_flat_workgroup_size: 128
    .name:           _ZN2at6native32elementwise_kernel_manual_unrollILi128ELi4EZNS0_22gpu_kernel_impl_nocastINS0_11FillFunctorIjEEEEvRNS_18TensorIteratorBaseERKT_EUlibE_EEviT1_
    .private_segment_fixed_size: 0
    .sgpr_count:     57
    .sgpr_spill_count: 0
    .symbol:         _ZN2at6native32elementwise_kernel_manual_unrollILi128ELi4EZNS0_22gpu_kernel_impl_nocastINS0_11FillFunctorIjEEEEvRNS_18TensorIteratorBaseERKT_EUlibE_EEviT1_.kd
    .uniform_work_group_size: 1
    .uses_dynamic_stack: false
    .vgpr_count:     10
    .vgpr_spill_count: 0
    .wavefront_size: 64
  - .agpr_count:     0
    .args:
      - .offset:         0
        .size:           4
        .value_kind:     by_value
      - .offset:         8
        .size:           24
        .value_kind:     by_value
    .group_segment_fixed_size: 0
    .kernarg_segment_align: 8
    .kernarg_segment_size: 32
    .language:       OpenCL C
    .language_version:
      - 2
      - 0
    .max_flat_workgroup_size: 128
    .name:           _ZN2at6native32elementwise_kernel_manual_unrollILi128ELi4EZNS0_15gpu_kernel_implINS0_11FillFunctorIjEEEEvRNS_18TensorIteratorBaseERKT_EUlibE_EEviT1_
    .private_segment_fixed_size: 0
    .sgpr_count:     58
    .sgpr_spill_count: 0
    .symbol:         _ZN2at6native32elementwise_kernel_manual_unrollILi128ELi4EZNS0_15gpu_kernel_implINS0_11FillFunctorIjEEEEvRNS_18TensorIteratorBaseERKT_EUlibE_EEviT1_.kd
    .uniform_work_group_size: 1
    .uses_dynamic_stack: false
    .vgpr_count:     24
    .vgpr_spill_count: 0
    .wavefront_size: 64
  - .agpr_count:     0
    .args:
      - .offset:         0
        .size:           4
        .value_kind:     by_value
      - .offset:         8
        .size:           280
        .value_kind:     by_value
    .group_segment_fixed_size: 0
    .kernarg_segment_align: 8
    .kernarg_segment_size: 288
    .language:       OpenCL C
    .language_version:
      - 2
      - 0
    .max_flat_workgroup_size: 128
    .name:           _ZN2at6native32elementwise_kernel_manual_unrollILi128ELi4EZNS0_15gpu_kernel_implINS0_11FillFunctorIjEEEEvRNS_18TensorIteratorBaseERKT_EUlibE0_EEviT1_
    .private_segment_fixed_size: 0
    .sgpr_count:     92
    .sgpr_spill_count: 0
    .symbol:         _ZN2at6native32elementwise_kernel_manual_unrollILi128ELi4EZNS0_15gpu_kernel_implINS0_11FillFunctorIjEEEEvRNS_18TensorIteratorBaseERKT_EUlibE0_EEviT1_.kd
    .uniform_work_group_size: 1
    .uses_dynamic_stack: false
    .vgpr_count:     24
    .vgpr_spill_count: 0
    .wavefront_size: 64
  - .agpr_count:     0
    .args:
      - .offset:         0
        .size:           4
        .value_kind:     by_value
      - .offset:         8
        .size:           8
        .value_kind:     by_value
      - .address_space:  global
        .offset:         16
        .size:           8
        .value_kind:     global_buffer
    .group_segment_fixed_size: 0
    .kernarg_segment_align: 8
    .kernarg_segment_size: 24
    .language:       OpenCL C
    .language_version:
      - 2
      - 0
    .max_flat_workgroup_size: 256
    .name:           _ZN2at6native29vectorized_elementwise_kernelILi16ENS0_11FillFunctorImEESt5arrayIPcLm1EEEEviT0_T1_
    .private_segment_fixed_size: 0
    .sgpr_count:     20
    .sgpr_spill_count: 0
    .symbol:         _ZN2at6native29vectorized_elementwise_kernelILi16ENS0_11FillFunctorImEESt5arrayIPcLm1EEEEviT0_T1_.kd
    .uniform_work_group_size: 1
    .uses_dynamic_stack: false
    .vgpr_count:     6
    .vgpr_spill_count: 0
    .wavefront_size: 64
  - .agpr_count:     0
    .args:
      - .offset:         0
        .size:           4
        .value_kind:     by_value
      - .offset:         8
        .size:           8
        .value_kind:     by_value
      - .address_space:  global
        .offset:         16
        .size:           8
        .value_kind:     global_buffer
    .group_segment_fixed_size: 0
    .kernarg_segment_align: 8
    .kernarg_segment_size: 24
    .language:       OpenCL C
    .language_version:
      - 2
      - 0
    .max_flat_workgroup_size: 256
    .name:           _ZN2at6native29vectorized_elementwise_kernelILi8ENS0_11FillFunctorImEESt5arrayIPcLm1EEEEviT0_T1_
    .private_segment_fixed_size: 0
    .sgpr_count:     20
    .sgpr_spill_count: 0
    .symbol:         _ZN2at6native29vectorized_elementwise_kernelILi8ENS0_11FillFunctorImEESt5arrayIPcLm1EEEEviT0_T1_.kd
    .uniform_work_group_size: 1
    .uses_dynamic_stack: false
    .vgpr_count:     6
    .vgpr_spill_count: 0
    .wavefront_size: 64
  - .agpr_count:     0
    .args:
      - .offset:         0
        .size:           4
        .value_kind:     by_value
      - .offset:         8
        .size:           8
        .value_kind:     by_value
      - .address_space:  global
        .offset:         16
        .size:           8
        .value_kind:     global_buffer
    .group_segment_fixed_size: 0
    .kernarg_segment_align: 8
    .kernarg_segment_size: 24
    .language:       OpenCL C
    .language_version:
      - 2
      - 0
    .max_flat_workgroup_size: 256
    .name:           _ZN2at6native29vectorized_elementwise_kernelILi4ENS0_11FillFunctorImEESt5arrayIPcLm1EEEEviT0_T1_
    .private_segment_fixed_size: 0
    .sgpr_count:     20
    .sgpr_spill_count: 0
    .symbol:         _ZN2at6native29vectorized_elementwise_kernelILi4ENS0_11FillFunctorImEESt5arrayIPcLm1EEEEviT0_T1_.kd
    .uniform_work_group_size: 1
    .uses_dynamic_stack: false
    .vgpr_count:     6
    .vgpr_spill_count: 0
    .wavefront_size: 64
  - .agpr_count:     0
    .args:
      - .offset:         0
        .size:           4
        .value_kind:     by_value
      - .offset:         8
        .size:           8
        .value_kind:     by_value
      - .address_space:  global
        .offset:         16
        .size:           8
        .value_kind:     global_buffer
    .group_segment_fixed_size: 0
    .kernarg_segment_align: 8
    .kernarg_segment_size: 24
    .language:       OpenCL C
    .language_version:
      - 2
      - 0
    .max_flat_workgroup_size: 256
    .name:           _ZN2at6native29vectorized_elementwise_kernelILi2ENS0_11FillFunctorImEESt5arrayIPcLm1EEEEviT0_T1_
    .private_segment_fixed_size: 0
    .sgpr_count:     20
    .sgpr_spill_count: 0
    .symbol:         _ZN2at6native29vectorized_elementwise_kernelILi2ENS0_11FillFunctorImEESt5arrayIPcLm1EEEEviT0_T1_.kd
    .uniform_work_group_size: 1
    .uses_dynamic_stack: false
    .vgpr_count:     8
    .vgpr_spill_count: 0
    .wavefront_size: 64
  - .agpr_count:     0
    .args:
      - .offset:         0
        .size:           4
        .value_kind:     by_value
      - .offset:         8
        .size:           8
        .value_kind:     by_value
      - .address_space:  global
        .offset:         16
        .size:           8
        .value_kind:     global_buffer
      - .offset:         24
        .size:           1
        .value_kind:     by_value
      - .offset:         25
        .size:           1
        .value_kind:     by_value
      - .offset:         26
        .size:           1
        .value_kind:     by_value
      - .offset:         27
        .size:           1
        .value_kind:     by_value
    .group_segment_fixed_size: 0
    .kernarg_segment_align: 8
    .kernarg_segment_size: 28
    .language:       OpenCL C
    .language_version:
      - 2
      - 0
    .max_flat_workgroup_size: 256
    .name:           _ZN2at6native27unrolled_elementwise_kernelINS0_11FillFunctorImEESt5arrayIPcLm1EELi4E23TrivialOffsetCalculatorILi0EjES7_ILi1EjENS0_6memory15LoadWithoutCastENSA_16StoreWithoutCastEEEviT_T0_T2_T3_T4_T5_
    .private_segment_fixed_size: 0
    .sgpr_count:     16
    .sgpr_spill_count: 0
    .symbol:         _ZN2at6native27unrolled_elementwise_kernelINS0_11FillFunctorImEESt5arrayIPcLm1EELi4E23TrivialOffsetCalculatorILi0EjES7_ILi1EjENS0_6memory15LoadWithoutCastENSA_16StoreWithoutCastEEEviT_T0_T2_T3_T4_T5_.kd
    .uniform_work_group_size: 1
    .uses_dynamic_stack: false
    .vgpr_count:     8
    .vgpr_spill_count: 0
    .wavefront_size: 64
  - .agpr_count:     0
    .args:
      - .offset:         0
        .size:           4
        .value_kind:     by_value
      - .offset:         8
        .size:           280
        .value_kind:     by_value
    .group_segment_fixed_size: 0
    .kernarg_segment_align: 8
    .kernarg_segment_size: 288
    .language:       OpenCL C
    .language_version:
      - 2
      - 0
    .max_flat_workgroup_size: 128
    .name:           _ZN2at6native32elementwise_kernel_manual_unrollILi128ELi4EZNS0_22gpu_kernel_impl_nocastINS0_11FillFunctorImEEEEvRNS_18TensorIteratorBaseERKT_EUlibE_EEviT1_
    .private_segment_fixed_size: 0
    .sgpr_count:     58
    .sgpr_spill_count: 0
    .symbol:         _ZN2at6native32elementwise_kernel_manual_unrollILi128ELi4EZNS0_22gpu_kernel_impl_nocastINS0_11FillFunctorImEEEEvRNS_18TensorIteratorBaseERKT_EUlibE_EEviT1_.kd
    .uniform_work_group_size: 1
    .uses_dynamic_stack: false
    .vgpr_count:     10
    .vgpr_spill_count: 0
    .wavefront_size: 64
  - .agpr_count:     0
    .args:
      - .offset:         0
        .size:           4
        .value_kind:     by_value
      - .offset:         8
        .size:           32
        .value_kind:     by_value
    .group_segment_fixed_size: 0
    .kernarg_segment_align: 8
    .kernarg_segment_size: 40
    .language:       OpenCL C
    .language_version:
      - 2
      - 0
    .max_flat_workgroup_size: 128
    .name:           _ZN2at6native32elementwise_kernel_manual_unrollILi128ELi4EZNS0_15gpu_kernel_implINS0_11FillFunctorImEEEEvRNS_18TensorIteratorBaseERKT_EUlibE_EEviT1_
    .private_segment_fixed_size: 0
    .sgpr_count:     57
    .sgpr_spill_count: 0
    .symbol:         _ZN2at6native32elementwise_kernel_manual_unrollILi128ELi4EZNS0_15gpu_kernel_implINS0_11FillFunctorImEEEEvRNS_18TensorIteratorBaseERKT_EUlibE_EEviT1_.kd
    .uniform_work_group_size: 1
    .uses_dynamic_stack: false
    .vgpr_count:     24
    .vgpr_spill_count: 0
    .wavefront_size: 64
  - .agpr_count:     0
    .args:
      - .offset:         0
        .size:           4
        .value_kind:     by_value
      - .offset:         8
        .size:           288
        .value_kind:     by_value
    .group_segment_fixed_size: 0
    .kernarg_segment_align: 8
    .kernarg_segment_size: 296
    .language:       OpenCL C
    .language_version:
      - 2
      - 0
    .max_flat_workgroup_size: 128
    .name:           _ZN2at6native32elementwise_kernel_manual_unrollILi128ELi4EZNS0_15gpu_kernel_implINS0_11FillFunctorImEEEEvRNS_18TensorIteratorBaseERKT_EUlibE0_EEviT1_
    .private_segment_fixed_size: 0
    .sgpr_count:     91
    .sgpr_spill_count: 0
    .symbol:         _ZN2at6native32elementwise_kernel_manual_unrollILi128ELi4EZNS0_15gpu_kernel_implINS0_11FillFunctorImEEEEvRNS_18TensorIteratorBaseERKT_EUlibE0_EEviT1_.kd
    .uniform_work_group_size: 1
    .uses_dynamic_stack: false
    .vgpr_count:     24
    .vgpr_spill_count: 0
    .wavefront_size: 64
amdhsa.target:   amdgcn-amd-amdhsa--gfx90a
amdhsa.version:
  - 1
  - 2
...

	.end_amdgpu_metadata
